;; amdgpu-corpus repo=ROCm/rccl kind=compiled arch=gfx906 opt=O3
	.amdgcn_target "amdgcn-amd-amdhsa--gfx906"
	.amdhsa_code_object_version 6
	.text
	.p2align	2                               ; -- Begin function __ockl_fprintf_append_string_n
	.type	__ockl_fprintf_append_string_n,@function
__ockl_fprintf_append_string_n:         ; @__ockl_fprintf_append_string_n
; %bb.0:
	s_waitcnt vmcnt(0) expcnt(0) lgkmcnt(0)
	v_or_b32_e32 v2, 2, v0
	v_cmp_eq_u32_e32 vcc, 0, v6
	s_getpc_b64 s[4:5]
	s_add_u32 s4, s4, .str.3@rel32@lo+4
	s_addc_u32 s5, s5, .str.3@rel32@hi+12
	s_mov_b32 s20, 0
	v_cndmask_b32_e32 v36, v2, v0, vcc
	s_mov_b64 s[6:7], 0
	s_cmp_lg_u64 s[4:5], 0
	v_mbcnt_lo_u32_b32 v37, -1, 0
	s_cbranch_scc0 .LBB0_112
; %bb.1:
	s_load_dwordx2 s[10:11], s[8:9], 0x50
	s_getpc_b64 s[4:5]
	s_add_u32 s4, s4, .str.3@rel32@lo+4
	s_addc_u32 s5, s5, .str.3@rel32@hi+12
	v_and_b32_e32 v0, -3, v36
	v_mov_b32_e32 v31, s5
	v_mov_b32_e32 v11, v1
	v_and_b32_e32 v38, 2, v36
	v_mov_b32_e32 v3, 0
	v_mbcnt_hi_u32_b32 v39, -1, v37
	v_mov_b32_e32 v30, s4
	s_movk_i32 s21, 0x1e0
	v_mov_b32_e32 v8, 2
	v_mov_b32_e32 v9, 1
	;; [unrolled: 1-line block ×3, first 2 shown]
	s_branch .LBB0_3
.LBB0_2:                                ;   in Loop: Header=BB0_3 Depth=1
	s_or_b64 exec, exec, s[14:15]
	v_sub_co_u32_e32 v4, vcc, v4, v32
	v_subb_co_u32_e32 v5, vcc, v5, v33, vcc
	v_cmp_eq_u64_e32 vcc, 0, v[4:5]
	s_or_b64 s[6:7], vcc, s[6:7]
	v_add_co_u32_e32 v30, vcc, v30, v32
	v_addc_co_u32_e32 v31, vcc, v31, v33, vcc
	s_andn2_b64 exec, exec, s[6:7]
	s_cbranch_execz .LBB0_85
.LBB0_3:                                ; =>This Loop Header: Depth=1
                                        ;     Child Loop BB0_6 Depth 2
                                        ;     Child Loop BB0_14 Depth 2
	;; [unrolled: 1-line block ×11, first 2 shown]
	v_cmp_gt_u64_e32 vcc, 56, v[4:5]
	v_add_co_u32_e64 v16, s[4:5], 8, v30
	v_cndmask_b32_e32 v33, 0, v5, vcc
	v_cndmask_b32_e32 v32, 56, v4, vcc
	v_cmp_gt_u64_e32 vcc, 8, v[4:5]
	v_addc_co_u32_e64 v17, s[4:5], 0, v31, s[4:5]
	s_and_saveexec_b64 s[4:5], vcc
	s_xor_b64 s[4:5], exec, s[4:5]
	s_cbranch_execz .LBB0_9
; %bb.4:                                ;   in Loop: Header=BB0_3 Depth=1
	s_waitcnt vmcnt(0)
	v_mov_b32_e32 v12, 0
	v_cmp_ne_u64_e32 vcc, 0, v[4:5]
	v_mov_b32_e32 v13, 0
	s_and_saveexec_b64 s[12:13], vcc
	s_cbranch_execz .LBB0_8
; %bb.5:                                ;   in Loop: Header=BB0_3 Depth=1
	v_lshlrev_b64 v[6:7], 3, v[32:33]
	v_mov_b32_e32 v12, 0
	v_mov_b32_e32 v14, v30
	s_mov_b64 s[14:15], 0
	v_mov_b32_e32 v13, 0
	v_mov_b32_e32 v15, v31
	s_mov_b64 s[16:17], 0
.LBB0_6:                                ;   Parent Loop BB0_3 Depth=1
                                        ; =>  This Inner Loop Header: Depth=2
	global_load_ubyte v0, v[14:15], off
	v_mov_b32_e32 v17, s20
	v_add_co_u32_e32 v14, vcc, 1, v14
	v_addc_co_u32_e32 v15, vcc, 0, v15, vcc
	s_waitcnt vmcnt(0)
	v_and_b32_e32 v16, 0xffff, v0
	v_lshlrev_b64 v[16:17], s16, v[16:17]
	s_add_u32 s16, s16, 8
	s_addc_u32 s17, s17, 0
	v_cmp_eq_u32_e32 vcc, s16, v6
	v_or_b32_e32 v13, v17, v13
	s_or_b64 s[14:15], vcc, s[14:15]
	v_or_b32_e32 v12, v16, v12
	s_andn2_b64 exec, exec, s[14:15]
	s_cbranch_execnz .LBB0_6
; %bb.7:                                ;   in Loop: Header=BB0_3 Depth=1
	s_or_b64 exec, exec, s[14:15]
.LBB0_8:                                ;   in Loop: Header=BB0_3 Depth=1
	s_or_b64 exec, exec, s[12:13]
	v_mov_b32_e32 v16, v30
	v_mov_b32_e32 v17, v31
.LBB0_9:                                ;   in Loop: Header=BB0_3 Depth=1
	s_or_saveexec_b64 s[4:5], s[4:5]
	v_mov_b32_e32 v0, 0
	s_xor_b64 exec, exec, s[4:5]
	s_cbranch_execz .LBB0_11
; %bb.10:                               ;   in Loop: Header=BB0_3 Depth=1
	global_load_dwordx2 v[12:13], v[30:31], off
	v_add_u32_e32 v0, -8, v32
.LBB0_11:                               ;   in Loop: Header=BB0_3 Depth=1
	s_or_b64 exec, exec, s[4:5]
	v_add_co_u32_e64 v6, s[4:5], 8, v16
	v_cmp_gt_u32_e32 vcc, 8, v0
	v_addc_co_u32_e64 v7, s[4:5], 0, v17, s[4:5]
                                        ; implicit-def: $vgpr14_vgpr15
	s_and_saveexec_b64 s[4:5], vcc
	s_xor_b64 s[4:5], exec, s[4:5]
	s_cbranch_execz .LBB0_17
; %bb.12:                               ;   in Loop: Header=BB0_3 Depth=1
	v_mov_b32_e32 v14, 0
	v_mov_b32_e32 v15, 0
	v_cmp_ne_u32_e32 vcc, 0, v0
	s_and_saveexec_b64 s[12:13], vcc
	s_cbranch_execz .LBB0_16
; %bb.13:                               ;   in Loop: Header=BB0_3 Depth=1
	v_mov_b32_e32 v14, 0
	s_mov_b64 s[14:15], 0
	v_mov_b32_e32 v15, 0
	s_mov_b64 s[16:17], 0
	s_mov_b64 s[18:19], 0
.LBB0_14:                               ;   Parent Loop BB0_3 Depth=1
                                        ; =>  This Inner Loop Header: Depth=2
	v_mov_b32_e32 v2, s19
	v_add_co_u32_e32 v6, vcc, s18, v16
	v_addc_co_u32_e32 v7, vcc, v17, v2, vcc
	global_load_ubyte v2, v[6:7], off
	s_add_u32 s18, s18, 1
	v_mov_b32_e32 v7, s20
	s_addc_u32 s19, s19, 0
	v_cmp_eq_u32_e32 vcc, s18, v0
	s_waitcnt vmcnt(0)
	v_and_b32_e32 v6, 0xffff, v2
	v_lshlrev_b64 v[6:7], s16, v[6:7]
	s_add_u32 s16, s16, 8
	s_addc_u32 s17, s17, 0
	v_or_b32_e32 v15, v7, v15
	s_or_b64 s[14:15], vcc, s[14:15]
	v_or_b32_e32 v14, v6, v14
	s_andn2_b64 exec, exec, s[14:15]
	s_cbranch_execnz .LBB0_14
; %bb.15:                               ;   in Loop: Header=BB0_3 Depth=1
	s_or_b64 exec, exec, s[14:15]
.LBB0_16:                               ;   in Loop: Header=BB0_3 Depth=1
	s_or_b64 exec, exec, s[12:13]
	v_mov_b32_e32 v6, v16
	v_mov_b32_e32 v7, v17
                                        ; implicit-def: $vgpr0
.LBB0_17:                               ;   in Loop: Header=BB0_3 Depth=1
	s_or_saveexec_b64 s[4:5], s[4:5]
	v_mov_b32_e32 v2, 0
	s_xor_b64 exec, exec, s[4:5]
	s_cbranch_execz .LBB0_19
; %bb.18:                               ;   in Loop: Header=BB0_3 Depth=1
	global_load_dwordx2 v[14:15], v[16:17], off
	v_add_u32_e32 v2, -8, v0
.LBB0_19:                               ;   in Loop: Header=BB0_3 Depth=1
	s_or_b64 exec, exec, s[4:5]
	v_add_co_u32_e64 v20, s[4:5], 8, v6
	v_cmp_gt_u32_e32 vcc, 8, v2
	v_addc_co_u32_e64 v21, s[4:5], 0, v7, s[4:5]
	s_and_saveexec_b64 s[4:5], vcc
	s_xor_b64 s[4:5], exec, s[4:5]
	s_cbranch_execz .LBB0_25
; %bb.20:                               ;   in Loop: Header=BB0_3 Depth=1
	v_mov_b32_e32 v16, 0
	v_mov_b32_e32 v17, 0
	v_cmp_ne_u32_e32 vcc, 0, v2
	s_and_saveexec_b64 s[12:13], vcc
	s_cbranch_execz .LBB0_24
; %bb.21:                               ;   in Loop: Header=BB0_3 Depth=1
	v_mov_b32_e32 v16, 0
	s_mov_b64 s[14:15], 0
	v_mov_b32_e32 v17, 0
	s_mov_b64 s[16:17], 0
	s_mov_b64 s[18:19], 0
.LBB0_22:                               ;   Parent Loop BB0_3 Depth=1
                                        ; =>  This Inner Loop Header: Depth=2
	v_mov_b32_e32 v0, s19
	v_add_co_u32_e32 v18, vcc, s18, v6
	v_addc_co_u32_e32 v19, vcc, v7, v0, vcc
	global_load_ubyte v0, v[18:19], off
	s_add_u32 s18, s18, 1
	v_mov_b32_e32 v19, s20
	s_addc_u32 s19, s19, 0
	v_cmp_eq_u32_e32 vcc, s18, v2
	s_waitcnt vmcnt(0)
	v_and_b32_e32 v18, 0xffff, v0
	v_lshlrev_b64 v[18:19], s16, v[18:19]
	s_add_u32 s16, s16, 8
	s_addc_u32 s17, s17, 0
	v_or_b32_e32 v17, v19, v17
	s_or_b64 s[14:15], vcc, s[14:15]
	v_or_b32_e32 v16, v18, v16
	s_andn2_b64 exec, exec, s[14:15]
	s_cbranch_execnz .LBB0_22
; %bb.23:                               ;   in Loop: Header=BB0_3 Depth=1
	s_or_b64 exec, exec, s[14:15]
.LBB0_24:                               ;   in Loop: Header=BB0_3 Depth=1
	s_or_b64 exec, exec, s[12:13]
	v_mov_b32_e32 v21, v7
	v_mov_b32_e32 v20, v6
                                        ; implicit-def: $vgpr2
.LBB0_25:                               ;   in Loop: Header=BB0_3 Depth=1
	s_or_saveexec_b64 s[4:5], s[4:5]
	v_mov_b32_e32 v0, 0
	s_xor_b64 exec, exec, s[4:5]
	s_cbranch_execz .LBB0_27
; %bb.26:                               ;   in Loop: Header=BB0_3 Depth=1
	global_load_dwordx2 v[16:17], v[6:7], off
	v_add_u32_e32 v0, -8, v2
.LBB0_27:                               ;   in Loop: Header=BB0_3 Depth=1
	s_or_b64 exec, exec, s[4:5]
	v_add_co_u32_e64 v6, s[4:5], 8, v20
	v_cmp_gt_u32_e32 vcc, 8, v0
	v_addc_co_u32_e64 v7, s[4:5], 0, v21, s[4:5]
                                        ; implicit-def: $vgpr18_vgpr19
	s_and_saveexec_b64 s[4:5], vcc
	s_xor_b64 s[4:5], exec, s[4:5]
	s_cbranch_execz .LBB0_33
; %bb.28:                               ;   in Loop: Header=BB0_3 Depth=1
	v_mov_b32_e32 v18, 0
	v_mov_b32_e32 v19, 0
	v_cmp_ne_u32_e32 vcc, 0, v0
	s_and_saveexec_b64 s[12:13], vcc
	s_cbranch_execz .LBB0_32
; %bb.29:                               ;   in Loop: Header=BB0_3 Depth=1
	v_mov_b32_e32 v18, 0
	s_mov_b64 s[14:15], 0
	v_mov_b32_e32 v19, 0
	s_mov_b64 s[16:17], 0
	s_mov_b64 s[18:19], 0
.LBB0_30:                               ;   Parent Loop BB0_3 Depth=1
                                        ; =>  This Inner Loop Header: Depth=2
	v_mov_b32_e32 v2, s19
	v_add_co_u32_e32 v6, vcc, s18, v20
	v_addc_co_u32_e32 v7, vcc, v21, v2, vcc
	global_load_ubyte v2, v[6:7], off
	s_add_u32 s18, s18, 1
	v_mov_b32_e32 v7, s20
	s_addc_u32 s19, s19, 0
	v_cmp_eq_u32_e32 vcc, s18, v0
	s_waitcnt vmcnt(0)
	v_and_b32_e32 v6, 0xffff, v2
	v_lshlrev_b64 v[6:7], s16, v[6:7]
	s_add_u32 s16, s16, 8
	s_addc_u32 s17, s17, 0
	v_or_b32_e32 v19, v7, v19
	s_or_b64 s[14:15], vcc, s[14:15]
	v_or_b32_e32 v18, v6, v18
	s_andn2_b64 exec, exec, s[14:15]
	s_cbranch_execnz .LBB0_30
; %bb.31:                               ;   in Loop: Header=BB0_3 Depth=1
	s_or_b64 exec, exec, s[14:15]
.LBB0_32:                               ;   in Loop: Header=BB0_3 Depth=1
	s_or_b64 exec, exec, s[12:13]
	v_mov_b32_e32 v6, v20
	v_mov_b32_e32 v7, v21
                                        ; implicit-def: $vgpr0
.LBB0_33:                               ;   in Loop: Header=BB0_3 Depth=1
	s_or_saveexec_b64 s[4:5], s[4:5]
	v_mov_b32_e32 v2, 0
	s_xor_b64 exec, exec, s[4:5]
	s_cbranch_execz .LBB0_35
; %bb.34:                               ;   in Loop: Header=BB0_3 Depth=1
	global_load_dwordx2 v[18:19], v[20:21], off
	v_add_u32_e32 v2, -8, v0
.LBB0_35:                               ;   in Loop: Header=BB0_3 Depth=1
	s_or_b64 exec, exec, s[4:5]
	v_add_co_u32_e64 v24, s[4:5], 8, v6
	v_cmp_gt_u32_e32 vcc, 8, v2
	v_addc_co_u32_e64 v25, s[4:5], 0, v7, s[4:5]
	s_and_saveexec_b64 s[4:5], vcc
	s_xor_b64 s[4:5], exec, s[4:5]
	s_cbranch_execz .LBB0_41
; %bb.36:                               ;   in Loop: Header=BB0_3 Depth=1
	v_mov_b32_e32 v20, 0
	v_mov_b32_e32 v21, 0
	v_cmp_ne_u32_e32 vcc, 0, v2
	s_and_saveexec_b64 s[12:13], vcc
	s_cbranch_execz .LBB0_40
; %bb.37:                               ;   in Loop: Header=BB0_3 Depth=1
	v_mov_b32_e32 v20, 0
	s_mov_b64 s[14:15], 0
	v_mov_b32_e32 v21, 0
	s_mov_b64 s[16:17], 0
	s_mov_b64 s[18:19], 0
.LBB0_38:                               ;   Parent Loop BB0_3 Depth=1
                                        ; =>  This Inner Loop Header: Depth=2
	v_mov_b32_e32 v0, s19
	v_add_co_u32_e32 v22, vcc, s18, v6
	v_addc_co_u32_e32 v23, vcc, v7, v0, vcc
	global_load_ubyte v0, v[22:23], off
	s_add_u32 s18, s18, 1
	v_mov_b32_e32 v23, s20
	s_addc_u32 s19, s19, 0
	v_cmp_eq_u32_e32 vcc, s18, v2
	s_waitcnt vmcnt(0)
	v_and_b32_e32 v22, 0xffff, v0
	v_lshlrev_b64 v[22:23], s16, v[22:23]
	s_add_u32 s16, s16, 8
	s_addc_u32 s17, s17, 0
	v_or_b32_e32 v21, v23, v21
	s_or_b64 s[14:15], vcc, s[14:15]
	v_or_b32_e32 v20, v22, v20
	s_andn2_b64 exec, exec, s[14:15]
	s_cbranch_execnz .LBB0_38
; %bb.39:                               ;   in Loop: Header=BB0_3 Depth=1
	s_or_b64 exec, exec, s[14:15]
.LBB0_40:                               ;   in Loop: Header=BB0_3 Depth=1
	s_or_b64 exec, exec, s[12:13]
	v_mov_b32_e32 v25, v7
	v_mov_b32_e32 v24, v6
                                        ; implicit-def: $vgpr2
.LBB0_41:                               ;   in Loop: Header=BB0_3 Depth=1
	s_or_saveexec_b64 s[4:5], s[4:5]
	v_mov_b32_e32 v0, 0
	s_xor_b64 exec, exec, s[4:5]
	s_cbranch_execz .LBB0_43
; %bb.42:                               ;   in Loop: Header=BB0_3 Depth=1
	global_load_dwordx2 v[20:21], v[6:7], off
	v_add_u32_e32 v0, -8, v2
.LBB0_43:                               ;   in Loop: Header=BB0_3 Depth=1
	s_or_b64 exec, exec, s[4:5]
	v_add_co_u32_e64 v6, s[4:5], 8, v24
	v_cmp_gt_u32_e32 vcc, 8, v0
	v_addc_co_u32_e64 v7, s[4:5], 0, v25, s[4:5]
                                        ; implicit-def: $vgpr22_vgpr23
	s_and_saveexec_b64 s[4:5], vcc
	s_xor_b64 s[4:5], exec, s[4:5]
	s_cbranch_execz .LBB0_49
; %bb.44:                               ;   in Loop: Header=BB0_3 Depth=1
	v_mov_b32_e32 v22, 0
	v_mov_b32_e32 v23, 0
	v_cmp_ne_u32_e32 vcc, 0, v0
	s_and_saveexec_b64 s[12:13], vcc
	s_cbranch_execz .LBB0_48
; %bb.45:                               ;   in Loop: Header=BB0_3 Depth=1
	v_mov_b32_e32 v22, 0
	s_mov_b64 s[14:15], 0
	v_mov_b32_e32 v23, 0
	s_mov_b64 s[16:17], 0
	s_mov_b64 s[18:19], 0
.LBB0_46:                               ;   Parent Loop BB0_3 Depth=1
                                        ; =>  This Inner Loop Header: Depth=2
	v_mov_b32_e32 v2, s19
	v_add_co_u32_e32 v6, vcc, s18, v24
	v_addc_co_u32_e32 v7, vcc, v25, v2, vcc
	global_load_ubyte v2, v[6:7], off
	s_add_u32 s18, s18, 1
	v_mov_b32_e32 v7, s20
	s_addc_u32 s19, s19, 0
	v_cmp_eq_u32_e32 vcc, s18, v0
	s_waitcnt vmcnt(0)
	v_and_b32_e32 v6, 0xffff, v2
	v_lshlrev_b64 v[6:7], s16, v[6:7]
	s_add_u32 s16, s16, 8
	s_addc_u32 s17, s17, 0
	v_or_b32_e32 v23, v7, v23
	s_or_b64 s[14:15], vcc, s[14:15]
	v_or_b32_e32 v22, v6, v22
	s_andn2_b64 exec, exec, s[14:15]
	s_cbranch_execnz .LBB0_46
; %bb.47:                               ;   in Loop: Header=BB0_3 Depth=1
	s_or_b64 exec, exec, s[14:15]
.LBB0_48:                               ;   in Loop: Header=BB0_3 Depth=1
	s_or_b64 exec, exec, s[12:13]
	v_mov_b32_e32 v6, v24
	v_mov_b32_e32 v7, v25
                                        ; implicit-def: $vgpr0
.LBB0_49:                               ;   in Loop: Header=BB0_3 Depth=1
	s_or_saveexec_b64 s[4:5], s[4:5]
	v_mov_b32_e32 v2, 0
	s_xor_b64 exec, exec, s[4:5]
	s_cbranch_execz .LBB0_51
; %bb.50:                               ;   in Loop: Header=BB0_3 Depth=1
	global_load_dwordx2 v[22:23], v[24:25], off
	v_add_u32_e32 v2, -8, v0
.LBB0_51:                               ;   in Loop: Header=BB0_3 Depth=1
	s_or_b64 exec, exec, s[4:5]
	v_cmp_gt_u32_e32 vcc, 8, v2
	s_and_saveexec_b64 s[4:5], vcc
	s_xor_b64 s[4:5], exec, s[4:5]
	s_cbranch_execz .LBB0_57
; %bb.52:                               ;   in Loop: Header=BB0_3 Depth=1
	v_mov_b32_e32 v24, 0
	v_mov_b32_e32 v25, 0
	v_cmp_ne_u32_e32 vcc, 0, v2
	s_and_saveexec_b64 s[12:13], vcc
	s_cbranch_execz .LBB0_56
; %bb.53:                               ;   in Loop: Header=BB0_3 Depth=1
	v_mov_b32_e32 v24, 0
	s_mov_b64 s[14:15], 0
	v_mov_b32_e32 v25, 0
	s_mov_b64 s[16:17], 0
.LBB0_54:                               ;   Parent Loop BB0_3 Depth=1
                                        ; =>  This Inner Loop Header: Depth=2
	global_load_ubyte v0, v[6:7], off
	v_mov_b32_e32 v27, s20
	v_add_co_u32_e32 v6, vcc, 1, v6
	v_add_u32_e32 v2, -1, v2
	v_addc_co_u32_e32 v7, vcc, 0, v7, vcc
	v_cmp_eq_u32_e32 vcc, 0, v2
	s_waitcnt vmcnt(0)
	v_and_b32_e32 v26, 0xffff, v0
	v_lshlrev_b64 v[26:27], s16, v[26:27]
	s_add_u32 s16, s16, 8
	s_addc_u32 s17, s17, 0
	v_or_b32_e32 v25, v27, v25
	s_or_b64 s[14:15], vcc, s[14:15]
	v_or_b32_e32 v24, v26, v24
	s_andn2_b64 exec, exec, s[14:15]
	s_cbranch_execnz .LBB0_54
; %bb.55:                               ;   in Loop: Header=BB0_3 Depth=1
	s_or_b64 exec, exec, s[14:15]
.LBB0_56:                               ;   in Loop: Header=BB0_3 Depth=1
	s_or_b64 exec, exec, s[12:13]
                                        ; implicit-def: $vgpr6_vgpr7
.LBB0_57:                               ;   in Loop: Header=BB0_3 Depth=1
	s_andn2_saveexec_b64 s[4:5], s[4:5]
	s_cbranch_execz .LBB0_59
; %bb.58:                               ;   in Loop: Header=BB0_3 Depth=1
	global_load_dwordx2 v[24:25], v[6:7], off
.LBB0_59:                               ;   in Loop: Header=BB0_3 Depth=1
	s_or_b64 exec, exec, s[4:5]
	v_readfirstlane_b32 s4, v39
	v_mov_b32_e32 v6, 0
	v_mov_b32_e32 v7, 0
	v_cmp_eq_u32_e64 s[4:5], s4, v39
	s_and_saveexec_b64 s[12:13], s[4:5]
	s_cbranch_execz .LBB0_65
; %bb.60:                               ;   in Loop: Header=BB0_3 Depth=1
	s_waitcnt lgkmcnt(0)
	global_load_dwordx2 v[28:29], v3, s[10:11] offset:24 glc
	s_waitcnt vmcnt(0)
	buffer_wbinvl1_vol
	global_load_dwordx2 v[6:7], v3, s[10:11] offset:40
	global_load_dwordx2 v[26:27], v3, s[10:11]
	s_waitcnt vmcnt(1)
	v_and_b32_e32 v0, v6, v28
	v_and_b32_e32 v2, v7, v29
	v_mul_lo_u32 v2, v2, 24
	v_mul_hi_u32 v6, v0, 24
	v_mul_lo_u32 v0, v0, 24
	v_add_u32_e32 v2, v6, v2
	s_waitcnt vmcnt(0)
	v_add_co_u32_e32 v6, vcc, v26, v0
	v_addc_co_u32_e32 v7, vcc, v27, v2, vcc
	global_load_dwordx2 v[26:27], v[6:7], off glc
	s_waitcnt vmcnt(0)
	global_atomic_cmpswap_x2 v[6:7], v3, v[26:29], s[10:11] offset:24 glc
	s_waitcnt vmcnt(0)
	buffer_wbinvl1_vol
	v_cmp_ne_u64_e32 vcc, v[6:7], v[28:29]
	s_and_saveexec_b64 s[14:15], vcc
	s_cbranch_execz .LBB0_64
; %bb.61:                               ;   in Loop: Header=BB0_3 Depth=1
	s_mov_b64 s[16:17], 0
.LBB0_62:                               ;   Parent Loop BB0_3 Depth=1
                                        ; =>  This Inner Loop Header: Depth=2
	s_sleep 1
	global_load_dwordx2 v[26:27], v3, s[10:11] offset:40
	global_load_dwordx2 v[34:35], v3, s[10:11]
	v_mov_b32_e32 v29, v7
	v_mov_b32_e32 v28, v6
	s_waitcnt vmcnt(1)
	v_and_b32_e32 v0, v26, v28
	s_waitcnt vmcnt(0)
	v_mad_u64_u32 v[6:7], s[18:19], v0, 24, v[34:35]
	v_and_b32_e32 v2, v27, v29
	v_mov_b32_e32 v0, v7
	v_mad_u64_u32 v[26:27], s[18:19], v2, 24, v[0:1]
	v_mov_b32_e32 v7, v26
	global_load_dwordx2 v[26:27], v[6:7], off glc
	s_waitcnt vmcnt(0)
	global_atomic_cmpswap_x2 v[6:7], v3, v[26:29], s[10:11] offset:24 glc
	s_waitcnt vmcnt(0)
	buffer_wbinvl1_vol
	v_cmp_eq_u64_e32 vcc, v[6:7], v[28:29]
	s_or_b64 s[16:17], vcc, s[16:17]
	s_andn2_b64 exec, exec, s[16:17]
	s_cbranch_execnz .LBB0_62
; %bb.63:                               ;   in Loop: Header=BB0_3 Depth=1
	s_or_b64 exec, exec, s[16:17]
.LBB0_64:                               ;   in Loop: Header=BB0_3 Depth=1
	s_or_b64 exec, exec, s[14:15]
.LBB0_65:                               ;   in Loop: Header=BB0_3 Depth=1
	s_or_b64 exec, exec, s[12:13]
	s_waitcnt lgkmcnt(0)
	global_load_dwordx2 v[34:35], v3, s[10:11] offset:40
	global_load_dwordx4 v[26:29], v3, s[10:11]
	v_readfirstlane_b32 s13, v7
	v_readfirstlane_b32 s12, v6
	s_mov_b64 s[14:15], exec
	s_waitcnt vmcnt(1)
	v_readfirstlane_b32 s16, v34
	v_readfirstlane_b32 s17, v35
	s_and_b64 s[16:17], s[16:17], s[12:13]
	s_mul_i32 s18, s17, 24
	s_mul_hi_u32 s19, s16, 24
	s_mul_i32 s22, s16, 24
	s_add_i32 s18, s19, s18
	v_mov_b32_e32 v0, s18
	s_waitcnt vmcnt(0)
	v_add_co_u32_e32 v34, vcc, s22, v26
	v_addc_co_u32_e32 v35, vcc, v27, v0, vcc
	s_and_saveexec_b64 s[18:19], s[4:5]
	s_cbranch_execz .LBB0_67
; %bb.66:                               ;   in Loop: Header=BB0_3 Depth=1
	v_mov_b32_e32 v6, s14
	v_mov_b32_e32 v7, s15
	global_store_dwordx4 v[34:35], v[6:9], off offset:8
.LBB0_67:                               ;   in Loop: Header=BB0_3 Depth=1
	s_or_b64 exec, exec, s[18:19]
	s_lshl_b64 s[14:15], s[16:17], 12
	v_mov_b32_e32 v2, s15
	v_add_co_u32_e32 v0, vcc, s14, v28
	v_addc_co_u32_e32 v28, vcc, v29, v2, vcc
	v_cmp_gt_u64_e32 vcc, 57, v[4:5]
	v_and_b32_e32 v7, 0xffffff1f, v10
	v_cndmask_b32_e32 v2, 0, v38, vcc
	v_lshl_add_u32 v6, v32, 2, 28
	v_or_b32_e32 v2, v7, v2
	v_and_or_b32 v10, v6, s21, v2
	v_lshlrev_b32_e32 v29, 6, v39
	v_readfirstlane_b32 s14, v0
	v_readfirstlane_b32 s15, v28
	s_nop 4
	global_store_dwordx4 v29, v[10:13], s[14:15]
	global_store_dwordx4 v29, v[14:17], s[14:15] offset:16
	global_store_dwordx4 v29, v[18:21], s[14:15] offset:32
	;; [unrolled: 1-line block ×3, first 2 shown]
	s_and_saveexec_b64 s[14:15], s[4:5]
	s_cbranch_execz .LBB0_75
; %bb.68:                               ;   in Loop: Header=BB0_3 Depth=1
	global_load_dwordx2 v[14:15], v3, s[10:11] offset:32 glc
	global_load_dwordx2 v[6:7], v3, s[10:11] offset:40
	v_mov_b32_e32 v12, s12
	v_mov_b32_e32 v13, s13
	s_waitcnt vmcnt(0)
	v_readfirstlane_b32 s16, v6
	v_readfirstlane_b32 s17, v7
	s_and_b64 s[16:17], s[16:17], s[12:13]
	s_mul_i32 s17, s17, 24
	s_mul_hi_u32 s18, s16, 24
	s_mul_i32 s16, s16, 24
	s_add_i32 s17, s18, s17
	v_mov_b32_e32 v2, s17
	v_add_co_u32_e32 v6, vcc, s16, v26
	v_addc_co_u32_e32 v7, vcc, v27, v2, vcc
	global_store_dwordx2 v[6:7], v[14:15], off
	s_waitcnt vmcnt(0)
	global_atomic_cmpswap_x2 v[12:13], v3, v[12:15], s[10:11] offset:32 glc
	s_waitcnt vmcnt(0)
	v_cmp_ne_u64_e32 vcc, v[12:13], v[14:15]
	s_and_saveexec_b64 s[16:17], vcc
	s_cbranch_execz .LBB0_71
; %bb.69:                               ;   in Loop: Header=BB0_3 Depth=1
	s_mov_b64 s[18:19], 0
.LBB0_70:                               ;   Parent Loop BB0_3 Depth=1
                                        ; =>  This Inner Loop Header: Depth=2
	s_sleep 1
	global_store_dwordx2 v[6:7], v[12:13], off
	v_mov_b32_e32 v10, s12
	v_mov_b32_e32 v11, s13
	s_waitcnt vmcnt(0)
	global_atomic_cmpswap_x2 v[10:11], v3, v[10:13], s[10:11] offset:32 glc
	s_waitcnt vmcnt(0)
	v_cmp_eq_u64_e32 vcc, v[10:11], v[12:13]
	v_mov_b32_e32 v13, v11
	s_or_b64 s[18:19], vcc, s[18:19]
	v_mov_b32_e32 v12, v10
	s_andn2_b64 exec, exec, s[18:19]
	s_cbranch_execnz .LBB0_70
.LBB0_71:                               ;   in Loop: Header=BB0_3 Depth=1
	s_or_b64 exec, exec, s[16:17]
	global_load_dwordx2 v[6:7], v3, s[10:11] offset:16
	s_mov_b64 s[18:19], exec
	v_mbcnt_lo_u32_b32 v2, s18, 0
	v_mbcnt_hi_u32_b32 v2, s19, v2
	v_cmp_eq_u32_e32 vcc, 0, v2
	s_and_saveexec_b64 s[16:17], vcc
	s_cbranch_execz .LBB0_73
; %bb.72:                               ;   in Loop: Header=BB0_3 Depth=1
	s_bcnt1_i32_b64 s18, s[18:19]
	v_mov_b32_e32 v2, s18
	s_waitcnt vmcnt(0)
	global_atomic_add_x2 v[6:7], v[2:3], off offset:8
.LBB0_73:                               ;   in Loop: Header=BB0_3 Depth=1
	s_or_b64 exec, exec, s[16:17]
	s_waitcnt vmcnt(0)
	global_load_dwordx2 v[10:11], v[6:7], off offset:16
	s_waitcnt vmcnt(0)
	v_cmp_eq_u64_e32 vcc, 0, v[10:11]
	s_cbranch_vccnz .LBB0_75
; %bb.74:                               ;   in Loop: Header=BB0_3 Depth=1
	global_load_dword v2, v[6:7], off offset:24
	s_waitcnt vmcnt(0)
	v_readfirstlane_b32 s16, v2
	s_and_b32 m0, s16, 0xffffff
	global_store_dwordx2 v[10:11], v[2:3], off
	s_sendmsg sendmsg(MSG_INTERRUPT)
.LBB0_75:                               ;   in Loop: Header=BB0_3 Depth=1
	s_or_b64 exec, exec, s[14:15]
	v_add_co_u32_e32 v6, vcc, v0, v29
	v_addc_co_u32_e32 v7, vcc, 0, v28, vcc
	s_branch .LBB0_79
.LBB0_76:                               ;   in Loop: Header=BB0_79 Depth=2
	s_or_b64 exec, exec, s[14:15]
	v_readfirstlane_b32 s14, v0
	s_cmp_eq_u32 s14, 0
	s_cbranch_scc1 .LBB0_78
; %bb.77:                               ;   in Loop: Header=BB0_79 Depth=2
	s_sleep 1
	s_cbranch_execnz .LBB0_79
	s_branch .LBB0_81
.LBB0_78:                               ;   in Loop: Header=BB0_3 Depth=1
	s_branch .LBB0_81
.LBB0_79:                               ;   Parent Loop BB0_3 Depth=1
                                        ; =>  This Inner Loop Header: Depth=2
	v_mov_b32_e32 v0, 1
	s_and_saveexec_b64 s[14:15], s[4:5]
	s_cbranch_execz .LBB0_76
; %bb.80:                               ;   in Loop: Header=BB0_79 Depth=2
	global_load_dword v0, v[34:35], off offset:20 glc
	s_waitcnt vmcnt(0)
	buffer_wbinvl1_vol
	v_and_b32_e32 v0, 1, v0
	s_branch .LBB0_76
.LBB0_81:                               ;   in Loop: Header=BB0_3 Depth=1
	global_load_dwordx4 v[10:13], v[6:7], off
	s_and_saveexec_b64 s[14:15], s[4:5]
	s_cbranch_execz .LBB0_2
; %bb.82:                               ;   in Loop: Header=BB0_3 Depth=1
	global_load_dwordx2 v[6:7], v3, s[10:11] offset:40
	global_load_dwordx2 v[16:17], v3, s[10:11] offset:24 glc
	global_load_dwordx2 v[12:13], v3, s[10:11]
	s_waitcnt vmcnt(2)
	v_readfirstlane_b32 s16, v6
	v_readfirstlane_b32 s17, v7
	s_add_u32 s18, s16, 1
	s_addc_u32 s19, s17, 0
	s_add_u32 s4, s18, s12
	s_addc_u32 s5, s19, s13
	s_cmp_eq_u64 s[4:5], 0
	s_cselect_b32 s5, s19, s5
	s_cselect_b32 s4, s18, s4
	s_and_b64 s[12:13], s[4:5], s[16:17]
	s_mul_i32 s13, s13, 24
	s_mul_hi_u32 s16, s12, 24
	s_mul_i32 s12, s12, 24
	s_add_i32 s13, s16, s13
	v_mov_b32_e32 v0, s13
	s_waitcnt vmcnt(0)
	v_add_co_u32_e32 v6, vcc, s12, v12
	v_addc_co_u32_e32 v7, vcc, v13, v0, vcc
	v_mov_b32_e32 v14, s4
	global_store_dwordx2 v[6:7], v[16:17], off
	v_mov_b32_e32 v15, s5
	s_waitcnt vmcnt(0)
	global_atomic_cmpswap_x2 v[14:15], v3, v[14:17], s[10:11] offset:24 glc
	s_waitcnt vmcnt(0)
	v_cmp_ne_u64_e32 vcc, v[14:15], v[16:17]
	s_and_b64 exec, exec, vcc
	s_cbranch_execz .LBB0_2
; %bb.83:                               ;   in Loop: Header=BB0_3 Depth=1
	s_mov_b64 s[12:13], 0
.LBB0_84:                               ;   Parent Loop BB0_3 Depth=1
                                        ; =>  This Inner Loop Header: Depth=2
	s_sleep 1
	global_store_dwordx2 v[6:7], v[14:15], off
	v_mov_b32_e32 v12, s4
	v_mov_b32_e32 v13, s5
	s_waitcnt vmcnt(0)
	global_atomic_cmpswap_x2 v[12:13], v3, v[12:15], s[10:11] offset:24 glc
	s_waitcnt vmcnt(0)
	v_cmp_eq_u64_e32 vcc, v[12:13], v[14:15]
	v_mov_b32_e32 v15, v13
	s_or_b64 s[12:13], vcc, s[12:13]
	v_mov_b32_e32 v14, v12
	s_andn2_b64 exec, exec, s[12:13]
	s_cbranch_execnz .LBB0_84
	s_branch .LBB0_2
.LBB0_85:
	s_or_b64 exec, exec, s[6:7]
	s_branch .LBB0_113
.LBB0_86:
	s_load_dwordx2 s[6:7], s[8:9], 0x50
	v_mbcnt_hi_u32_b32 v3, -1, v37
	v_readfirstlane_b32 s4, v3
	v_mov_b32_e32 v8, 0
	v_mov_b32_e32 v9, 0
	v_cmp_eq_u32_e64 s[4:5], s4, v3
	s_and_saveexec_b64 s[8:9], s[4:5]
	s_cbranch_execz .LBB0_92
; %bb.87:
	v_mov_b32_e32 v0, 0
	s_waitcnt lgkmcnt(0)
	global_load_dwordx2 v[6:7], v0, s[6:7] offset:24 glc
	s_waitcnt vmcnt(0)
	buffer_wbinvl1_vol
	global_load_dwordx2 v[4:5], v0, s[6:7] offset:40
	global_load_dwordx2 v[8:9], v0, s[6:7]
	s_waitcnt vmcnt(1)
	v_and_b32_e32 v2, v4, v6
	v_and_b32_e32 v4, v5, v7
	v_mul_lo_u32 v4, v4, 24
	v_mul_hi_u32 v5, v2, 24
	v_mul_lo_u32 v2, v2, 24
	v_add_u32_e32 v5, v5, v4
	s_waitcnt vmcnt(0)
	v_add_co_u32_e32 v4, vcc, v8, v2
	v_addc_co_u32_e32 v5, vcc, v9, v5, vcc
	global_load_dwordx2 v[4:5], v[4:5], off glc
	s_waitcnt vmcnt(0)
	global_atomic_cmpswap_x2 v[8:9], v0, v[4:7], s[6:7] offset:24 glc
	s_waitcnt vmcnt(0)
	buffer_wbinvl1_vol
	v_cmp_ne_u64_e32 vcc, v[8:9], v[6:7]
	s_and_saveexec_b64 s[10:11], vcc
	s_cbranch_execz .LBB0_91
; %bb.88:
	s_mov_b64 s[12:13], 0
.LBB0_89:                               ; =>This Inner Loop Header: Depth=1
	s_sleep 1
	global_load_dwordx2 v[4:5], v0, s[6:7] offset:40
	global_load_dwordx2 v[10:11], v0, s[6:7]
	v_mov_b32_e32 v6, v8
	v_mov_b32_e32 v7, v9
	s_waitcnt vmcnt(1)
	v_and_b32_e32 v2, v4, v6
	s_waitcnt vmcnt(0)
	v_mad_u64_u32 v[8:9], s[14:15], v2, 24, v[10:11]
	v_and_b32_e32 v4, v5, v7
	v_mov_b32_e32 v2, v9
	v_mad_u64_u32 v[4:5], s[14:15], v4, 24, v[2:3]
	v_mov_b32_e32 v9, v4
	global_load_dwordx2 v[4:5], v[8:9], off glc
	s_waitcnt vmcnt(0)
	global_atomic_cmpswap_x2 v[8:9], v0, v[4:7], s[6:7] offset:24 glc
	s_waitcnt vmcnt(0)
	buffer_wbinvl1_vol
	v_cmp_eq_u64_e32 vcc, v[8:9], v[6:7]
	s_or_b64 s[12:13], vcc, s[12:13]
	s_andn2_b64 exec, exec, s[12:13]
	s_cbranch_execnz .LBB0_89
; %bb.90:
	s_or_b64 exec, exec, s[12:13]
.LBB0_91:
	s_or_b64 exec, exec, s[10:11]
.LBB0_92:
	s_or_b64 exec, exec, s[8:9]
	v_mov_b32_e32 v2, 0
	s_waitcnt lgkmcnt(0)
	global_load_dwordx2 v[10:11], v2, s[6:7] offset:40
	global_load_dwordx4 v[4:7], v2, s[6:7]
	v_readfirstlane_b32 s9, v9
	v_readfirstlane_b32 s8, v8
	s_mov_b64 s[10:11], exec
	s_waitcnt vmcnt(1)
	v_readfirstlane_b32 s12, v10
	v_readfirstlane_b32 s13, v11
	s_and_b64 s[12:13], s[12:13], s[8:9]
	s_mul_i32 s14, s13, 24
	s_mul_hi_u32 s15, s12, 24
	s_mul_i32 s16, s12, 24
	s_add_i32 s14, s15, s14
	v_mov_b32_e32 v0, s14
	s_waitcnt vmcnt(0)
	v_add_co_u32_e32 v8, vcc, s16, v4
	v_addc_co_u32_e32 v9, vcc, v5, v0, vcc
	s_and_saveexec_b64 s[14:15], s[4:5]
	s_cbranch_execz .LBB0_94
; %bb.93:
	v_mov_b32_e32 v10, s10
	v_mov_b32_e32 v11, s11
	;; [unrolled: 1-line block ×4, first 2 shown]
	global_store_dwordx4 v[8:9], v[10:13], off offset:8
.LBB0_94:
	s_or_b64 exec, exec, s[14:15]
	s_lshl_b64 s[10:11], s[12:13], 12
	v_mov_b32_e32 v0, s11
	v_add_co_u32_e32 v6, vcc, s10, v6
	v_addc_co_u32_e32 v7, vcc, v7, v0, vcc
	s_movk_i32 s10, 0xff1f
	v_and_or_b32 v0, v36, s10, 32
	v_lshlrev_b32_e32 v10, 6, v3
	s_mov_b32 s12, 0
	v_mov_b32_e32 v3, v2
	v_readfirstlane_b32 s10, v6
	v_readfirstlane_b32 s11, v7
	s_mov_b32 s13, s12
	s_mov_b32 s14, s12
	;; [unrolled: 1-line block ×3, first 2 shown]
	s_nop 1
	global_store_dwordx4 v10, v[0:3], s[10:11]
	s_nop 0
	v_mov_b32_e32 v0, s12
	v_mov_b32_e32 v1, s13
	;; [unrolled: 1-line block ×4, first 2 shown]
	global_store_dwordx4 v10, v[0:3], s[10:11] offset:16
	global_store_dwordx4 v10, v[0:3], s[10:11] offset:32
	;; [unrolled: 1-line block ×3, first 2 shown]
	s_and_saveexec_b64 s[10:11], s[4:5]
	s_cbranch_execz .LBB0_102
; %bb.95:
	v_mov_b32_e32 v6, 0
	global_load_dwordx2 v[12:13], v6, s[6:7] offset:32 glc
	global_load_dwordx2 v[0:1], v6, s[6:7] offset:40
	v_mov_b32_e32 v10, s8
	v_mov_b32_e32 v11, s9
	s_waitcnt vmcnt(0)
	v_and_b32_e32 v0, s8, v0
	v_and_b32_e32 v1, s9, v1
	v_mul_lo_u32 v1, v1, 24
	v_mul_hi_u32 v2, v0, 24
	v_mul_lo_u32 v0, v0, 24
	v_add_u32_e32 v1, v2, v1
	v_add_co_u32_e32 v4, vcc, v4, v0
	v_addc_co_u32_e32 v5, vcc, v5, v1, vcc
	global_store_dwordx2 v[4:5], v[12:13], off
	s_waitcnt vmcnt(0)
	global_atomic_cmpswap_x2 v[2:3], v6, v[10:13], s[6:7] offset:32 glc
	s_waitcnt vmcnt(0)
	v_cmp_ne_u64_e32 vcc, v[2:3], v[12:13]
	s_and_saveexec_b64 s[12:13], vcc
	s_cbranch_execz .LBB0_98
; %bb.96:
	s_mov_b64 s[14:15], 0
.LBB0_97:                               ; =>This Inner Loop Header: Depth=1
	s_sleep 1
	global_store_dwordx2 v[4:5], v[2:3], off
	v_mov_b32_e32 v0, s8
	v_mov_b32_e32 v1, s9
	s_waitcnt vmcnt(0)
	global_atomic_cmpswap_x2 v[0:1], v6, v[0:3], s[6:7] offset:32 glc
	s_waitcnt vmcnt(0)
	v_cmp_eq_u64_e32 vcc, v[0:1], v[2:3]
	v_mov_b32_e32 v3, v1
	s_or_b64 s[14:15], vcc, s[14:15]
	v_mov_b32_e32 v2, v0
	s_andn2_b64 exec, exec, s[14:15]
	s_cbranch_execnz .LBB0_97
.LBB0_98:
	s_or_b64 exec, exec, s[12:13]
	v_mov_b32_e32 v3, 0
	global_load_dwordx2 v[0:1], v3, s[6:7] offset:16
	s_mov_b64 s[12:13], exec
	v_mbcnt_lo_u32_b32 v2, s12, 0
	v_mbcnt_hi_u32_b32 v2, s13, v2
	v_cmp_eq_u32_e32 vcc, 0, v2
	s_and_saveexec_b64 s[14:15], vcc
	s_cbranch_execz .LBB0_100
; %bb.99:
	s_bcnt1_i32_b64 s12, s[12:13]
	v_mov_b32_e32 v2, s12
	s_waitcnt vmcnt(0)
	global_atomic_add_x2 v[0:1], v[2:3], off offset:8
.LBB0_100:
	s_or_b64 exec, exec, s[14:15]
	s_waitcnt vmcnt(0)
	global_load_dwordx2 v[2:3], v[0:1], off offset:16
	s_waitcnt vmcnt(0)
	v_cmp_eq_u64_e32 vcc, 0, v[2:3]
	s_cbranch_vccnz .LBB0_102
; %bb.101:
	global_load_dword v0, v[0:1], off offset:24
	v_mov_b32_e32 v1, 0
	s_waitcnt vmcnt(0)
	v_readfirstlane_b32 s12, v0
	s_and_b32 m0, s12, 0xffffff
	global_store_dwordx2 v[2:3], v[0:1], off
	s_sendmsg sendmsg(MSG_INTERRUPT)
.LBB0_102:
	s_or_b64 exec, exec, s[10:11]
	s_branch .LBB0_106
.LBB0_103:                              ;   in Loop: Header=BB0_106 Depth=1
	s_or_b64 exec, exec, s[10:11]
	v_readfirstlane_b32 s10, v0
	s_cmp_eq_u32 s10, 0
	s_cbranch_scc1 .LBB0_105
; %bb.104:                              ;   in Loop: Header=BB0_106 Depth=1
	s_sleep 1
	s_cbranch_execnz .LBB0_106
	s_branch .LBB0_108
.LBB0_105:
	s_branch .LBB0_108
.LBB0_106:                              ; =>This Inner Loop Header: Depth=1
	v_mov_b32_e32 v0, 1
	s_and_saveexec_b64 s[10:11], s[4:5]
	s_cbranch_execz .LBB0_103
; %bb.107:                              ;   in Loop: Header=BB0_106 Depth=1
	global_load_dword v0, v[8:9], off offset:20 glc
	s_waitcnt vmcnt(0)
	buffer_wbinvl1_vol
	v_and_b32_e32 v0, 1, v0
	s_branch .LBB0_103
.LBB0_108:
	s_and_saveexec_b64 s[10:11], s[4:5]
	s_cbranch_execz .LBB0_111
; %bb.109:
	v_mov_b32_e32 v6, 0
	global_load_dwordx2 v[0:1], v6, s[6:7] offset:40
	global_load_dwordx2 v[9:10], v6, s[6:7] offset:24 glc
	global_load_dwordx2 v[2:3], v6, s[6:7]
	s_waitcnt vmcnt(2)
	v_readfirstlane_b32 s12, v0
	v_readfirstlane_b32 s13, v1
	s_add_u32 s14, s12, 1
	s_addc_u32 s15, s13, 0
	s_add_u32 s4, s14, s8
	s_addc_u32 s5, s15, s9
	s_cmp_eq_u64 s[4:5], 0
	s_cselect_b32 s5, s15, s5
	s_cselect_b32 s4, s14, s4
	s_and_b64 s[8:9], s[4:5], s[12:13]
	s_mul_i32 s9, s9, 24
	s_mul_hi_u32 s12, s8, 24
	s_mul_i32 s8, s8, 24
	s_add_i32 s9, s12, s9
	v_mov_b32_e32 v0, s9
	s_waitcnt vmcnt(0)
	v_add_co_u32_e32 v4, vcc, s8, v2
	v_addc_co_u32_e32 v5, vcc, v3, v0, vcc
	v_mov_b32_e32 v7, s4
	global_store_dwordx2 v[4:5], v[9:10], off
	v_mov_b32_e32 v8, s5
	s_waitcnt vmcnt(0)
	global_atomic_cmpswap_x2 v[2:3], v6, v[7:10], s[6:7] offset:24 glc
	s_mov_b64 s[8:9], 0
	s_waitcnt vmcnt(0)
	v_cmp_ne_u64_e32 vcc, v[2:3], v[9:10]
	s_and_b64 exec, exec, vcc
	s_cbranch_execz .LBB0_111
.LBB0_110:                              ; =>This Inner Loop Header: Depth=1
	s_sleep 1
	global_store_dwordx2 v[4:5], v[2:3], off
	v_mov_b32_e32 v0, s4
	v_mov_b32_e32 v1, s5
	s_waitcnt vmcnt(0)
	global_atomic_cmpswap_x2 v[0:1], v6, v[0:3], s[6:7] offset:24 glc
	s_waitcnt vmcnt(0)
	v_cmp_eq_u64_e32 vcc, v[0:1], v[2:3]
	v_mov_b32_e32 v3, v1
	s_or_b64 s[8:9], vcc, s[8:9]
	v_mov_b32_e32 v2, v0
	s_andn2_b64 exec, exec, s[8:9]
	s_cbranch_execnz .LBB0_110
.LBB0_111:
	s_or_b64 exec, exec, s[10:11]
	s_waitcnt vmcnt(0) lgkmcnt(0)
	s_setpc_b64 s[30:31]
.LBB0_112:
	s_cbranch_execnz .LBB0_86
.LBB0_113:
	s_waitcnt vmcnt(0) lgkmcnt(0)
	s_setpc_b64 s[30:31]
.Lfunc_end0:
	.size	__ockl_fprintf_append_string_n, .Lfunc_end0-__ockl_fprintf_append_string_n
                                        ; -- End function
	.set .L__ockl_fprintf_append_string_n.num_vgpr, 40
	.set .L__ockl_fprintf_append_string_n.num_agpr, 0
	.set .L__ockl_fprintf_append_string_n.numbered_sgpr, 32
	.set .L__ockl_fprintf_append_string_n.num_named_barrier, 0
	.set .L__ockl_fprintf_append_string_n.private_seg_size, 0
	.set .L__ockl_fprintf_append_string_n.uses_vcc, 1
	.set .L__ockl_fprintf_append_string_n.uses_flat_scratch, 0
	.set .L__ockl_fprintf_append_string_n.has_dyn_sized_stack, 0
	.set .L__ockl_fprintf_append_string_n.has_recursion, 0
	.set .L__ockl_fprintf_append_string_n.has_indirect_call, 0
	.section	.AMDGPU.csdata,"",@progbits
; Function info:
; codeLenInByte = 3900
; TotalNumSgprs: 36
; NumVgprs: 40
; ScratchSize: 0
; MemoryBound: 0
	.text
	.p2align	2                               ; -- Begin function __assert_fail
	.type	__assert_fail,@function
__assert_fail:                          ; @__assert_fail
; %bb.0:
	s_waitcnt vmcnt(0) expcnt(0) lgkmcnt(0)
	s_mov_b32 s25, s33
	s_mov_b32 s33, s32
	s_or_saveexec_b64 s[4:5], -1
	buffer_store_dword v40, off, s[0:3], s33 offset:48 ; 4-byte Folded Spill
	s_mov_b64 exec, s[4:5]
	v_writelane_b32 v40, s30, 0
	s_addk_i32 s32, 0x1000
	v_writelane_b32 v40, s31, 1
	v_mov_b32_e32 v8, 0
	s_getpc_b64 s[4:5]
	s_add_u32 s4, s4, __const.__assert_fail.fmt@rel32@lo+35
	s_addc_u32 s5, s5, __const.__assert_fail.fmt@rel32@hi+43
	v_mov_b32_e32 v5, v1
	v_mov_b32_e32 v4, v0
	global_load_dwordx4 v[0:3], v8, s[4:5]
	s_getpc_b64 s[16:17]
	s_add_u32 s16, s16, __const.__assert_fail.fmt@rel32@lo+4
	s_addc_u32 s17, s17, __const.__assert_fail.fmt@rel32@hi+12
	s_getpc_b64 s[18:19]
	s_add_u32 s18, s18, __const.__assert_fail.fmt@rel32@lo+20
	s_addc_u32 s19, s19, __const.__assert_fail.fmt@rel32@hi+28
	v_mbcnt_lo_u32_b32 v9, -1, 0
	s_load_dwordx4 s[4:7], s[16:17], 0x0
	s_load_dwordx4 s[12:15], s[18:19], 0x0
	s_load_dwordx2 s[10:11], s[8:9], 0x50
	v_mbcnt_hi_u32_b32 v34, -1, v9
	v_mov_b32_e32 v6, 0
	v_readfirstlane_b32 s16, v34
	v_mov_b32_e32 v7, 0
	s_waitcnt lgkmcnt(0)
	v_mov_b32_e32 v9, s7
	v_mov_b32_e32 v11, s5
	;; [unrolled: 1-line block ×3, first 2 shown]
	v_cmp_eq_u32_e64 s[4:5], s16, v34
	v_mov_b32_e32 v10, s6
	v_mov_b32_e32 v13, s15
	;; [unrolled: 1-line block ×5, first 2 shown]
	buffer_store_dword v9, off, s[0:3], s33 offset:12
	buffer_store_dword v10, off, s[0:3], s33 offset:8
	buffer_store_dword v11, off, s[0:3], s33 offset:4
	buffer_store_dword v12, off, s[0:3], s33
	buffer_store_dword v13, off, s[0:3], s33 offset:28
	buffer_store_dword v14, off, s[0:3], s33 offset:24
	;; [unrolled: 1-line block ×4, first 2 shown]
	s_waitcnt vmcnt(8)
	buffer_store_dword v3, off, s[0:3], s33 offset:43
	buffer_store_dword v2, off, s[0:3], s33 offset:39
	;; [unrolled: 1-line block ×4, first 2 shown]
	s_and_saveexec_b64 s[6:7], s[4:5]
	s_cbranch_execz .LBB1_6
; %bb.1:
	global_load_dwordx2 v[2:3], v8, s[10:11] offset:24 glc
	s_waitcnt vmcnt(0)
	buffer_wbinvl1_vol
	global_load_dwordx2 v[0:1], v8, s[10:11] offset:40
	global_load_dwordx2 v[6:7], v8, s[10:11]
	s_waitcnt vmcnt(1)
	v_and_b32_e32 v0, v0, v2
	v_and_b32_e32 v1, v1, v3
	v_mul_lo_u32 v1, v1, 24
	v_mul_hi_u32 v9, v0, 24
	v_mul_lo_u32 v0, v0, 24
	v_add_u32_e32 v1, v9, v1
	s_waitcnt vmcnt(0)
	v_add_co_u32_e32 v0, vcc, v6, v0
	v_addc_co_u32_e32 v1, vcc, v7, v1, vcc
	global_load_dwordx2 v[0:1], v[0:1], off glc
	s_waitcnt vmcnt(0)
	global_atomic_cmpswap_x2 v[6:7], v8, v[0:3], s[10:11] offset:24 glc
	s_waitcnt vmcnt(0)
	buffer_wbinvl1_vol
	v_cmp_ne_u64_e32 vcc, v[6:7], v[2:3]
	s_and_saveexec_b64 s[12:13], vcc
	s_cbranch_execz .LBB1_5
; %bb.2:
	s_mov_b64 s[14:15], 0
	v_mov_b32_e32 v0, 0
.LBB1_3:                                ; =>This Inner Loop Header: Depth=1
	s_sleep 1
	global_load_dwordx2 v[1:2], v0, s[10:11] offset:40
	global_load_dwordx2 v[9:10], v0, s[10:11]
	v_mov_b32_e32 v12, v7
	v_mov_b32_e32 v11, v6
	s_waitcnt vmcnt(1)
	v_and_b32_e32 v1, v1, v11
	s_waitcnt vmcnt(0)
	v_mad_u64_u32 v[6:7], s[16:17], v1, 24, v[9:10]
	v_and_b32_e32 v2, v2, v12
	v_mov_b32_e32 v1, v7
	v_mad_u64_u32 v[1:2], s[16:17], v2, 24, v[1:2]
	v_mov_b32_e32 v7, v1
	global_load_dwordx2 v[9:10], v[6:7], off glc
	s_waitcnt vmcnt(0)
	global_atomic_cmpswap_x2 v[6:7], v0, v[9:12], s[10:11] offset:24 glc
	s_waitcnt vmcnt(0)
	buffer_wbinvl1_vol
	v_cmp_eq_u64_e32 vcc, v[6:7], v[11:12]
	s_or_b64 s[14:15], vcc, s[14:15]
	s_andn2_b64 exec, exec, s[14:15]
	s_cbranch_execnz .LBB1_3
; %bb.4:
	s_or_b64 exec, exec, s[14:15]
.LBB1_5:
	s_or_b64 exec, exec, s[12:13]
.LBB1_6:
	s_or_b64 exec, exec, s[6:7]
	global_load_dwordx2 v[9:10], v8, s[10:11] offset:40
	global_load_dwordx4 v[0:3], v8, s[10:11]
	v_readfirstlane_b32 s7, v7
	v_readfirstlane_b32 s6, v6
	s_mov_b64 s[12:13], exec
	s_waitcnt vmcnt(1)
	v_readfirstlane_b32 s14, v9
	v_readfirstlane_b32 s15, v10
	s_and_b64 s[14:15], s[14:15], s[6:7]
	s_mul_i32 s16, s15, 24
	s_mul_hi_u32 s17, s14, 24
	s_mul_i32 s18, s14, 24
	s_add_i32 s16, s17, s16
	v_mov_b32_e32 v6, s16
	s_waitcnt vmcnt(0)
	v_add_co_u32_e32 v10, vcc, s18, v0
	v_addc_co_u32_e32 v11, vcc, v1, v6, vcc
	s_and_saveexec_b64 s[16:17], s[4:5]
	s_cbranch_execz .LBB1_8
; %bb.7:
	v_mov_b32_e32 v6, s12
	v_mov_b32_e32 v7, s13
	;; [unrolled: 1-line block ×4, first 2 shown]
	global_store_dwordx4 v[10:11], v[6:9], off offset:8
.LBB1_8:
	s_or_b64 exec, exec, s[16:17]
	s_lshl_b64 s[12:13], s[14:15], 12
	v_mov_b32_e32 v6, s13
	v_add_co_u32_e32 v2, vcc, s12, v2
	s_mov_b32 s12, 0
	v_addc_co_u32_e32 v3, vcc, v3, v6, vcc
	v_lshlrev_b32_e32 v35, 6, v34
	s_mov_b32 s15, s12
	v_mov_b32_e32 v7, 0
	v_add_co_u32_e32 v12, vcc, v2, v35
	s_mov_b32 s13, s12
	s_mov_b32 s14, s12
	v_mov_b32_e32 v17, s15
	v_addc_co_u32_e32 v13, vcc, 0, v3, vcc
	v_mov_b32_e32 v6, 33
	v_mov_b32_e32 v8, 1
	;; [unrolled: 1-line block ×3, first 2 shown]
	v_readfirstlane_b32 s16, v2
	v_readfirstlane_b32 s17, v3
	v_mov_b32_e32 v16, s14
	v_mov_b32_e32 v15, s13
	;; [unrolled: 1-line block ×3, first 2 shown]
	s_nop 1
	global_store_dwordx4 v35, v[6:9], s[16:17]
	global_store_dwordx4 v35, v[14:17], s[16:17] offset:16
	global_store_dwordx4 v35, v[14:17], s[16:17] offset:32
	;; [unrolled: 1-line block ×3, first 2 shown]
	s_and_saveexec_b64 s[12:13], s[4:5]
	s_cbranch_execz .LBB1_16
; %bb.9:
	global_load_dwordx2 v[16:17], v7, s[10:11] offset:32 glc
	global_load_dwordx2 v[2:3], v7, s[10:11] offset:40
	v_mov_b32_e32 v14, s6
	v_mov_b32_e32 v15, s7
	s_waitcnt vmcnt(0)
	v_and_b32_e32 v2, s6, v2
	v_and_b32_e32 v3, s7, v3
	v_mul_lo_u32 v3, v3, 24
	v_mul_hi_u32 v6, v2, 24
	v_mul_lo_u32 v2, v2, 24
	v_add_u32_e32 v3, v6, v3
	v_add_co_u32_e32 v8, vcc, v0, v2
	v_addc_co_u32_e32 v9, vcc, v1, v3, vcc
	global_store_dwordx2 v[8:9], v[16:17], off
	s_waitcnt vmcnt(0)
	global_atomic_cmpswap_x2 v[2:3], v7, v[14:17], s[10:11] offset:32 glc
	s_waitcnt vmcnt(0)
	v_cmp_ne_u64_e32 vcc, v[2:3], v[16:17]
	s_and_saveexec_b64 s[14:15], vcc
	s_cbranch_execz .LBB1_12
; %bb.10:
	s_mov_b64 s[16:17], 0
	v_mov_b32_e32 v6, 0
.LBB1_11:                               ; =>This Inner Loop Header: Depth=1
	s_sleep 1
	global_store_dwordx2 v[8:9], v[2:3], off
	v_mov_b32_e32 v0, s6
	v_mov_b32_e32 v1, s7
	s_waitcnt vmcnt(0)
	global_atomic_cmpswap_x2 v[0:1], v6, v[0:3], s[10:11] offset:32 glc
	s_waitcnt vmcnt(0)
	v_cmp_eq_u64_e32 vcc, v[0:1], v[2:3]
	v_mov_b32_e32 v3, v1
	s_or_b64 s[16:17], vcc, s[16:17]
	v_mov_b32_e32 v2, v0
	s_andn2_b64 exec, exec, s[16:17]
	s_cbranch_execnz .LBB1_11
.LBB1_12:
	s_or_b64 exec, exec, s[14:15]
	v_mov_b32_e32 v3, 0
	global_load_dwordx2 v[0:1], v3, s[10:11] offset:16
	s_mov_b64 s[14:15], exec
	v_mbcnt_lo_u32_b32 v2, s14, 0
	v_mbcnt_hi_u32_b32 v2, s15, v2
	v_cmp_eq_u32_e32 vcc, 0, v2
	s_and_saveexec_b64 s[16:17], vcc
	s_cbranch_execz .LBB1_14
; %bb.13:
	s_bcnt1_i32_b64 s14, s[14:15]
	v_mov_b32_e32 v2, s14
	s_waitcnt vmcnt(0)
	global_atomic_add_x2 v[0:1], v[2:3], off offset:8
.LBB1_14:
	s_or_b64 exec, exec, s[16:17]
	s_waitcnt vmcnt(0)
	global_load_dwordx2 v[2:3], v[0:1], off offset:16
	s_waitcnt vmcnt(0)
	v_cmp_eq_u64_e32 vcc, 0, v[2:3]
	s_cbranch_vccnz .LBB1_16
; %bb.15:
	global_load_dword v0, v[0:1], off offset:24
	v_mov_b32_e32 v1, 0
	s_waitcnt vmcnt(0)
	v_readfirstlane_b32 s14, v0
	s_and_b32 m0, s14, 0xffffff
	global_store_dwordx2 v[2:3], v[0:1], off
	s_sendmsg sendmsg(MSG_INTERRUPT)
.LBB1_16:
	s_or_b64 exec, exec, s[12:13]
	s_branch .LBB1_20
.LBB1_17:                               ;   in Loop: Header=BB1_20 Depth=1
	s_or_b64 exec, exec, s[12:13]
	v_readfirstlane_b32 s12, v0
	s_cmp_eq_u32 s12, 0
	s_cbranch_scc1 .LBB1_19
; %bb.18:                               ;   in Loop: Header=BB1_20 Depth=1
	s_sleep 1
	s_cbranch_execnz .LBB1_20
	s_branch .LBB1_22
.LBB1_19:
	s_branch .LBB1_22
.LBB1_20:                               ; =>This Inner Loop Header: Depth=1
	v_mov_b32_e32 v0, 1
	s_and_saveexec_b64 s[12:13], s[4:5]
	s_cbranch_execz .LBB1_17
; %bb.21:                               ;   in Loop: Header=BB1_20 Depth=1
	global_load_dword v0, v[10:11], off offset:20 glc
	s_waitcnt vmcnt(0)
	buffer_wbinvl1_vol
	v_and_b32_e32 v0, 1, v0
	s_branch .LBB1_17
.LBB1_22:
	global_load_dwordx2 v[6:7], v[12:13], off
	s_and_saveexec_b64 s[12:13], s[4:5]
	s_cbranch_execz .LBB1_25
; %bb.23:
	v_mov_b32_e32 v10, 0
	global_load_dwordx2 v[0:1], v10, s[10:11] offset:40
	global_load_dwordx2 v[13:14], v10, s[10:11] offset:24 glc
	global_load_dwordx2 v[2:3], v10, s[10:11]
	s_waitcnt vmcnt(2)
	v_readfirstlane_b32 s14, v0
	v_readfirstlane_b32 s15, v1
	s_add_u32 s16, s14, 1
	s_addc_u32 s17, s15, 0
	s_add_u32 s4, s16, s6
	s_addc_u32 s5, s17, s7
	s_cmp_eq_u64 s[4:5], 0
	s_cselect_b32 s5, s17, s5
	s_cselect_b32 s4, s16, s4
	s_and_b64 s[6:7], s[4:5], s[14:15]
	s_mul_i32 s7, s7, 24
	s_mul_hi_u32 s14, s6, 24
	s_mul_i32 s6, s6, 24
	s_add_i32 s7, s14, s7
	v_mov_b32_e32 v0, s7
	s_waitcnt vmcnt(0)
	v_add_co_u32_e32 v8, vcc, s6, v2
	v_addc_co_u32_e32 v9, vcc, v3, v0, vcc
	v_mov_b32_e32 v11, s4
	global_store_dwordx2 v[8:9], v[13:14], off
	v_mov_b32_e32 v12, s5
	s_waitcnt vmcnt(0)
	global_atomic_cmpswap_x2 v[2:3], v10, v[11:14], s[10:11] offset:24 glc
	s_mov_b64 s[6:7], 0
	s_waitcnt vmcnt(0)
	v_cmp_ne_u64_e32 vcc, v[2:3], v[13:14]
	s_and_b64 exec, exec, vcc
	s_cbranch_execz .LBB1_25
.LBB1_24:                               ; =>This Inner Loop Header: Depth=1
	s_sleep 1
	global_store_dwordx2 v[8:9], v[2:3], off
	v_mov_b32_e32 v0, s4
	v_mov_b32_e32 v1, s5
	s_waitcnt vmcnt(0)
	global_atomic_cmpswap_x2 v[0:1], v10, v[0:3], s[10:11] offset:24 glc
	s_waitcnt vmcnt(0)
	v_cmp_eq_u64_e32 vcc, v[0:1], v[2:3]
	v_mov_b32_e32 v3, v1
	s_or_b64 s[6:7], vcc, s[6:7]
	v_mov_b32_e32 v2, v0
	s_andn2_b64 exec, exec, s[6:7]
	s_cbranch_execnz .LBB1_24
.LBB1_25:
	s_or_b64 exec, exec, s[12:13]
	s_lshr_b32 s6, s33, 6
	s_mov_b64 s[4:5], 0
.LBB1_26:                               ; =>This Inner Loop Header: Depth=1
	v_mov_b32_e32 v0, s6
	buffer_load_ubyte v1, v0, s[0:3], 0 offen
	s_add_i32 s6, s6, 1
	v_mov_b32_e32 v0, s6
	s_waitcnt vmcnt(0)
	v_cmp_eq_u16_e32 vcc, 0, v1
	s_or_b64 s[4:5], vcc, s[4:5]
	s_andn2_b64 exec, exec, s[4:5]
	s_cbranch_execnz .LBB1_26
; %bb.27:
	s_or_b64 exec, exec, s[4:5]
	s_lshr_b32 s4, s33, 6
	s_cmp_lg_u32 s4, -1
	s_cbranch_scc0 .LBB1_112
; %bb.28:
	v_lshrrev_b32_e64 v1, 6, s33
	v_subrev_u32_e32 v28, v1, v0
	v_ashrrev_i32_e32 v29, 31, v28
	v_and_b32_e32 v36, 2, v6
	v_mov_b32_e32 v31, 0
	v_and_b32_e32 v0, -3, v6
	v_mov_b32_e32 v1, v7
	s_mov_b64 s[12:13], 0
	v_lshrrev_b32_e64 v37, 6, s33
	s_mov_b32 s20, 0
	s_movk_i32 s21, 0x1e0
	v_mov_b32_e32 v10, 2
	v_mov_b32_e32 v11, 1
	s_branch .LBB1_30
.LBB1_29:                               ;   in Loop: Header=BB1_30 Depth=1
	s_or_b64 exec, exec, s[6:7]
	v_sub_co_u32_e32 v28, vcc, v28, v38
	v_subb_co_u32_e32 v29, vcc, v29, v39, vcc
	v_cmp_eq_u64_e32 vcc, 0, v[28:29]
	v_add_u32_e32 v37, v37, v38
	s_or_b64 s[12:13], vcc, s[12:13]
	s_andn2_b64 exec, exec, s[12:13]
	s_cbranch_execz .LBB1_113
.LBB1_30:                               ; =>This Loop Header: Depth=1
                                        ;     Child Loop BB1_33 Depth 2
                                        ;     Child Loop BB1_41 Depth 2
	;; [unrolled: 1-line block ×11, first 2 shown]
	v_cmp_gt_u64_e32 vcc, 56, v[28:29]
	v_cmp_gt_u64_e64 s[4:5], 8, v[28:29]
	v_cndmask_b32_e32 v38, 56, v28, vcc
	v_add_u32_e32 v9, 8, v37
	s_and_saveexec_b64 s[6:7], s[4:5]
	s_xor_b64 s[6:7], exec, s[6:7]
	s_cbranch_execz .LBB1_36
; %bb.31:                               ;   in Loop: Header=BB1_30 Depth=1
	v_mov_b32_e32 v2, 0
	v_cmp_ne_u64_e64 s[4:5], 0, v[28:29]
	v_mov_b32_e32 v3, 0
	s_and_saveexec_b64 s[14:15], s[4:5]
	s_cbranch_execz .LBB1_35
; %bb.32:                               ;   in Loop: Header=BB1_30 Depth=1
	v_mov_b32_e32 v2, 0
	s_mov_b32 s22, 0
	s_mov_b64 s[16:17], 0
	v_mov_b32_e32 v3, 0
	s_mov_b64 s[18:19], 0
.LBB1_33:                               ;   Parent Loop BB1_30 Depth=1
                                        ; =>  This Inner Loop Header: Depth=2
	v_add_u32_e32 v8, s22, v37
	buffer_load_ubyte v8, v8, s[0:3], 0 offen
	v_mov_b32_e32 v9, s20
	s_add_i32 s22, s22, 1
	v_cmp_eq_u32_e64 s[4:5], s22, v38
	s_waitcnt vmcnt(0)
	v_and_b32_e32 v8, 0xffff, v8
	v_lshlrev_b64 v[8:9], s18, v[8:9]
	s_add_u32 s18, s18, 8
	s_addc_u32 s19, s19, 0
	v_or_b32_e32 v3, v9, v3
	s_or_b64 s[16:17], s[4:5], s[16:17]
	v_or_b32_e32 v2, v8, v2
	s_andn2_b64 exec, exec, s[16:17]
	s_cbranch_execnz .LBB1_33
; %bb.34:                               ;   in Loop: Header=BB1_30 Depth=1
	s_or_b64 exec, exec, s[16:17]
.LBB1_35:                               ;   in Loop: Header=BB1_30 Depth=1
	s_or_b64 exec, exec, s[14:15]
	v_mov_b32_e32 v9, v37
.LBB1_36:                               ;   in Loop: Header=BB1_30 Depth=1
	s_or_saveexec_b64 s[4:5], s[6:7]
	v_mov_b32_e32 v14, 0
	s_xor_b64 exec, exec, s[4:5]
	s_cbranch_execz .LBB1_38
; %bb.37:                               ;   in Loop: Header=BB1_30 Depth=1
	buffer_load_dword v2, v37, s[0:3], 0 offen
	buffer_load_dword v3, v37, s[0:3], 0 offen offset:4
	v_add_u32_e32 v14, -8, v38
.LBB1_38:                               ;   in Loop: Header=BB1_30 Depth=1
	s_or_b64 exec, exec, s[4:5]
	v_cmp_gt_u32_e64 s[4:5], 8, v14
	v_add_u32_e32 v8, 8, v9
                                        ; implicit-def: $vgpr12_vgpr13
	s_and_saveexec_b64 s[6:7], s[4:5]
	s_xor_b64 s[6:7], exec, s[6:7]
	s_cbranch_execz .LBB1_44
; %bb.39:                               ;   in Loop: Header=BB1_30 Depth=1
	v_mov_b32_e32 v12, 0
	v_mov_b32_e32 v13, 0
	v_cmp_ne_u32_e64 s[4:5], 0, v14
	s_and_saveexec_b64 s[14:15], s[4:5]
	s_cbranch_execz .LBB1_43
; %bb.40:                               ;   in Loop: Header=BB1_30 Depth=1
	v_mov_b32_e32 v12, 0
	s_mov_b32 s22, 0
	s_mov_b64 s[16:17], 0
	v_mov_b32_e32 v13, 0
	s_mov_b64 s[18:19], 0
.LBB1_41:                               ;   Parent Loop BB1_30 Depth=1
                                        ; =>  This Inner Loop Header: Depth=2
	v_add_u32_e32 v8, s22, v9
	buffer_load_ubyte v8, v8, s[0:3], 0 offen
	v_mov_b32_e32 v16, s20
	s_add_i32 s22, s22, 1
	v_cmp_eq_u32_e64 s[4:5], s22, v14
	s_waitcnt vmcnt(0)
	v_and_b32_e32 v15, 0xffff, v8
	v_lshlrev_b64 v[15:16], s18, v[15:16]
	s_add_u32 s18, s18, 8
	s_addc_u32 s19, s19, 0
	v_or_b32_e32 v13, v16, v13
	s_or_b64 s[16:17], s[4:5], s[16:17]
	v_or_b32_e32 v12, v15, v12
	s_andn2_b64 exec, exec, s[16:17]
	s_cbranch_execnz .LBB1_41
; %bb.42:                               ;   in Loop: Header=BB1_30 Depth=1
	s_or_b64 exec, exec, s[16:17]
.LBB1_43:                               ;   in Loop: Header=BB1_30 Depth=1
	s_or_b64 exec, exec, s[14:15]
	v_mov_b32_e32 v8, v9
                                        ; implicit-def: $vgpr14
.LBB1_44:                               ;   in Loop: Header=BB1_30 Depth=1
	s_or_saveexec_b64 s[4:5], s[6:7]
	v_mov_b32_e32 v16, 0
	s_xor_b64 exec, exec, s[4:5]
	s_cbranch_execz .LBB1_46
; %bb.45:                               ;   in Loop: Header=BB1_30 Depth=1
	buffer_load_dword v12, v9, s[0:3], 0 offen
	buffer_load_dword v13, v9, s[0:3], 0 offen offset:4
	v_add_u32_e32 v16, -8, v14
.LBB1_46:                               ;   in Loop: Header=BB1_30 Depth=1
	s_or_b64 exec, exec, s[4:5]
	v_cmp_gt_u32_e64 s[4:5], 8, v16
	v_add_u32_e32 v9, 8, v8
	s_and_saveexec_b64 s[6:7], s[4:5]
	s_xor_b64 s[6:7], exec, s[6:7]
	s_cbranch_execz .LBB1_52
; %bb.47:                               ;   in Loop: Header=BB1_30 Depth=1
	v_mov_b32_e32 v14, 0
	v_mov_b32_e32 v15, 0
	v_cmp_ne_u32_e64 s[4:5], 0, v16
	s_and_saveexec_b64 s[14:15], s[4:5]
	s_cbranch_execz .LBB1_51
; %bb.48:                               ;   in Loop: Header=BB1_30 Depth=1
	v_mov_b32_e32 v14, 0
	s_mov_b32 s22, 0
	s_mov_b64 s[16:17], 0
	v_mov_b32_e32 v15, 0
	s_mov_b64 s[18:19], 0
.LBB1_49:                               ;   Parent Loop BB1_30 Depth=1
                                        ; =>  This Inner Loop Header: Depth=2
	v_add_u32_e32 v9, s22, v8
	buffer_load_ubyte v9, v9, s[0:3], 0 offen
	v_mov_b32_e32 v18, s20
	s_add_i32 s22, s22, 1
	v_cmp_eq_u32_e64 s[4:5], s22, v16
	s_waitcnt vmcnt(0)
	v_and_b32_e32 v17, 0xffff, v9
	v_lshlrev_b64 v[17:18], s18, v[17:18]
	s_add_u32 s18, s18, 8
	s_addc_u32 s19, s19, 0
	v_or_b32_e32 v15, v18, v15
	s_or_b64 s[16:17], s[4:5], s[16:17]
	v_or_b32_e32 v14, v17, v14
	s_andn2_b64 exec, exec, s[16:17]
	s_cbranch_execnz .LBB1_49
; %bb.50:                               ;   in Loop: Header=BB1_30 Depth=1
	s_or_b64 exec, exec, s[16:17]
.LBB1_51:                               ;   in Loop: Header=BB1_30 Depth=1
	s_or_b64 exec, exec, s[14:15]
	v_mov_b32_e32 v9, v8
                                        ; implicit-def: $vgpr16
.LBB1_52:                               ;   in Loop: Header=BB1_30 Depth=1
	s_or_saveexec_b64 s[4:5], s[6:7]
	v_mov_b32_e32 v18, 0
	s_xor_b64 exec, exec, s[4:5]
	s_cbranch_execz .LBB1_54
; %bb.53:                               ;   in Loop: Header=BB1_30 Depth=1
	buffer_load_dword v14, v8, s[0:3], 0 offen
	buffer_load_dword v15, v8, s[0:3], 0 offen offset:4
	v_add_u32_e32 v18, -8, v16
.LBB1_54:                               ;   in Loop: Header=BB1_30 Depth=1
	s_or_b64 exec, exec, s[4:5]
	v_cmp_gt_u32_e64 s[4:5], 8, v18
	v_add_u32_e32 v8, 8, v9
                                        ; implicit-def: $vgpr16_vgpr17
	s_and_saveexec_b64 s[6:7], s[4:5]
	s_xor_b64 s[6:7], exec, s[6:7]
	s_cbranch_execz .LBB1_60
; %bb.55:                               ;   in Loop: Header=BB1_30 Depth=1
	v_mov_b32_e32 v16, 0
	v_mov_b32_e32 v17, 0
	v_cmp_ne_u32_e64 s[4:5], 0, v18
	s_and_saveexec_b64 s[14:15], s[4:5]
	s_cbranch_execz .LBB1_59
; %bb.56:                               ;   in Loop: Header=BB1_30 Depth=1
	v_mov_b32_e32 v16, 0
	s_mov_b32 s22, 0
	s_mov_b64 s[16:17], 0
	v_mov_b32_e32 v17, 0
	s_mov_b64 s[18:19], 0
.LBB1_57:                               ;   Parent Loop BB1_30 Depth=1
                                        ; =>  This Inner Loop Header: Depth=2
	v_add_u32_e32 v8, s22, v9
	buffer_load_ubyte v8, v8, s[0:3], 0 offen
	v_mov_b32_e32 v20, s20
	s_add_i32 s22, s22, 1
	v_cmp_eq_u32_e64 s[4:5], s22, v18
	s_waitcnt vmcnt(0)
	v_and_b32_e32 v19, 0xffff, v8
	v_lshlrev_b64 v[19:20], s18, v[19:20]
	s_add_u32 s18, s18, 8
	s_addc_u32 s19, s19, 0
	v_or_b32_e32 v17, v20, v17
	s_or_b64 s[16:17], s[4:5], s[16:17]
	v_or_b32_e32 v16, v19, v16
	s_andn2_b64 exec, exec, s[16:17]
	s_cbranch_execnz .LBB1_57
; %bb.58:                               ;   in Loop: Header=BB1_30 Depth=1
	s_or_b64 exec, exec, s[16:17]
.LBB1_59:                               ;   in Loop: Header=BB1_30 Depth=1
	s_or_b64 exec, exec, s[14:15]
	v_mov_b32_e32 v8, v9
                                        ; implicit-def: $vgpr18
.LBB1_60:                               ;   in Loop: Header=BB1_30 Depth=1
	s_or_saveexec_b64 s[4:5], s[6:7]
	v_mov_b32_e32 v20, 0
	s_xor_b64 exec, exec, s[4:5]
	s_cbranch_execz .LBB1_62
; %bb.61:                               ;   in Loop: Header=BB1_30 Depth=1
	buffer_load_dword v16, v9, s[0:3], 0 offen
	buffer_load_dword v17, v9, s[0:3], 0 offen offset:4
	v_add_u32_e32 v20, -8, v18
.LBB1_62:                               ;   in Loop: Header=BB1_30 Depth=1
	s_or_b64 exec, exec, s[4:5]
	v_cmp_gt_u32_e64 s[4:5], 8, v20
	v_add_u32_e32 v9, 8, v8
	s_and_saveexec_b64 s[6:7], s[4:5]
	s_xor_b64 s[6:7], exec, s[6:7]
	s_cbranch_execz .LBB1_68
; %bb.63:                               ;   in Loop: Header=BB1_30 Depth=1
	v_mov_b32_e32 v18, 0
	v_mov_b32_e32 v19, 0
	v_cmp_ne_u32_e64 s[4:5], 0, v20
	s_and_saveexec_b64 s[14:15], s[4:5]
	s_cbranch_execz .LBB1_67
; %bb.64:                               ;   in Loop: Header=BB1_30 Depth=1
	v_mov_b32_e32 v18, 0
	s_mov_b32 s22, 0
	s_mov_b64 s[16:17], 0
	v_mov_b32_e32 v19, 0
	s_mov_b64 s[18:19], 0
.LBB1_65:                               ;   Parent Loop BB1_30 Depth=1
                                        ; =>  This Inner Loop Header: Depth=2
	v_add_u32_e32 v9, s22, v8
	buffer_load_ubyte v9, v9, s[0:3], 0 offen
	v_mov_b32_e32 v22, s20
	s_add_i32 s22, s22, 1
	v_cmp_eq_u32_e64 s[4:5], s22, v20
	s_waitcnt vmcnt(0)
	v_and_b32_e32 v21, 0xffff, v9
	v_lshlrev_b64 v[21:22], s18, v[21:22]
	s_add_u32 s18, s18, 8
	s_addc_u32 s19, s19, 0
	v_or_b32_e32 v19, v22, v19
	s_or_b64 s[16:17], s[4:5], s[16:17]
	v_or_b32_e32 v18, v21, v18
	s_andn2_b64 exec, exec, s[16:17]
	s_cbranch_execnz .LBB1_65
; %bb.66:                               ;   in Loop: Header=BB1_30 Depth=1
	s_or_b64 exec, exec, s[16:17]
.LBB1_67:                               ;   in Loop: Header=BB1_30 Depth=1
	s_or_b64 exec, exec, s[14:15]
	v_mov_b32_e32 v9, v8
                                        ; implicit-def: $vgpr20
.LBB1_68:                               ;   in Loop: Header=BB1_30 Depth=1
	s_or_saveexec_b64 s[4:5], s[6:7]
	v_mov_b32_e32 v22, 0
	s_xor_b64 exec, exec, s[4:5]
	s_cbranch_execz .LBB1_70
; %bb.69:                               ;   in Loop: Header=BB1_30 Depth=1
	buffer_load_dword v18, v8, s[0:3], 0 offen
	buffer_load_dword v19, v8, s[0:3], 0 offen offset:4
	v_add_u32_e32 v22, -8, v20
.LBB1_70:                               ;   in Loop: Header=BB1_30 Depth=1
	s_or_b64 exec, exec, s[4:5]
	v_cmp_gt_u32_e64 s[4:5], 8, v22
	v_add_u32_e32 v8, 8, v9
                                        ; implicit-def: $vgpr20_vgpr21
	s_and_saveexec_b64 s[6:7], s[4:5]
	s_xor_b64 s[6:7], exec, s[6:7]
	s_cbranch_execz .LBB1_76
; %bb.71:                               ;   in Loop: Header=BB1_30 Depth=1
	v_mov_b32_e32 v20, 0
	v_mov_b32_e32 v21, 0
	v_cmp_ne_u32_e64 s[4:5], 0, v22
	s_and_saveexec_b64 s[14:15], s[4:5]
	s_cbranch_execz .LBB1_75
; %bb.72:                               ;   in Loop: Header=BB1_30 Depth=1
	v_mov_b32_e32 v20, 0
	s_mov_b32 s22, 0
	s_mov_b64 s[16:17], 0
	v_mov_b32_e32 v21, 0
	s_mov_b64 s[18:19], 0
.LBB1_73:                               ;   Parent Loop BB1_30 Depth=1
                                        ; =>  This Inner Loop Header: Depth=2
	v_add_u32_e32 v8, s22, v9
	buffer_load_ubyte v8, v8, s[0:3], 0 offen
	v_mov_b32_e32 v24, s20
	s_add_i32 s22, s22, 1
	v_cmp_eq_u32_e64 s[4:5], s22, v22
	s_waitcnt vmcnt(0)
	v_and_b32_e32 v23, 0xffff, v8
	v_lshlrev_b64 v[23:24], s18, v[23:24]
	s_add_u32 s18, s18, 8
	s_addc_u32 s19, s19, 0
	v_or_b32_e32 v21, v24, v21
	s_or_b64 s[16:17], s[4:5], s[16:17]
	v_or_b32_e32 v20, v23, v20
	s_andn2_b64 exec, exec, s[16:17]
	s_cbranch_execnz .LBB1_73
; %bb.74:                               ;   in Loop: Header=BB1_30 Depth=1
	s_or_b64 exec, exec, s[16:17]
.LBB1_75:                               ;   in Loop: Header=BB1_30 Depth=1
	s_or_b64 exec, exec, s[14:15]
	v_mov_b32_e32 v8, v9
                                        ; implicit-def: $vgpr22
.LBB1_76:                               ;   in Loop: Header=BB1_30 Depth=1
	s_or_saveexec_b64 s[4:5], s[6:7]
	v_mov_b32_e32 v24, 0
	s_xor_b64 exec, exec, s[4:5]
	s_cbranch_execz .LBB1_78
; %bb.77:                               ;   in Loop: Header=BB1_30 Depth=1
	buffer_load_dword v20, v9, s[0:3], 0 offen
	buffer_load_dword v21, v9, s[0:3], 0 offen offset:4
	v_add_u32_e32 v24, -8, v22
.LBB1_78:                               ;   in Loop: Header=BB1_30 Depth=1
	s_or_b64 exec, exec, s[4:5]
	v_cmp_gt_u32_e64 s[4:5], 8, v24
	s_and_saveexec_b64 s[6:7], s[4:5]
	s_xor_b64 s[6:7], exec, s[6:7]
	s_cbranch_execz .LBB1_84
; %bb.79:                               ;   in Loop: Header=BB1_30 Depth=1
	v_mov_b32_e32 v22, 0
	v_mov_b32_e32 v23, 0
	v_cmp_ne_u32_e64 s[4:5], 0, v24
	s_and_saveexec_b64 s[14:15], s[4:5]
	s_cbranch_execz .LBB1_83
; %bb.80:                               ;   in Loop: Header=BB1_30 Depth=1
	v_mov_b32_e32 v22, 0
	s_mov_b64 s[16:17], 0
	v_mov_b32_e32 v23, 0
	s_mov_b64 s[18:19], 0
.LBB1_81:                               ;   Parent Loop BB1_30 Depth=1
                                        ; =>  This Inner Loop Header: Depth=2
	buffer_load_ubyte v9, v8, s[0:3], 0 offen
	v_mov_b32_e32 v26, s20
	v_add_u32_e32 v24, -1, v24
	v_cmp_eq_u32_e64 s[4:5], 0, v24
	v_add_u32_e32 v8, 1, v8
	s_waitcnt vmcnt(0)
	v_and_b32_e32 v25, 0xffff, v9
	v_lshlrev_b64 v[25:26], s18, v[25:26]
	s_add_u32 s18, s18, 8
	s_addc_u32 s19, s19, 0
	v_or_b32_e32 v23, v26, v23
	s_or_b64 s[16:17], s[4:5], s[16:17]
	v_or_b32_e32 v22, v25, v22
	s_andn2_b64 exec, exec, s[16:17]
	s_cbranch_execnz .LBB1_81
; %bb.82:                               ;   in Loop: Header=BB1_30 Depth=1
	s_or_b64 exec, exec, s[16:17]
.LBB1_83:                               ;   in Loop: Header=BB1_30 Depth=1
	s_or_b64 exec, exec, s[14:15]
                                        ; implicit-def: $vgpr8
.LBB1_84:                               ;   in Loop: Header=BB1_30 Depth=1
	s_andn2_saveexec_b64 s[4:5], s[6:7]
	s_cbranch_execz .LBB1_86
; %bb.85:                               ;   in Loop: Header=BB1_30 Depth=1
	buffer_load_dword v22, v8, s[0:3], 0 offen
	buffer_load_dword v23, v8, s[0:3], 0 offen offset:4
.LBB1_86:                               ;   in Loop: Header=BB1_30 Depth=1
	s_or_b64 exec, exec, s[4:5]
	v_readfirstlane_b32 s4, v34
	v_mov_b32_e32 v8, 0
	v_mov_b32_e32 v9, 0
	v_cmp_eq_u32_e64 s[4:5], s4, v34
	s_and_saveexec_b64 s[14:15], s[4:5]
	s_cbranch_execz .LBB1_92
; %bb.87:                               ;   in Loop: Header=BB1_30 Depth=1
	global_load_dwordx2 v[26:27], v31, s[10:11] offset:24 glc
	s_waitcnt vmcnt(0)
	buffer_wbinvl1_vol
	global_load_dwordx2 v[8:9], v31, s[10:11] offset:40
	global_load_dwordx2 v[24:25], v31, s[10:11]
	s_waitcnt vmcnt(1)
	v_and_b32_e32 v8, v8, v26
	v_and_b32_e32 v9, v9, v27
	v_mul_lo_u32 v9, v9, 24
	v_mul_hi_u32 v30, v8, 24
	v_mul_lo_u32 v8, v8, 24
	v_add_u32_e32 v9, v30, v9
	s_waitcnt vmcnt(0)
	v_add_co_u32_e64 v8, s[6:7], v24, v8
	v_addc_co_u32_e64 v9, s[6:7], v25, v9, s[6:7]
	global_load_dwordx2 v[24:25], v[8:9], off glc
	s_waitcnt vmcnt(0)
	global_atomic_cmpswap_x2 v[8:9], v31, v[24:27], s[10:11] offset:24 glc
	s_waitcnt vmcnt(0)
	buffer_wbinvl1_vol
	v_cmp_ne_u64_e64 s[6:7], v[8:9], v[26:27]
	s_and_saveexec_b64 s[16:17], s[6:7]
	s_cbranch_execz .LBB1_91
; %bb.88:                               ;   in Loop: Header=BB1_30 Depth=1
	s_mov_b64 s[18:19], 0
.LBB1_89:                               ;   Parent Loop BB1_30 Depth=1
                                        ; =>  This Inner Loop Header: Depth=2
	s_sleep 1
	global_load_dwordx2 v[24:25], v31, s[10:11] offset:40
	global_load_dwordx2 v[32:33], v31, s[10:11]
	v_mov_b32_e32 v27, v9
	v_mov_b32_e32 v26, v8
	s_waitcnt vmcnt(1)
	v_and_b32_e32 v8, v24, v26
	s_waitcnt vmcnt(0)
	v_mad_u64_u32 v[8:9], s[6:7], v8, 24, v[32:33]
	v_and_b32_e32 v24, v25, v27
	v_mad_u64_u32 v[24:25], s[6:7], v24, 24, v[9:10]
	v_mov_b32_e32 v9, v24
	global_load_dwordx2 v[24:25], v[8:9], off glc
	s_waitcnt vmcnt(0)
	global_atomic_cmpswap_x2 v[8:9], v31, v[24:27], s[10:11] offset:24 glc
	s_waitcnt vmcnt(0)
	buffer_wbinvl1_vol
	v_cmp_eq_u64_e64 s[6:7], v[8:9], v[26:27]
	s_or_b64 s[18:19], s[6:7], s[18:19]
	s_andn2_b64 exec, exec, s[18:19]
	s_cbranch_execnz .LBB1_89
; %bb.90:                               ;   in Loop: Header=BB1_30 Depth=1
	s_or_b64 exec, exec, s[18:19]
.LBB1_91:                               ;   in Loop: Header=BB1_30 Depth=1
	s_or_b64 exec, exec, s[16:17]
.LBB1_92:                               ;   in Loop: Header=BB1_30 Depth=1
	s_or_b64 exec, exec, s[14:15]
	global_load_dwordx2 v[32:33], v31, s[10:11] offset:40
	global_load_dwordx4 v[24:27], v31, s[10:11]
	v_readfirstlane_b32 s15, v9
	v_readfirstlane_b32 s14, v8
	s_mov_b64 s[16:17], exec
	s_waitcnt vmcnt(1)
	v_readfirstlane_b32 s6, v32
	v_readfirstlane_b32 s7, v33
	s_and_b64 s[18:19], s[6:7], s[14:15]
	s_mul_i32 s6, s19, 24
	s_mul_hi_u32 s7, s18, 24
	s_mul_i32 s22, s18, 24
	s_add_i32 s6, s7, s6
	v_mov_b32_e32 v8, s6
	s_waitcnt vmcnt(0)
	v_add_co_u32_e64 v32, s[6:7], s22, v24
	v_addc_co_u32_e64 v33, s[6:7], v25, v8, s[6:7]
	s_and_saveexec_b64 s[6:7], s[4:5]
	s_cbranch_execz .LBB1_94
; %bb.93:                               ;   in Loop: Header=BB1_30 Depth=1
	v_mov_b32_e32 v8, s16
	v_mov_b32_e32 v9, s17
	global_store_dwordx4 v[32:33], v[8:11], off offset:8
.LBB1_94:                               ;   in Loop: Header=BB1_30 Depth=1
	s_or_b64 exec, exec, s[6:7]
	s_lshl_b64 s[6:7], s[18:19], 12
	v_cndmask_b32_e32 v39, 0, v29, vcc
	v_mov_b32_e32 v8, s7
	v_add_co_u32_e32 v26, vcc, s6, v26
	v_addc_co_u32_e32 v27, vcc, v27, v8, vcc
	v_cmp_gt_u64_e32 vcc, 57, v[28:29]
	v_and_b32_e32 v0, 0xffffff1f, v0
	v_cndmask_b32_e32 v8, 0, v36, vcc
	v_lshl_add_u32 v9, v38, 2, 28
	v_or_b32_e32 v0, v0, v8
	v_and_or_b32 v0, v9, s21, v0
	v_readfirstlane_b32 s6, v26
	v_readfirstlane_b32 s7, v27
	s_nop 4
	global_store_dwordx4 v35, v[0:3], s[6:7]
	global_store_dwordx4 v35, v[12:15], s[6:7] offset:16
	global_store_dwordx4 v35, v[16:19], s[6:7] offset:32
	global_store_dwordx4 v35, v[20:23], s[6:7] offset:48
	s_and_saveexec_b64 s[6:7], s[4:5]
	s_cbranch_execz .LBB1_102
; %bb.95:                               ;   in Loop: Header=BB1_30 Depth=1
	global_load_dwordx2 v[14:15], v31, s[10:11] offset:32 glc
	global_load_dwordx2 v[0:1], v31, s[10:11] offset:40
	v_mov_b32_e32 v12, s14
	v_mov_b32_e32 v13, s15
	s_waitcnt vmcnt(0)
	v_readfirstlane_b32 s16, v0
	v_readfirstlane_b32 s17, v1
	s_and_b64 s[16:17], s[16:17], s[14:15]
	s_mul_i32 s17, s17, 24
	s_mul_hi_u32 s18, s16, 24
	s_mul_i32 s16, s16, 24
	s_add_i32 s17, s18, s17
	v_mov_b32_e32 v0, s17
	v_add_co_u32_e32 v8, vcc, s16, v24
	v_addc_co_u32_e32 v9, vcc, v25, v0, vcc
	global_store_dwordx2 v[8:9], v[14:15], off
	s_waitcnt vmcnt(0)
	global_atomic_cmpswap_x2 v[2:3], v31, v[12:15], s[10:11] offset:32 glc
	s_waitcnt vmcnt(0)
	v_cmp_ne_u64_e32 vcc, v[2:3], v[14:15]
	s_and_saveexec_b64 s[16:17], vcc
	s_cbranch_execz .LBB1_98
; %bb.96:                               ;   in Loop: Header=BB1_30 Depth=1
	s_mov_b64 s[18:19], 0
.LBB1_97:                               ;   Parent Loop BB1_30 Depth=1
                                        ; =>  This Inner Loop Header: Depth=2
	s_sleep 1
	global_store_dwordx2 v[8:9], v[2:3], off
	v_mov_b32_e32 v0, s14
	v_mov_b32_e32 v1, s15
	s_waitcnt vmcnt(0)
	global_atomic_cmpswap_x2 v[0:1], v31, v[0:3], s[10:11] offset:32 glc
	s_waitcnt vmcnt(0)
	v_cmp_eq_u64_e32 vcc, v[0:1], v[2:3]
	v_mov_b32_e32 v3, v1
	s_or_b64 s[18:19], vcc, s[18:19]
	v_mov_b32_e32 v2, v0
	s_andn2_b64 exec, exec, s[18:19]
	s_cbranch_execnz .LBB1_97
.LBB1_98:                               ;   in Loop: Header=BB1_30 Depth=1
	s_or_b64 exec, exec, s[16:17]
	global_load_dwordx2 v[0:1], v31, s[10:11] offset:16
	s_mov_b64 s[18:19], exec
	v_mbcnt_lo_u32_b32 v2, s18, 0
	v_mbcnt_hi_u32_b32 v2, s19, v2
	v_cmp_eq_u32_e32 vcc, 0, v2
	s_and_saveexec_b64 s[16:17], vcc
	s_cbranch_execz .LBB1_100
; %bb.99:                               ;   in Loop: Header=BB1_30 Depth=1
	s_bcnt1_i32_b64 s18, s[18:19]
	v_mov_b32_e32 v30, s18
	s_waitcnt vmcnt(0)
	global_atomic_add_x2 v[0:1], v[30:31], off offset:8
.LBB1_100:                              ;   in Loop: Header=BB1_30 Depth=1
	s_or_b64 exec, exec, s[16:17]
	s_waitcnt vmcnt(0)
	global_load_dwordx2 v[2:3], v[0:1], off offset:16
	s_waitcnt vmcnt(0)
	v_cmp_eq_u64_e32 vcc, 0, v[2:3]
	s_cbranch_vccnz .LBB1_102
; %bb.101:                              ;   in Loop: Header=BB1_30 Depth=1
	global_load_dword v30, v[0:1], off offset:24
	s_waitcnt vmcnt(0)
	v_readfirstlane_b32 s16, v30
	s_and_b32 m0, s16, 0xffffff
	global_store_dwordx2 v[2:3], v[30:31], off
	s_sendmsg sendmsg(MSG_INTERRUPT)
.LBB1_102:                              ;   in Loop: Header=BB1_30 Depth=1
	s_or_b64 exec, exec, s[6:7]
	v_add_co_u32_e32 v0, vcc, v26, v35
	v_addc_co_u32_e32 v1, vcc, 0, v27, vcc
	s_branch .LBB1_106
.LBB1_103:                              ;   in Loop: Header=BB1_106 Depth=2
	s_or_b64 exec, exec, s[6:7]
	v_readfirstlane_b32 s6, v2
	s_cmp_eq_u32 s6, 0
	s_cbranch_scc1 .LBB1_105
; %bb.104:                              ;   in Loop: Header=BB1_106 Depth=2
	s_sleep 1
	s_cbranch_execnz .LBB1_106
	s_branch .LBB1_108
.LBB1_105:                              ;   in Loop: Header=BB1_30 Depth=1
	s_branch .LBB1_108
.LBB1_106:                              ;   Parent Loop BB1_30 Depth=1
                                        ; =>  This Inner Loop Header: Depth=2
	v_mov_b32_e32 v2, 1
	s_and_saveexec_b64 s[6:7], s[4:5]
	s_cbranch_execz .LBB1_103
; %bb.107:                              ;   in Loop: Header=BB1_106 Depth=2
	global_load_dword v2, v[32:33], off offset:20 glc
	s_waitcnt vmcnt(0)
	buffer_wbinvl1_vol
	v_and_b32_e32 v2, 1, v2
	s_branch .LBB1_103
.LBB1_108:                              ;   in Loop: Header=BB1_30 Depth=1
	global_load_dwordx2 v[0:1], v[0:1], off
	s_and_saveexec_b64 s[6:7], s[4:5]
	s_cbranch_execz .LBB1_29
; %bb.109:                              ;   in Loop: Header=BB1_30 Depth=1
	global_load_dwordx2 v[2:3], v31, s[10:11] offset:40
	global_load_dwordx2 v[16:17], v31, s[10:11] offset:24 glc
	global_load_dwordx2 v[8:9], v31, s[10:11]
	s_waitcnt vmcnt(2)
	v_readfirstlane_b32 s16, v2
	v_readfirstlane_b32 s17, v3
	s_add_u32 s18, s16, 1
	s_addc_u32 s19, s17, 0
	s_add_u32 s4, s18, s14
	s_addc_u32 s5, s19, s15
	s_cmp_eq_u64 s[4:5], 0
	s_cselect_b32 s5, s19, s5
	s_cselect_b32 s4, s18, s4
	s_and_b64 s[14:15], s[4:5], s[16:17]
	s_mul_i32 s15, s15, 24
	s_mul_hi_u32 s16, s14, 24
	s_mul_i32 s14, s14, 24
	s_add_i32 s15, s16, s15
	v_mov_b32_e32 v3, s15
	s_waitcnt vmcnt(0)
	v_add_co_u32_e32 v2, vcc, s14, v8
	v_addc_co_u32_e32 v3, vcc, v9, v3, vcc
	v_mov_b32_e32 v14, s4
	global_store_dwordx2 v[2:3], v[16:17], off
	v_mov_b32_e32 v15, s5
	s_waitcnt vmcnt(0)
	global_atomic_cmpswap_x2 v[14:15], v31, v[14:17], s[10:11] offset:24 glc
	s_waitcnt vmcnt(0)
	v_cmp_ne_u64_e32 vcc, v[14:15], v[16:17]
	s_and_b64 exec, exec, vcc
	s_cbranch_execz .LBB1_29
; %bb.110:                              ;   in Loop: Header=BB1_30 Depth=1
	s_mov_b64 s[14:15], 0
.LBB1_111:                              ;   Parent Loop BB1_30 Depth=1
                                        ; =>  This Inner Loop Header: Depth=2
	s_sleep 1
	global_store_dwordx2 v[2:3], v[14:15], off
	v_mov_b32_e32 v12, s4
	v_mov_b32_e32 v13, s5
	s_waitcnt vmcnt(0)
	global_atomic_cmpswap_x2 v[8:9], v31, v[12:15], s[10:11] offset:24 glc
	s_waitcnt vmcnt(0)
	v_cmp_eq_u64_e32 vcc, v[8:9], v[14:15]
	v_mov_b32_e32 v15, v9
	s_or_b64 s[14:15], vcc, s[14:15]
	v_mov_b32_e32 v14, v8
	s_andn2_b64 exec, exec, s[14:15]
	s_cbranch_execnz .LBB1_111
	s_branch .LBB1_29
.LBB1_112:
                                        ; implicit-def: $vgpr0_vgpr1
	s_cbranch_execnz .LBB1_114
	s_branch .LBB1_140
.LBB1_113:
	s_or_b64 exec, exec, s[12:13]
	s_branch .LBB1_140
.LBB1_114:
	v_readfirstlane_b32 s4, v34
	v_mov_b32_e32 v9, 0
	v_mov_b32_e32 v10, 0
	v_cmp_eq_u32_e64 s[4:5], s4, v34
	s_and_saveexec_b64 s[6:7], s[4:5]
	s_cbranch_execz .LBB1_120
; %bb.115:
	s_waitcnt vmcnt(0)
	v_mov_b32_e32 v0, 0
	global_load_dwordx2 v[11:12], v0, s[10:11] offset:24 glc
	s_waitcnt vmcnt(0)
	buffer_wbinvl1_vol
	global_load_dwordx2 v[1:2], v0, s[10:11] offset:40
	global_load_dwordx2 v[8:9], v0, s[10:11]
	s_waitcnt vmcnt(1)
	v_and_b32_e32 v1, v1, v11
	v_and_b32_e32 v2, v2, v12
	v_mul_lo_u32 v2, v2, 24
	v_mul_hi_u32 v3, v1, 24
	v_mul_lo_u32 v1, v1, 24
	v_add_u32_e32 v2, v3, v2
	s_waitcnt vmcnt(0)
	v_add_co_u32_e32 v1, vcc, v8, v1
	v_addc_co_u32_e32 v2, vcc, v9, v2, vcc
	global_load_dwordx2 v[9:10], v[1:2], off glc
	s_waitcnt vmcnt(0)
	global_atomic_cmpswap_x2 v[9:10], v0, v[9:12], s[10:11] offset:24 glc
	s_waitcnt vmcnt(0)
	buffer_wbinvl1_vol
	v_cmp_ne_u64_e32 vcc, v[9:10], v[11:12]
	s_and_saveexec_b64 s[12:13], vcc
	s_cbranch_execz .LBB1_119
; %bb.116:
	s_mov_b64 s[14:15], 0
.LBB1_117:                              ; =>This Inner Loop Header: Depth=1
	s_sleep 1
	global_load_dwordx2 v[1:2], v0, s[10:11] offset:40
	global_load_dwordx2 v[13:14], v0, s[10:11]
	v_mov_b32_e32 v12, v10
	v_mov_b32_e32 v11, v9
	s_waitcnt vmcnt(1)
	v_and_b32_e32 v1, v1, v11
	s_waitcnt vmcnt(0)
	v_mad_u64_u32 v[8:9], s[16:17], v1, 24, v[13:14]
	v_and_b32_e32 v2, v2, v12
	v_mov_b32_e32 v1, v9
	v_mad_u64_u32 v[1:2], s[16:17], v2, 24, v[1:2]
	v_mov_b32_e32 v9, v1
	global_load_dwordx2 v[9:10], v[8:9], off glc
	s_waitcnt vmcnt(0)
	global_atomic_cmpswap_x2 v[9:10], v0, v[9:12], s[10:11] offset:24 glc
	s_waitcnt vmcnt(0)
	buffer_wbinvl1_vol
	v_cmp_eq_u64_e32 vcc, v[9:10], v[11:12]
	s_or_b64 s[14:15], vcc, s[14:15]
	s_andn2_b64 exec, exec, s[14:15]
	s_cbranch_execnz .LBB1_117
; %bb.118:
	s_or_b64 exec, exec, s[14:15]
.LBB1_119:
	s_or_b64 exec, exec, s[12:13]
.LBB1_120:
	s_or_b64 exec, exec, s[6:7]
	v_mov_b32_e32 v8, 0
	global_load_dwordx2 v[11:12], v8, s[10:11] offset:40
	global_load_dwordx4 v[0:3], v8, s[10:11]
	v_readfirstlane_b32 s7, v10
	v_readfirstlane_b32 s6, v9
	s_mov_b64 s[12:13], exec
	s_waitcnt vmcnt(1)
	v_readfirstlane_b32 s14, v11
	v_readfirstlane_b32 s15, v12
	s_and_b64 s[14:15], s[14:15], s[6:7]
	s_mul_i32 s16, s15, 24
	s_mul_hi_u32 s17, s14, 24
	s_mul_i32 s18, s14, 24
	s_add_i32 s16, s17, s16
	v_mov_b32_e32 v9, s16
	s_waitcnt vmcnt(0)
	v_add_co_u32_e32 v10, vcc, s18, v0
	v_addc_co_u32_e32 v11, vcc, v1, v9, vcc
	s_and_saveexec_b64 s[16:17], s[4:5]
	s_cbranch_execz .LBB1_122
; %bb.121:
	v_mov_b32_e32 v12, s12
	v_mov_b32_e32 v13, s13
	;; [unrolled: 1-line block ×4, first 2 shown]
	global_store_dwordx4 v[10:11], v[12:15], off offset:8
.LBB1_122:
	s_or_b64 exec, exec, s[16:17]
	s_lshl_b64 s[12:13], s[14:15], 12
	v_mov_b32_e32 v9, s13
	v_add_co_u32_e32 v2, vcc, s12, v2
	v_addc_co_u32_e32 v3, vcc, v3, v9, vcc
	s_movk_i32 s12, 0xff1f
	v_and_or_b32 v6, v6, s12, 32
	s_mov_b32 s12, 0
	v_mov_b32_e32 v9, v8
	v_readfirstlane_b32 s16, v2
	v_readfirstlane_b32 s17, v3
	v_add_co_u32_e32 v12, vcc, v2, v35
	s_mov_b32 s13, s12
	s_mov_b32 s14, s12
	;; [unrolled: 1-line block ×3, first 2 shown]
	s_nop 0
	global_store_dwordx4 v35, v[6:9], s[16:17]
	v_addc_co_u32_e32 v13, vcc, 0, v3, vcc
	v_mov_b32_e32 v6, s12
	v_mov_b32_e32 v7, s13
	;; [unrolled: 1-line block ×4, first 2 shown]
	global_store_dwordx4 v35, v[6:9], s[16:17] offset:16
	global_store_dwordx4 v35, v[6:9], s[16:17] offset:32
	;; [unrolled: 1-line block ×3, first 2 shown]
	s_and_saveexec_b64 s[12:13], s[4:5]
	s_cbranch_execz .LBB1_130
; %bb.123:
	v_mov_b32_e32 v8, 0
	global_load_dwordx2 v[16:17], v8, s[10:11] offset:32 glc
	global_load_dwordx2 v[2:3], v8, s[10:11] offset:40
	v_mov_b32_e32 v14, s6
	v_mov_b32_e32 v15, s7
	s_waitcnt vmcnt(0)
	v_readfirstlane_b32 s14, v2
	v_readfirstlane_b32 s15, v3
	s_and_b64 s[14:15], s[14:15], s[6:7]
	s_mul_i32 s15, s15, 24
	s_mul_hi_u32 s16, s14, 24
	s_mul_i32 s14, s14, 24
	s_add_i32 s15, s16, s15
	v_mov_b32_e32 v2, s15
	v_add_co_u32_e32 v6, vcc, s14, v0
	v_addc_co_u32_e32 v7, vcc, v1, v2, vcc
	global_store_dwordx2 v[6:7], v[16:17], off
	s_waitcnt vmcnt(0)
	global_atomic_cmpswap_x2 v[2:3], v8, v[14:17], s[10:11] offset:32 glc
	s_waitcnt vmcnt(0)
	v_cmp_ne_u64_e32 vcc, v[2:3], v[16:17]
	s_and_saveexec_b64 s[14:15], vcc
	s_cbranch_execz .LBB1_126
; %bb.124:
	s_mov_b64 s[16:17], 0
.LBB1_125:                              ; =>This Inner Loop Header: Depth=1
	s_sleep 1
	global_store_dwordx2 v[6:7], v[2:3], off
	v_mov_b32_e32 v0, s6
	v_mov_b32_e32 v1, s7
	s_waitcnt vmcnt(0)
	global_atomic_cmpswap_x2 v[0:1], v8, v[0:3], s[10:11] offset:32 glc
	s_waitcnt vmcnt(0)
	v_cmp_eq_u64_e32 vcc, v[0:1], v[2:3]
	v_mov_b32_e32 v3, v1
	s_or_b64 s[16:17], vcc, s[16:17]
	v_mov_b32_e32 v2, v0
	s_andn2_b64 exec, exec, s[16:17]
	s_cbranch_execnz .LBB1_125
.LBB1_126:
	s_or_b64 exec, exec, s[14:15]
	v_mov_b32_e32 v3, 0
	global_load_dwordx2 v[0:1], v3, s[10:11] offset:16
	s_mov_b64 s[14:15], exec
	v_mbcnt_lo_u32_b32 v2, s14, 0
	v_mbcnt_hi_u32_b32 v2, s15, v2
	v_cmp_eq_u32_e32 vcc, 0, v2
	s_and_saveexec_b64 s[16:17], vcc
	s_cbranch_execz .LBB1_128
; %bb.127:
	s_bcnt1_i32_b64 s14, s[14:15]
	v_mov_b32_e32 v2, s14
	s_waitcnt vmcnt(0)
	global_atomic_add_x2 v[0:1], v[2:3], off offset:8
.LBB1_128:
	s_or_b64 exec, exec, s[16:17]
	s_waitcnt vmcnt(0)
	global_load_dwordx2 v[2:3], v[0:1], off offset:16
	s_waitcnt vmcnt(0)
	v_cmp_eq_u64_e32 vcc, 0, v[2:3]
	s_cbranch_vccnz .LBB1_130
; %bb.129:
	global_load_dword v0, v[0:1], off offset:24
	v_mov_b32_e32 v1, 0
	s_waitcnt vmcnt(0)
	v_readfirstlane_b32 s14, v0
	s_and_b32 m0, s14, 0xffffff
	global_store_dwordx2 v[2:3], v[0:1], off
	s_sendmsg sendmsg(MSG_INTERRUPT)
.LBB1_130:
	s_or_b64 exec, exec, s[12:13]
	s_branch .LBB1_134
.LBB1_131:                              ;   in Loop: Header=BB1_134 Depth=1
	s_or_b64 exec, exec, s[12:13]
	v_readfirstlane_b32 s12, v0
	s_cmp_eq_u32 s12, 0
	s_cbranch_scc1 .LBB1_133
; %bb.132:                              ;   in Loop: Header=BB1_134 Depth=1
	s_sleep 1
	s_cbranch_execnz .LBB1_134
	s_branch .LBB1_136
.LBB1_133:
	s_branch .LBB1_136
.LBB1_134:                              ; =>This Inner Loop Header: Depth=1
	v_mov_b32_e32 v0, 1
	s_and_saveexec_b64 s[12:13], s[4:5]
	s_cbranch_execz .LBB1_131
; %bb.135:                              ;   in Loop: Header=BB1_134 Depth=1
	global_load_dword v0, v[10:11], off offset:20 glc
	s_waitcnt vmcnt(0)
	buffer_wbinvl1_vol
	v_and_b32_e32 v0, 1, v0
	s_branch .LBB1_131
.LBB1_136:
	global_load_dwordx2 v[0:1], v[12:13], off
	s_and_saveexec_b64 s[12:13], s[4:5]
	s_cbranch_execz .LBB1_139
; %bb.137:
	v_mov_b32_e32 v10, 0
	global_load_dwordx2 v[2:3], v10, s[10:11] offset:40
	global_load_dwordx2 v[13:14], v10, s[10:11] offset:24 glc
	global_load_dwordx2 v[6:7], v10, s[10:11]
	s_waitcnt vmcnt(2)
	v_readfirstlane_b32 s14, v2
	v_readfirstlane_b32 s15, v3
	s_add_u32 s16, s14, 1
	s_addc_u32 s17, s15, 0
	s_add_u32 s4, s16, s6
	s_addc_u32 s5, s17, s7
	s_cmp_eq_u64 s[4:5], 0
	s_cselect_b32 s5, s17, s5
	s_cselect_b32 s4, s16, s4
	s_and_b64 s[6:7], s[4:5], s[14:15]
	s_mul_i32 s7, s7, 24
	s_mul_hi_u32 s14, s6, 24
	s_mul_i32 s6, s6, 24
	s_add_i32 s7, s14, s7
	v_mov_b32_e32 v3, s7
	s_waitcnt vmcnt(0)
	v_add_co_u32_e32 v2, vcc, s6, v6
	v_addc_co_u32_e32 v3, vcc, v7, v3, vcc
	v_mov_b32_e32 v11, s4
	global_store_dwordx2 v[2:3], v[13:14], off
	v_mov_b32_e32 v12, s5
	s_waitcnt vmcnt(0)
	global_atomic_cmpswap_x2 v[8:9], v10, v[11:14], s[10:11] offset:24 glc
	s_mov_b64 s[6:7], 0
	s_waitcnt vmcnt(0)
	v_cmp_ne_u64_e32 vcc, v[8:9], v[13:14]
	s_and_b64 exec, exec, vcc
	s_cbranch_execz .LBB1_139
.LBB1_138:                              ; =>This Inner Loop Header: Depth=1
	s_sleep 1
	global_store_dwordx2 v[2:3], v[8:9], off
	v_mov_b32_e32 v6, s4
	v_mov_b32_e32 v7, s5
	s_waitcnt vmcnt(0)
	global_atomic_cmpswap_x2 v[6:7], v10, v[6:9], s[10:11] offset:24 glc
	s_waitcnt vmcnt(0)
	v_cmp_eq_u64_e32 vcc, v[6:7], v[8:9]
	v_mov_b32_e32 v9, v7
	s_or_b64 s[6:7], vcc, s[6:7]
	v_mov_b32_e32 v8, v6
	s_andn2_b64 exec, exec, s[6:7]
	s_cbranch_execnz .LBB1_138
.LBB1_139:
	s_or_b64 exec, exec, s[12:13]
.LBB1_140:
	s_getpc_b64 s[6:7]
	s_add_u32 s6, s6, .str.4@rel32@lo+4
	s_addc_u32 s7, s7, .str.4@rel32@hi+12
	s_cmp_lg_u64 s[6:7], 0
	s_cbranch_scc0 .LBB1_225
; %bb.141:
	s_getpc_b64 s[4:5]
	s_add_u32 s4, s4, .str.4@rel32@lo+80
	s_addc_u32 s5, s5, .str.4@rel32@hi+88
	s_sub_i32 s12, s4, s6
	s_ashr_i32 s13, s12, 31
	s_waitcnt vmcnt(0)
	v_and_b32_e32 v32, 2, v0
	v_mov_b32_e32 v3, 0
	v_and_b32_e32 v6, -3, v0
	v_mov_b32_e32 v7, v1
	v_mov_b32_e32 v12, 2
	;; [unrolled: 1-line block ×3, first 2 shown]
	s_branch .LBB1_143
.LBB1_142:                              ;   in Loop: Header=BB1_143 Depth=1
	s_or_b64 exec, exec, s[18:19]
	s_sub_u32 s12, s12, s14
	s_subb_u32 s13, s13, s15
	s_add_u32 s6, s6, s14
	s_addc_u32 s7, s7, s15
	s_cmp_lg_u64 s[12:13], 0
	s_cbranch_scc0 .LBB1_226
.LBB1_143:                              ; =>This Loop Header: Depth=1
                                        ;     Child Loop BB1_146 Depth 2
                                        ;     Child Loop BB1_154 Depth 2
                                        ;     Child Loop BB1_162 Depth 2
                                        ;     Child Loop BB1_170 Depth 2
                                        ;     Child Loop BB1_178 Depth 2
                                        ;     Child Loop BB1_186 Depth 2
                                        ;     Child Loop BB1_194 Depth 2
                                        ;     Child Loop BB1_202 Depth 2
                                        ;     Child Loop BB1_210 Depth 2
                                        ;     Child Loop BB1_219 Depth 2
                                        ;     Child Loop BB1_224 Depth 2
	v_cmp_lt_u64_e64 s[4:5], s[12:13], 56
	v_cmp_gt_u64_e64 s[16:17], s[12:13], 7
	s_and_b64 s[4:5], s[4:5], exec
	s_cselect_b32 s15, s13, 0
	s_cselect_b32 s14, s12, 56
	s_add_u32 s4, s6, 8
	s_addc_u32 s5, s7, 0
	s_and_b64 vcc, exec, s[16:17]
	s_cbranch_vccnz .LBB1_147
; %bb.144:                              ;   in Loop: Header=BB1_143 Depth=1
	s_cmp_eq_u64 s[12:13], 0
	s_cbranch_scc1 .LBB1_148
; %bb.145:                              ;   in Loop: Header=BB1_143 Depth=1
	v_mov_b32_e32 v8, 0
	s_lshl_b64 s[4:5], s[14:15], 3
	s_mov_b64 s[16:17], 0
	v_mov_b32_e32 v9, 0
	s_mov_b64 s[18:19], s[6:7]
.LBB1_146:                              ;   Parent Loop BB1_143 Depth=1
                                        ; =>  This Inner Loop Header: Depth=2
	global_load_ubyte v2, v3, s[18:19]
	s_waitcnt vmcnt(0)
	v_and_b32_e32 v2, 0xffff, v2
	v_lshlrev_b64 v[10:11], s16, v[2:3]
	s_add_u32 s16, s16, 8
	s_addc_u32 s17, s17, 0
	s_add_u32 s18, s18, 1
	s_addc_u32 s19, s19, 0
	v_or_b32_e32 v8, v10, v8
	s_cmp_lg_u32 s4, s16
	v_or_b32_e32 v9, v11, v9
	s_cbranch_scc1 .LBB1_146
	s_branch .LBB1_149
.LBB1_147:                              ;   in Loop: Header=BB1_143 Depth=1
	s_mov_b32 s20, 0
	s_branch .LBB1_150
.LBB1_148:                              ;   in Loop: Header=BB1_143 Depth=1
	v_mov_b32_e32 v8, 0
	v_mov_b32_e32 v9, 0
.LBB1_149:                              ;   in Loop: Header=BB1_143 Depth=1
	s_mov_b64 s[4:5], s[6:7]
	s_mov_b32 s20, 0
	s_cbranch_execnz .LBB1_151
.LBB1_150:                              ;   in Loop: Header=BB1_143 Depth=1
	global_load_dwordx2 v[8:9], v3, s[6:7]
	s_add_i32 s20, s14, -8
.LBB1_151:                              ;   in Loop: Header=BB1_143 Depth=1
	s_add_u32 s16, s4, 8
	s_addc_u32 s17, s5, 0
	s_cmp_gt_u32 s20, 7
	s_cbranch_scc1 .LBB1_155
; %bb.152:                              ;   in Loop: Header=BB1_143 Depth=1
	s_cmp_eq_u32 s20, 0
	s_cbranch_scc1 .LBB1_156
; %bb.153:                              ;   in Loop: Header=BB1_143 Depth=1
	v_mov_b32_e32 v14, 0
	s_mov_b64 s[16:17], 0
	v_mov_b32_e32 v15, 0
	s_mov_b64 s[18:19], 0
.LBB1_154:                              ;   Parent Loop BB1_143 Depth=1
                                        ; =>  This Inner Loop Header: Depth=2
	s_add_u32 s22, s4, s18
	s_addc_u32 s23, s5, s19
	global_load_ubyte v2, v3, s[22:23]
	s_add_u32 s18, s18, 1
	s_addc_u32 s19, s19, 0
	s_waitcnt vmcnt(0)
	v_and_b32_e32 v2, 0xffff, v2
	v_lshlrev_b64 v[10:11], s16, v[2:3]
	s_add_u32 s16, s16, 8
	s_addc_u32 s17, s17, 0
	v_or_b32_e32 v14, v10, v14
	s_cmp_lg_u32 s20, s18
	v_or_b32_e32 v15, v11, v15
	s_cbranch_scc1 .LBB1_154
	s_branch .LBB1_157
.LBB1_155:                              ;   in Loop: Header=BB1_143 Depth=1
                                        ; implicit-def: $vgpr14_vgpr15
	s_mov_b32 s21, 0
	s_branch .LBB1_158
.LBB1_156:                              ;   in Loop: Header=BB1_143 Depth=1
	v_mov_b32_e32 v14, 0
	v_mov_b32_e32 v15, 0
.LBB1_157:                              ;   in Loop: Header=BB1_143 Depth=1
	s_mov_b64 s[16:17], s[4:5]
	s_mov_b32 s21, 0
	s_cbranch_execnz .LBB1_159
.LBB1_158:                              ;   in Loop: Header=BB1_143 Depth=1
	global_load_dwordx2 v[14:15], v3, s[4:5]
	s_add_i32 s21, s20, -8
.LBB1_159:                              ;   in Loop: Header=BB1_143 Depth=1
	s_add_u32 s4, s16, 8
	s_addc_u32 s5, s17, 0
	s_cmp_gt_u32 s21, 7
	s_cbranch_scc1 .LBB1_163
; %bb.160:                              ;   in Loop: Header=BB1_143 Depth=1
	s_cmp_eq_u32 s21, 0
	s_cbranch_scc1 .LBB1_164
; %bb.161:                              ;   in Loop: Header=BB1_143 Depth=1
	v_mov_b32_e32 v16, 0
	s_mov_b64 s[4:5], 0
	v_mov_b32_e32 v17, 0
	s_mov_b64 s[18:19], 0
.LBB1_162:                              ;   Parent Loop BB1_143 Depth=1
                                        ; =>  This Inner Loop Header: Depth=2
	s_add_u32 s22, s16, s18
	s_addc_u32 s23, s17, s19
	global_load_ubyte v2, v3, s[22:23]
	s_add_u32 s18, s18, 1
	s_addc_u32 s19, s19, 0
	s_waitcnt vmcnt(0)
	v_and_b32_e32 v2, 0xffff, v2
	v_lshlrev_b64 v[10:11], s4, v[2:3]
	s_add_u32 s4, s4, 8
	s_addc_u32 s5, s5, 0
	v_or_b32_e32 v16, v10, v16
	s_cmp_lg_u32 s21, s18
	v_or_b32_e32 v17, v11, v17
	s_cbranch_scc1 .LBB1_162
	s_branch .LBB1_165
.LBB1_163:                              ;   in Loop: Header=BB1_143 Depth=1
	s_mov_b32 s20, 0
	s_branch .LBB1_166
.LBB1_164:                              ;   in Loop: Header=BB1_143 Depth=1
	v_mov_b32_e32 v16, 0
	v_mov_b32_e32 v17, 0
.LBB1_165:                              ;   in Loop: Header=BB1_143 Depth=1
	s_mov_b64 s[4:5], s[16:17]
	s_mov_b32 s20, 0
	s_cbranch_execnz .LBB1_167
.LBB1_166:                              ;   in Loop: Header=BB1_143 Depth=1
	global_load_dwordx2 v[16:17], v3, s[16:17]
	s_add_i32 s20, s21, -8
.LBB1_167:                              ;   in Loop: Header=BB1_143 Depth=1
	s_add_u32 s16, s4, 8
	s_addc_u32 s17, s5, 0
	s_cmp_gt_u32 s20, 7
	s_cbranch_scc1 .LBB1_171
; %bb.168:                              ;   in Loop: Header=BB1_143 Depth=1
	s_cmp_eq_u32 s20, 0
	s_cbranch_scc1 .LBB1_172
; %bb.169:                              ;   in Loop: Header=BB1_143 Depth=1
	v_mov_b32_e32 v18, 0
	s_mov_b64 s[16:17], 0
	v_mov_b32_e32 v19, 0
	s_mov_b64 s[18:19], 0
.LBB1_170:                              ;   Parent Loop BB1_143 Depth=1
                                        ; =>  This Inner Loop Header: Depth=2
	s_add_u32 s22, s4, s18
	s_addc_u32 s23, s5, s19
	global_load_ubyte v2, v3, s[22:23]
	s_add_u32 s18, s18, 1
	s_addc_u32 s19, s19, 0
	s_waitcnt vmcnt(0)
	v_and_b32_e32 v2, 0xffff, v2
	v_lshlrev_b64 v[10:11], s16, v[2:3]
	s_add_u32 s16, s16, 8
	s_addc_u32 s17, s17, 0
	v_or_b32_e32 v18, v10, v18
	s_cmp_lg_u32 s20, s18
	v_or_b32_e32 v19, v11, v19
	s_cbranch_scc1 .LBB1_170
	s_branch .LBB1_173
.LBB1_171:                              ;   in Loop: Header=BB1_143 Depth=1
                                        ; implicit-def: $vgpr18_vgpr19
	s_mov_b32 s21, 0
	s_branch .LBB1_174
.LBB1_172:                              ;   in Loop: Header=BB1_143 Depth=1
	v_mov_b32_e32 v18, 0
	v_mov_b32_e32 v19, 0
.LBB1_173:                              ;   in Loop: Header=BB1_143 Depth=1
	s_mov_b64 s[16:17], s[4:5]
	s_mov_b32 s21, 0
	s_cbranch_execnz .LBB1_175
.LBB1_174:                              ;   in Loop: Header=BB1_143 Depth=1
	global_load_dwordx2 v[18:19], v3, s[4:5]
	s_add_i32 s21, s20, -8
.LBB1_175:                              ;   in Loop: Header=BB1_143 Depth=1
	s_add_u32 s4, s16, 8
	s_addc_u32 s5, s17, 0
	s_cmp_gt_u32 s21, 7
	s_cbranch_scc1 .LBB1_179
; %bb.176:                              ;   in Loop: Header=BB1_143 Depth=1
	s_cmp_eq_u32 s21, 0
	s_cbranch_scc1 .LBB1_180
; %bb.177:                              ;   in Loop: Header=BB1_143 Depth=1
	v_mov_b32_e32 v20, 0
	s_mov_b64 s[4:5], 0
	v_mov_b32_e32 v21, 0
	s_mov_b64 s[18:19], 0
.LBB1_178:                              ;   Parent Loop BB1_143 Depth=1
                                        ; =>  This Inner Loop Header: Depth=2
	s_add_u32 s22, s16, s18
	s_addc_u32 s23, s17, s19
	global_load_ubyte v2, v3, s[22:23]
	s_add_u32 s18, s18, 1
	s_addc_u32 s19, s19, 0
	s_waitcnt vmcnt(0)
	v_and_b32_e32 v2, 0xffff, v2
	v_lshlrev_b64 v[10:11], s4, v[2:3]
	s_add_u32 s4, s4, 8
	s_addc_u32 s5, s5, 0
	v_or_b32_e32 v20, v10, v20
	s_cmp_lg_u32 s21, s18
	v_or_b32_e32 v21, v11, v21
	s_cbranch_scc1 .LBB1_178
	s_branch .LBB1_181
.LBB1_179:                              ;   in Loop: Header=BB1_143 Depth=1
	s_mov_b32 s20, 0
	s_branch .LBB1_182
.LBB1_180:                              ;   in Loop: Header=BB1_143 Depth=1
	v_mov_b32_e32 v20, 0
	v_mov_b32_e32 v21, 0
.LBB1_181:                              ;   in Loop: Header=BB1_143 Depth=1
	s_mov_b64 s[4:5], s[16:17]
	s_mov_b32 s20, 0
	s_cbranch_execnz .LBB1_183
.LBB1_182:                              ;   in Loop: Header=BB1_143 Depth=1
	global_load_dwordx2 v[20:21], v3, s[16:17]
	s_add_i32 s20, s21, -8
.LBB1_183:                              ;   in Loop: Header=BB1_143 Depth=1
	s_add_u32 s16, s4, 8
	s_addc_u32 s17, s5, 0
	s_cmp_gt_u32 s20, 7
	s_cbranch_scc1 .LBB1_187
; %bb.184:                              ;   in Loop: Header=BB1_143 Depth=1
	s_cmp_eq_u32 s20, 0
	s_cbranch_scc1 .LBB1_188
; %bb.185:                              ;   in Loop: Header=BB1_143 Depth=1
	v_mov_b32_e32 v22, 0
	s_mov_b64 s[16:17], 0
	v_mov_b32_e32 v23, 0
	s_mov_b64 s[18:19], 0
.LBB1_186:                              ;   Parent Loop BB1_143 Depth=1
                                        ; =>  This Inner Loop Header: Depth=2
	s_add_u32 s22, s4, s18
	s_addc_u32 s23, s5, s19
	global_load_ubyte v2, v3, s[22:23]
	s_add_u32 s18, s18, 1
	s_addc_u32 s19, s19, 0
	s_waitcnt vmcnt(0)
	v_and_b32_e32 v2, 0xffff, v2
	v_lshlrev_b64 v[10:11], s16, v[2:3]
	s_add_u32 s16, s16, 8
	s_addc_u32 s17, s17, 0
	v_or_b32_e32 v22, v10, v22
	s_cmp_lg_u32 s20, s18
	v_or_b32_e32 v23, v11, v23
	s_cbranch_scc1 .LBB1_186
	s_branch .LBB1_189
.LBB1_187:                              ;   in Loop: Header=BB1_143 Depth=1
                                        ; implicit-def: $vgpr22_vgpr23
	s_mov_b32 s21, 0
	s_branch .LBB1_190
.LBB1_188:                              ;   in Loop: Header=BB1_143 Depth=1
	v_mov_b32_e32 v22, 0
	v_mov_b32_e32 v23, 0
.LBB1_189:                              ;   in Loop: Header=BB1_143 Depth=1
	s_mov_b64 s[16:17], s[4:5]
	s_mov_b32 s21, 0
	s_cbranch_execnz .LBB1_191
.LBB1_190:                              ;   in Loop: Header=BB1_143 Depth=1
	global_load_dwordx2 v[22:23], v3, s[4:5]
	s_add_i32 s21, s20, -8
.LBB1_191:                              ;   in Loop: Header=BB1_143 Depth=1
	s_cmp_gt_u32 s21, 7
	s_cbranch_scc1 .LBB1_195
; %bb.192:                              ;   in Loop: Header=BB1_143 Depth=1
	s_cmp_eq_u32 s21, 0
	s_cbranch_scc1 .LBB1_196
; %bb.193:                              ;   in Loop: Header=BB1_143 Depth=1
	v_mov_b32_e32 v24, 0
	s_mov_b64 s[4:5], 0
	v_mov_b32_e32 v25, 0
	s_mov_b64 s[18:19], s[16:17]
.LBB1_194:                              ;   Parent Loop BB1_143 Depth=1
                                        ; =>  This Inner Loop Header: Depth=2
	global_load_ubyte v2, v3, s[18:19]
	s_add_i32 s21, s21, -1
	s_waitcnt vmcnt(0)
	v_and_b32_e32 v2, 0xffff, v2
	v_lshlrev_b64 v[10:11], s4, v[2:3]
	s_add_u32 s4, s4, 8
	s_addc_u32 s5, s5, 0
	s_add_u32 s18, s18, 1
	s_addc_u32 s19, s19, 0
	v_or_b32_e32 v24, v10, v24
	s_cmp_lg_u32 s21, 0
	v_or_b32_e32 v25, v11, v25
	s_cbranch_scc1 .LBB1_194
	s_branch .LBB1_197
.LBB1_195:                              ;   in Loop: Header=BB1_143 Depth=1
	s_branch .LBB1_198
.LBB1_196:                              ;   in Loop: Header=BB1_143 Depth=1
	v_mov_b32_e32 v24, 0
	v_mov_b32_e32 v25, 0
.LBB1_197:                              ;   in Loop: Header=BB1_143 Depth=1
	s_cbranch_execnz .LBB1_199
.LBB1_198:                              ;   in Loop: Header=BB1_143 Depth=1
	global_load_dwordx2 v[24:25], v3, s[16:17]
.LBB1_199:                              ;   in Loop: Header=BB1_143 Depth=1
	v_readfirstlane_b32 s4, v34
	v_mov_b32_e32 v10, 0
	v_mov_b32_e32 v11, 0
	v_cmp_eq_u32_e64 s[4:5], s4, v34
	s_and_saveexec_b64 s[16:17], s[4:5]
	s_cbranch_execz .LBB1_205
; %bb.200:                              ;   in Loop: Header=BB1_143 Depth=1
	global_load_dwordx2 v[28:29], v3, s[10:11] offset:24 glc
	s_waitcnt vmcnt(0)
	buffer_wbinvl1_vol
	global_load_dwordx2 v[10:11], v3, s[10:11] offset:40
	global_load_dwordx2 v[26:27], v3, s[10:11]
	s_waitcnt vmcnt(1)
	v_and_b32_e32 v2, v10, v28
	v_and_b32_e32 v10, v11, v29
	v_mul_lo_u32 v10, v10, 24
	v_mul_hi_u32 v11, v2, 24
	v_mul_lo_u32 v2, v2, 24
	v_add_u32_e32 v11, v11, v10
	s_waitcnt vmcnt(0)
	v_add_co_u32_e32 v10, vcc, v26, v2
	v_addc_co_u32_e32 v11, vcc, v27, v11, vcc
	global_load_dwordx2 v[26:27], v[10:11], off glc
	s_waitcnt vmcnt(0)
	global_atomic_cmpswap_x2 v[10:11], v3, v[26:29], s[10:11] offset:24 glc
	s_waitcnt vmcnt(0)
	buffer_wbinvl1_vol
	v_cmp_ne_u64_e32 vcc, v[10:11], v[28:29]
	s_and_saveexec_b64 s[18:19], vcc
	s_cbranch_execz .LBB1_204
; %bb.201:                              ;   in Loop: Header=BB1_143 Depth=1
	s_mov_b64 s[20:21], 0
.LBB1_202:                              ;   Parent Loop BB1_143 Depth=1
                                        ; =>  This Inner Loop Header: Depth=2
	s_sleep 1
	global_load_dwordx2 v[26:27], v3, s[10:11] offset:40
	global_load_dwordx2 v[30:31], v3, s[10:11]
	v_mov_b32_e32 v29, v11
	v_mov_b32_e32 v28, v10
	s_waitcnt vmcnt(1)
	v_and_b32_e32 v2, v26, v28
	s_waitcnt vmcnt(0)
	v_mad_u64_u32 v[10:11], s[22:23], v2, 24, v[30:31]
	v_and_b32_e32 v26, v27, v29
	v_mov_b32_e32 v2, v11
	v_mad_u64_u32 v[26:27], s[22:23], v26, 24, v[2:3]
	v_mov_b32_e32 v11, v26
	global_load_dwordx2 v[26:27], v[10:11], off glc
	s_waitcnt vmcnt(0)
	global_atomic_cmpswap_x2 v[10:11], v3, v[26:29], s[10:11] offset:24 glc
	s_waitcnt vmcnt(0)
	buffer_wbinvl1_vol
	v_cmp_eq_u64_e32 vcc, v[10:11], v[28:29]
	s_or_b64 s[20:21], vcc, s[20:21]
	s_andn2_b64 exec, exec, s[20:21]
	s_cbranch_execnz .LBB1_202
; %bb.203:                              ;   in Loop: Header=BB1_143 Depth=1
	s_or_b64 exec, exec, s[20:21]
.LBB1_204:                              ;   in Loop: Header=BB1_143 Depth=1
	s_or_b64 exec, exec, s[18:19]
.LBB1_205:                              ;   in Loop: Header=BB1_143 Depth=1
	s_or_b64 exec, exec, s[16:17]
	global_load_dwordx2 v[30:31], v3, s[10:11] offset:40
	global_load_dwordx4 v[26:29], v3, s[10:11]
	v_readfirstlane_b32 s17, v11
	v_readfirstlane_b32 s16, v10
	s_mov_b64 s[18:19], exec
	s_waitcnt vmcnt(1)
	v_readfirstlane_b32 s20, v30
	v_readfirstlane_b32 s21, v31
	s_and_b64 s[20:21], s[20:21], s[16:17]
	s_mul_i32 s22, s21, 24
	s_mul_hi_u32 s23, s20, 24
	s_mul_i32 s24, s20, 24
	s_add_i32 s22, s23, s22
	v_mov_b32_e32 v2, s22
	s_waitcnt vmcnt(0)
	v_add_co_u32_e32 v30, vcc, s24, v26
	v_addc_co_u32_e32 v31, vcc, v27, v2, vcc
	s_and_saveexec_b64 s[22:23], s[4:5]
	s_cbranch_execz .LBB1_207
; %bb.206:                              ;   in Loop: Header=BB1_143 Depth=1
	v_mov_b32_e32 v10, s18
	v_mov_b32_e32 v11, s19
	global_store_dwordx4 v[30:31], v[10:13], off offset:8
.LBB1_207:                              ;   in Loop: Header=BB1_143 Depth=1
	s_or_b64 exec, exec, s[22:23]
	s_lshl_b64 s[18:19], s[20:21], 12
	v_mov_b32_e32 v2, s19
	v_add_co_u32_e32 v28, vcc, s18, v28
	v_addc_co_u32_e32 v29, vcc, v29, v2, vcc
	v_cmp_lt_u64_e64 vcc, s[12:13], 57
	s_lshl_b32 s18, s14, 2
	v_cndmask_b32_e32 v2, 0, v32, vcc
	s_add_i32 s18, s18, 28
	v_and_b32_e32 v6, 0xffffff1f, v6
	s_and_b32 s18, s18, 0x1e0
	v_or_b32_e32 v2, v6, v2
	v_or_b32_e32 v6, s18, v2
	v_readfirstlane_b32 s18, v28
	v_readfirstlane_b32 s19, v29
	s_nop 4
	global_store_dwordx4 v35, v[6:9], s[18:19]
	global_store_dwordx4 v35, v[14:17], s[18:19] offset:16
	global_store_dwordx4 v35, v[18:21], s[18:19] offset:32
	;; [unrolled: 1-line block ×3, first 2 shown]
	s_and_saveexec_b64 s[18:19], s[4:5]
	s_cbranch_execz .LBB1_215
; %bb.208:                              ;   in Loop: Header=BB1_143 Depth=1
	global_load_dwordx2 v[16:17], v3, s[10:11] offset:32 glc
	global_load_dwordx2 v[6:7], v3, s[10:11] offset:40
	v_mov_b32_e32 v14, s16
	v_mov_b32_e32 v15, s17
	s_waitcnt vmcnt(0)
	v_readfirstlane_b32 s20, v6
	v_readfirstlane_b32 s21, v7
	s_and_b64 s[20:21], s[20:21], s[16:17]
	s_mul_i32 s21, s21, 24
	s_mul_hi_u32 s22, s20, 24
	s_mul_i32 s20, s20, 24
	s_add_i32 s21, s22, s21
	v_mov_b32_e32 v2, s21
	v_add_co_u32_e32 v10, vcc, s20, v26
	v_addc_co_u32_e32 v11, vcc, v27, v2, vcc
	global_store_dwordx2 v[10:11], v[16:17], off
	s_waitcnt vmcnt(0)
	global_atomic_cmpswap_x2 v[8:9], v3, v[14:17], s[10:11] offset:32 glc
	s_waitcnt vmcnt(0)
	v_cmp_ne_u64_e32 vcc, v[8:9], v[16:17]
	s_and_saveexec_b64 s[20:21], vcc
	s_cbranch_execz .LBB1_211
; %bb.209:                              ;   in Loop: Header=BB1_143 Depth=1
	s_mov_b64 s[22:23], 0
.LBB1_210:                              ;   Parent Loop BB1_143 Depth=1
                                        ; =>  This Inner Loop Header: Depth=2
	s_sleep 1
	global_store_dwordx2 v[10:11], v[8:9], off
	v_mov_b32_e32 v6, s16
	v_mov_b32_e32 v7, s17
	s_waitcnt vmcnt(0)
	global_atomic_cmpswap_x2 v[6:7], v3, v[6:9], s[10:11] offset:32 glc
	s_waitcnt vmcnt(0)
	v_cmp_eq_u64_e32 vcc, v[6:7], v[8:9]
	v_mov_b32_e32 v9, v7
	s_or_b64 s[22:23], vcc, s[22:23]
	v_mov_b32_e32 v8, v6
	s_andn2_b64 exec, exec, s[22:23]
	s_cbranch_execnz .LBB1_210
.LBB1_211:                              ;   in Loop: Header=BB1_143 Depth=1
	s_or_b64 exec, exec, s[20:21]
	global_load_dwordx2 v[6:7], v3, s[10:11] offset:16
	s_mov_b64 s[22:23], exec
	v_mbcnt_lo_u32_b32 v2, s22, 0
	v_mbcnt_hi_u32_b32 v2, s23, v2
	v_cmp_eq_u32_e32 vcc, 0, v2
	s_and_saveexec_b64 s[20:21], vcc
	s_cbranch_execz .LBB1_213
; %bb.212:                              ;   in Loop: Header=BB1_143 Depth=1
	s_bcnt1_i32_b64 s22, s[22:23]
	v_mov_b32_e32 v2, s22
	s_waitcnt vmcnt(0)
	global_atomic_add_x2 v[6:7], v[2:3], off offset:8
.LBB1_213:                              ;   in Loop: Header=BB1_143 Depth=1
	s_or_b64 exec, exec, s[20:21]
	s_waitcnt vmcnt(0)
	global_load_dwordx2 v[8:9], v[6:7], off offset:16
	s_waitcnt vmcnt(0)
	v_cmp_eq_u64_e32 vcc, 0, v[8:9]
	s_cbranch_vccnz .LBB1_215
; %bb.214:                              ;   in Loop: Header=BB1_143 Depth=1
	global_load_dword v2, v[6:7], off offset:24
	s_waitcnt vmcnt(0)
	v_readfirstlane_b32 s20, v2
	s_and_b32 m0, s20, 0xffffff
	global_store_dwordx2 v[8:9], v[2:3], off
	s_sendmsg sendmsg(MSG_INTERRUPT)
.LBB1_215:                              ;   in Loop: Header=BB1_143 Depth=1
	s_or_b64 exec, exec, s[18:19]
	v_add_co_u32_e32 v6, vcc, v28, v35
	v_addc_co_u32_e32 v7, vcc, 0, v29, vcc
	s_branch .LBB1_219
.LBB1_216:                              ;   in Loop: Header=BB1_219 Depth=2
	s_or_b64 exec, exec, s[18:19]
	v_readfirstlane_b32 s18, v2
	s_cmp_eq_u32 s18, 0
	s_cbranch_scc1 .LBB1_218
; %bb.217:                              ;   in Loop: Header=BB1_219 Depth=2
	s_sleep 1
	s_cbranch_execnz .LBB1_219
	s_branch .LBB1_221
.LBB1_218:                              ;   in Loop: Header=BB1_143 Depth=1
	s_branch .LBB1_221
.LBB1_219:                              ;   Parent Loop BB1_143 Depth=1
                                        ; =>  This Inner Loop Header: Depth=2
	v_mov_b32_e32 v2, 1
	s_and_saveexec_b64 s[18:19], s[4:5]
	s_cbranch_execz .LBB1_216
; %bb.220:                              ;   in Loop: Header=BB1_219 Depth=2
	global_load_dword v2, v[30:31], off offset:20 glc
	s_waitcnt vmcnt(0)
	buffer_wbinvl1_vol
	v_and_b32_e32 v2, 1, v2
	s_branch .LBB1_216
.LBB1_221:                              ;   in Loop: Header=BB1_143 Depth=1
	global_load_dwordx2 v[6:7], v[6:7], off
	s_and_saveexec_b64 s[18:19], s[4:5]
	s_cbranch_execz .LBB1_142
; %bb.222:                              ;   in Loop: Header=BB1_143 Depth=1
	global_load_dwordx2 v[8:9], v3, s[10:11] offset:40
	global_load_dwordx2 v[18:19], v3, s[10:11] offset:24 glc
	global_load_dwordx2 v[10:11], v3, s[10:11]
	s_waitcnt vmcnt(2)
	v_readfirstlane_b32 s20, v8
	v_readfirstlane_b32 s21, v9
	s_add_u32 s22, s20, 1
	s_addc_u32 s23, s21, 0
	s_add_u32 s4, s22, s16
	s_addc_u32 s5, s23, s17
	s_cmp_eq_u64 s[4:5], 0
	s_cselect_b32 s5, s23, s5
	s_cselect_b32 s4, s22, s4
	s_and_b64 s[16:17], s[4:5], s[20:21]
	s_mul_i32 s17, s17, 24
	s_mul_hi_u32 s20, s16, 24
	s_mul_i32 s16, s16, 24
	s_add_i32 s17, s20, s17
	v_mov_b32_e32 v2, s17
	s_waitcnt vmcnt(0)
	v_add_co_u32_e32 v14, vcc, s16, v10
	v_addc_co_u32_e32 v15, vcc, v11, v2, vcc
	v_mov_b32_e32 v16, s4
	global_store_dwordx2 v[14:15], v[18:19], off
	v_mov_b32_e32 v17, s5
	s_waitcnt vmcnt(0)
	global_atomic_cmpswap_x2 v[10:11], v3, v[16:19], s[10:11] offset:24 glc
	s_waitcnt vmcnt(0)
	v_cmp_ne_u64_e32 vcc, v[10:11], v[18:19]
	s_and_b64 exec, exec, vcc
	s_cbranch_execz .LBB1_142
; %bb.223:                              ;   in Loop: Header=BB1_143 Depth=1
	s_mov_b64 s[16:17], 0
.LBB1_224:                              ;   Parent Loop BB1_143 Depth=1
                                        ; =>  This Inner Loop Header: Depth=2
	s_sleep 1
	global_store_dwordx2 v[14:15], v[10:11], off
	v_mov_b32_e32 v8, s4
	v_mov_b32_e32 v9, s5
	s_waitcnt vmcnt(0)
	global_atomic_cmpswap_x2 v[8:9], v3, v[8:11], s[10:11] offset:24 glc
	s_waitcnt vmcnt(0)
	v_cmp_eq_u64_e32 vcc, v[8:9], v[10:11]
	v_mov_b32_e32 v11, v9
	s_or_b64 s[16:17], vcc, s[16:17]
	v_mov_b32_e32 v10, v8
	s_andn2_b64 exec, exec, s[16:17]
	s_cbranch_execnz .LBB1_224
	s_branch .LBB1_142
.LBB1_225:
                                        ; implicit-def: $vgpr6_vgpr7
	s_cbranch_execnz .LBB1_227
	s_branch .LBB1_253
.LBB1_226:
	s_branch .LBB1_253
.LBB1_227:
	v_readfirstlane_b32 s4, v34
	v_mov_b32_e32 v10, 0
	v_mov_b32_e32 v11, 0
	v_cmp_eq_u32_e64 s[4:5], s4, v34
	s_and_saveexec_b64 s[6:7], s[4:5]
	s_cbranch_execz .LBB1_233
; %bb.228:
	v_mov_b32_e32 v2, 0
	global_load_dwordx2 v[8:9], v2, s[10:11] offset:24 glc
	s_waitcnt vmcnt(0)
	buffer_wbinvl1_vol
	global_load_dwordx2 v[6:7], v2, s[10:11] offset:40
	global_load_dwordx2 v[10:11], v2, s[10:11]
	s_waitcnt vmcnt(1)
	v_and_b32_e32 v3, v6, v8
	v_and_b32_e32 v6, v7, v9
	v_mul_lo_u32 v6, v6, 24
	v_mul_hi_u32 v7, v3, 24
	v_mul_lo_u32 v3, v3, 24
	v_add_u32_e32 v7, v7, v6
	s_waitcnt vmcnt(0)
	v_add_co_u32_e32 v6, vcc, v10, v3
	v_addc_co_u32_e32 v7, vcc, v11, v7, vcc
	global_load_dwordx2 v[6:7], v[6:7], off glc
	s_waitcnt vmcnt(0)
	global_atomic_cmpswap_x2 v[10:11], v2, v[6:9], s[10:11] offset:24 glc
	s_waitcnt vmcnt(0)
	buffer_wbinvl1_vol
	v_cmp_ne_u64_e32 vcc, v[10:11], v[8:9]
	s_and_saveexec_b64 s[12:13], vcc
	s_cbranch_execz .LBB1_232
; %bb.229:
	s_mov_b64 s[14:15], 0
.LBB1_230:                              ; =>This Inner Loop Header: Depth=1
	s_sleep 1
	global_load_dwordx2 v[6:7], v2, s[10:11] offset:40
	global_load_dwordx2 v[12:13], v2, s[10:11]
	v_mov_b32_e32 v8, v10
	v_mov_b32_e32 v9, v11
	s_waitcnt vmcnt(1)
	v_and_b32_e32 v3, v6, v8
	s_waitcnt vmcnt(0)
	v_mad_u64_u32 v[10:11], s[16:17], v3, 24, v[12:13]
	v_and_b32_e32 v6, v7, v9
	v_mov_b32_e32 v3, v11
	v_mad_u64_u32 v[6:7], s[16:17], v6, 24, v[3:4]
	v_mov_b32_e32 v11, v6
	global_load_dwordx2 v[6:7], v[10:11], off glc
	s_waitcnt vmcnt(0)
	global_atomic_cmpswap_x2 v[10:11], v2, v[6:9], s[10:11] offset:24 glc
	s_waitcnt vmcnt(0)
	buffer_wbinvl1_vol
	v_cmp_eq_u64_e32 vcc, v[10:11], v[8:9]
	s_or_b64 s[14:15], vcc, s[14:15]
	s_andn2_b64 exec, exec, s[14:15]
	s_cbranch_execnz .LBB1_230
; %bb.231:
	s_or_b64 exec, exec, s[14:15]
.LBB1_232:
	s_or_b64 exec, exec, s[12:13]
.LBB1_233:
	s_or_b64 exec, exec, s[6:7]
	v_mov_b32_e32 v2, 0
	global_load_dwordx2 v[12:13], v2, s[10:11] offset:40
	global_load_dwordx4 v[6:9], v2, s[10:11]
	v_readfirstlane_b32 s7, v11
	v_readfirstlane_b32 s6, v10
	s_mov_b64 s[12:13], exec
	s_waitcnt vmcnt(1)
	v_readfirstlane_b32 s14, v12
	v_readfirstlane_b32 s15, v13
	s_and_b64 s[14:15], s[14:15], s[6:7]
	s_mul_i32 s16, s15, 24
	s_mul_hi_u32 s17, s14, 24
	s_mul_i32 s18, s14, 24
	s_add_i32 s16, s17, s16
	v_mov_b32_e32 v3, s16
	s_waitcnt vmcnt(0)
	v_add_co_u32_e32 v10, vcc, s18, v6
	v_addc_co_u32_e32 v11, vcc, v7, v3, vcc
	s_and_saveexec_b64 s[16:17], s[4:5]
	s_cbranch_execz .LBB1_235
; %bb.234:
	v_mov_b32_e32 v12, s12
	v_mov_b32_e32 v13, s13
	v_mov_b32_e32 v14, 2
	v_mov_b32_e32 v15, 1
	global_store_dwordx4 v[10:11], v[12:15], off offset:8
.LBB1_235:
	s_or_b64 exec, exec, s[16:17]
	s_lshl_b64 s[12:13], s[14:15], 12
	v_mov_b32_e32 v3, s13
	v_add_co_u32_e32 v12, vcc, s12, v8
	v_addc_co_u32_e32 v13, vcc, v9, v3, vcc
	s_movk_i32 s12, 0xff1f
	v_and_or_b32 v0, v0, s12, 32
	s_mov_b32 s12, 0
	v_mov_b32_e32 v3, v2
	v_readfirstlane_b32 s16, v12
	v_readfirstlane_b32 s17, v13
	v_add_co_u32_e32 v8, vcc, v12, v35
	s_mov_b32 s13, s12
	s_mov_b32 s14, s12
	;; [unrolled: 1-line block ×3, first 2 shown]
	s_nop 0
	global_store_dwordx4 v35, v[0:3], s[16:17]
	v_addc_co_u32_e32 v9, vcc, 0, v13, vcc
	v_mov_b32_e32 v0, s12
	v_mov_b32_e32 v1, s13
	;; [unrolled: 1-line block ×4, first 2 shown]
	global_store_dwordx4 v35, v[0:3], s[16:17] offset:16
	global_store_dwordx4 v35, v[0:3], s[16:17] offset:32
	;; [unrolled: 1-line block ×3, first 2 shown]
	s_and_saveexec_b64 s[12:13], s[4:5]
	s_cbranch_execz .LBB1_243
; %bb.236:
	v_mov_b32_e32 v12, 0
	global_load_dwordx2 v[15:16], v12, s[10:11] offset:32 glc
	global_load_dwordx2 v[0:1], v12, s[10:11] offset:40
	v_mov_b32_e32 v13, s6
	v_mov_b32_e32 v14, s7
	s_waitcnt vmcnt(0)
	v_readfirstlane_b32 s14, v0
	v_readfirstlane_b32 s15, v1
	s_and_b64 s[14:15], s[14:15], s[6:7]
	s_mul_i32 s15, s15, 24
	s_mul_hi_u32 s16, s14, 24
	s_mul_i32 s14, s14, 24
	s_add_i32 s15, s16, s15
	v_mov_b32_e32 v0, s15
	v_add_co_u32_e32 v6, vcc, s14, v6
	v_addc_co_u32_e32 v7, vcc, v7, v0, vcc
	global_store_dwordx2 v[6:7], v[15:16], off
	s_waitcnt vmcnt(0)
	global_atomic_cmpswap_x2 v[2:3], v12, v[13:16], s[10:11] offset:32 glc
	s_waitcnt vmcnt(0)
	v_cmp_ne_u64_e32 vcc, v[2:3], v[15:16]
	s_and_saveexec_b64 s[14:15], vcc
	s_cbranch_execz .LBB1_239
; %bb.237:
	s_mov_b64 s[16:17], 0
.LBB1_238:                              ; =>This Inner Loop Header: Depth=1
	s_sleep 1
	global_store_dwordx2 v[6:7], v[2:3], off
	v_mov_b32_e32 v0, s6
	v_mov_b32_e32 v1, s7
	s_waitcnt vmcnt(0)
	global_atomic_cmpswap_x2 v[0:1], v12, v[0:3], s[10:11] offset:32 glc
	s_waitcnt vmcnt(0)
	v_cmp_eq_u64_e32 vcc, v[0:1], v[2:3]
	v_mov_b32_e32 v3, v1
	s_or_b64 s[16:17], vcc, s[16:17]
	v_mov_b32_e32 v2, v0
	s_andn2_b64 exec, exec, s[16:17]
	s_cbranch_execnz .LBB1_238
.LBB1_239:
	s_or_b64 exec, exec, s[14:15]
	v_mov_b32_e32 v3, 0
	global_load_dwordx2 v[0:1], v3, s[10:11] offset:16
	s_mov_b64 s[14:15], exec
	v_mbcnt_lo_u32_b32 v2, s14, 0
	v_mbcnt_hi_u32_b32 v2, s15, v2
	v_cmp_eq_u32_e32 vcc, 0, v2
	s_and_saveexec_b64 s[16:17], vcc
	s_cbranch_execz .LBB1_241
; %bb.240:
	s_bcnt1_i32_b64 s14, s[14:15]
	v_mov_b32_e32 v2, s14
	s_waitcnt vmcnt(0)
	global_atomic_add_x2 v[0:1], v[2:3], off offset:8
.LBB1_241:
	s_or_b64 exec, exec, s[16:17]
	s_waitcnt vmcnt(0)
	global_load_dwordx2 v[2:3], v[0:1], off offset:16
	s_waitcnt vmcnt(0)
	v_cmp_eq_u64_e32 vcc, 0, v[2:3]
	s_cbranch_vccnz .LBB1_243
; %bb.242:
	global_load_dword v0, v[0:1], off offset:24
	v_mov_b32_e32 v1, 0
	s_waitcnt vmcnt(0)
	v_readfirstlane_b32 s14, v0
	s_and_b32 m0, s14, 0xffffff
	global_store_dwordx2 v[2:3], v[0:1], off
	s_sendmsg sendmsg(MSG_INTERRUPT)
.LBB1_243:
	s_or_b64 exec, exec, s[12:13]
	s_branch .LBB1_247
.LBB1_244:                              ;   in Loop: Header=BB1_247 Depth=1
	s_or_b64 exec, exec, s[12:13]
	v_readfirstlane_b32 s12, v0
	s_cmp_eq_u32 s12, 0
	s_cbranch_scc1 .LBB1_246
; %bb.245:                              ;   in Loop: Header=BB1_247 Depth=1
	s_sleep 1
	s_cbranch_execnz .LBB1_247
	s_branch .LBB1_249
.LBB1_246:
	s_branch .LBB1_249
.LBB1_247:                              ; =>This Inner Loop Header: Depth=1
	v_mov_b32_e32 v0, 1
	s_and_saveexec_b64 s[12:13], s[4:5]
	s_cbranch_execz .LBB1_244
; %bb.248:                              ;   in Loop: Header=BB1_247 Depth=1
	global_load_dword v0, v[10:11], off offset:20 glc
	s_waitcnt vmcnt(0)
	buffer_wbinvl1_vol
	v_and_b32_e32 v0, 1, v0
	s_branch .LBB1_244
.LBB1_249:
	global_load_dwordx2 v[6:7], v[8:9], off
	s_and_saveexec_b64 s[12:13], s[4:5]
	s_cbranch_execz .LBB1_252
; %bb.250:
	v_mov_b32_e32 v10, 0
	global_load_dwordx2 v[0:1], v10, s[10:11] offset:40
	global_load_dwordx2 v[13:14], v10, s[10:11] offset:24 glc
	global_load_dwordx2 v[2:3], v10, s[10:11]
	s_waitcnt vmcnt(2)
	v_readfirstlane_b32 s14, v0
	v_readfirstlane_b32 s15, v1
	s_add_u32 s16, s14, 1
	s_addc_u32 s17, s15, 0
	s_add_u32 s4, s16, s6
	s_addc_u32 s5, s17, s7
	s_cmp_eq_u64 s[4:5], 0
	s_cselect_b32 s5, s17, s5
	s_cselect_b32 s4, s16, s4
	s_and_b64 s[6:7], s[4:5], s[14:15]
	s_mul_i32 s7, s7, 24
	s_mul_hi_u32 s14, s6, 24
	s_mul_i32 s6, s6, 24
	s_add_i32 s7, s14, s7
	v_mov_b32_e32 v0, s7
	s_waitcnt vmcnt(0)
	v_add_co_u32_e32 v8, vcc, s6, v2
	v_addc_co_u32_e32 v9, vcc, v3, v0, vcc
	v_mov_b32_e32 v11, s4
	global_store_dwordx2 v[8:9], v[13:14], off
	v_mov_b32_e32 v12, s5
	s_waitcnt vmcnt(0)
	global_atomic_cmpswap_x2 v[2:3], v10, v[11:14], s[10:11] offset:24 glc
	s_mov_b64 s[6:7], 0
	s_waitcnt vmcnt(0)
	v_cmp_ne_u64_e32 vcc, v[2:3], v[13:14]
	s_and_b64 exec, exec, vcc
	s_cbranch_execz .LBB1_252
.LBB1_251:                              ; =>This Inner Loop Header: Depth=1
	s_sleep 1
	global_store_dwordx2 v[8:9], v[2:3], off
	v_mov_b32_e32 v0, s4
	v_mov_b32_e32 v1, s5
	s_waitcnt vmcnt(0)
	global_atomic_cmpswap_x2 v[0:1], v10, v[0:3], s[10:11] offset:24 glc
	s_waitcnt vmcnt(0)
	v_cmp_eq_u64_e32 vcc, v[0:1], v[2:3]
	v_mov_b32_e32 v3, v1
	s_or_b64 s[6:7], vcc, s[6:7]
	v_mov_b32_e32 v2, v0
	s_andn2_b64 exec, exec, s[6:7]
	s_cbranch_execnz .LBB1_251
.LBB1_252:
	s_or_b64 exec, exec, s[12:13]
.LBB1_253:
	v_readfirstlane_b32 s4, v34
	v_mov_b32_e32 v10, 0
	v_mov_b32_e32 v11, 0
	v_cmp_eq_u32_e64 s[4:5], s4, v34
	s_and_saveexec_b64 s[6:7], s[4:5]
	s_cbranch_execz .LBB1_259
; %bb.254:
	s_waitcnt vmcnt(0)
	v_mov_b32_e32 v0, 0
	global_load_dwordx2 v[12:13], v0, s[10:11] offset:24 glc
	s_waitcnt vmcnt(0)
	buffer_wbinvl1_vol
	global_load_dwordx2 v[1:2], v0, s[10:11] offset:40
	global_load_dwordx2 v[8:9], v0, s[10:11]
	s_waitcnt vmcnt(1)
	v_and_b32_e32 v1, v1, v12
	v_and_b32_e32 v2, v2, v13
	v_mul_lo_u32 v2, v2, 24
	v_mul_hi_u32 v3, v1, 24
	v_mul_lo_u32 v1, v1, 24
	v_add_u32_e32 v2, v3, v2
	s_waitcnt vmcnt(0)
	v_add_co_u32_e32 v1, vcc, v8, v1
	v_addc_co_u32_e32 v2, vcc, v9, v2, vcc
	global_load_dwordx2 v[10:11], v[1:2], off glc
	s_waitcnt vmcnt(0)
	global_atomic_cmpswap_x2 v[10:11], v0, v[10:13], s[10:11] offset:24 glc
	s_waitcnt vmcnt(0)
	buffer_wbinvl1_vol
	v_cmp_ne_u64_e32 vcc, v[10:11], v[12:13]
	s_and_saveexec_b64 s[12:13], vcc
	s_cbranch_execz .LBB1_258
; %bb.255:
	s_mov_b64 s[14:15], 0
.LBB1_256:                              ; =>This Inner Loop Header: Depth=1
	s_sleep 1
	global_load_dwordx2 v[1:2], v0, s[10:11] offset:40
	global_load_dwordx2 v[8:9], v0, s[10:11]
	v_mov_b32_e32 v13, v11
	v_mov_b32_e32 v12, v10
	s_waitcnt vmcnt(1)
	v_and_b32_e32 v1, v1, v12
	s_waitcnt vmcnt(0)
	v_mad_u64_u32 v[8:9], s[16:17], v1, 24, v[8:9]
	v_and_b32_e32 v2, v2, v13
	v_mov_b32_e32 v1, v9
	v_mad_u64_u32 v[1:2], s[16:17], v2, 24, v[1:2]
	v_mov_b32_e32 v9, v1
	global_load_dwordx2 v[10:11], v[8:9], off glc
	s_waitcnt vmcnt(0)
	global_atomic_cmpswap_x2 v[10:11], v0, v[10:13], s[10:11] offset:24 glc
	s_waitcnt vmcnt(0)
	buffer_wbinvl1_vol
	v_cmp_eq_u64_e32 vcc, v[10:11], v[12:13]
	s_or_b64 s[14:15], vcc, s[14:15]
	s_andn2_b64 exec, exec, s[14:15]
	s_cbranch_execnz .LBB1_256
; %bb.257:
	s_or_b64 exec, exec, s[14:15]
.LBB1_258:
	s_or_b64 exec, exec, s[12:13]
.LBB1_259:
	s_or_b64 exec, exec, s[6:7]
	v_mov_b32_e32 v9, 0
	global_load_dwordx2 v[12:13], v9, s[10:11] offset:40
	global_load_dwordx4 v[0:3], v9, s[10:11]
	v_readfirstlane_b32 s7, v11
	v_readfirstlane_b32 s6, v10
	s_mov_b64 s[12:13], exec
	s_waitcnt vmcnt(1)
	v_readfirstlane_b32 s14, v12
	v_readfirstlane_b32 s15, v13
	s_and_b64 s[14:15], s[14:15], s[6:7]
	s_mul_i32 s16, s15, 24
	s_mul_hi_u32 s17, s14, 24
	s_mul_i32 s18, s14, 24
	s_add_i32 s16, s17, s16
	v_mov_b32_e32 v8, s16
	s_waitcnt vmcnt(0)
	v_add_co_u32_e32 v10, vcc, s18, v0
	v_addc_co_u32_e32 v11, vcc, v1, v8, vcc
	s_and_saveexec_b64 s[16:17], s[4:5]
	s_cbranch_execz .LBB1_261
; %bb.260:
	v_mov_b32_e32 v12, s12
	v_mov_b32_e32 v13, s13
	v_mov_b32_e32 v14, 2
	v_mov_b32_e32 v15, 1
	global_store_dwordx4 v[10:11], v[12:15], off offset:8
.LBB1_261:
	s_or_b64 exec, exec, s[16:17]
	s_lshl_b64 s[12:13], s[14:15], 12
	v_mov_b32_e32 v8, s13
	v_add_co_u32_e32 v2, vcc, s12, v2
	v_addc_co_u32_e32 v3, vcc, v3, v8, vcc
	s_movk_i32 s12, 0xff1f
	v_and_or_b32 v6, v6, s12, 32
	s_mov_b32 s12, 0
	v_mov_b32_e32 v8, 0x331
	v_readfirstlane_b32 s16, v2
	v_readfirstlane_b32 s17, v3
	v_add_co_u32_e32 v12, vcc, v2, v35
	s_mov_b32 s13, s12
	s_mov_b32 s14, s12
	;; [unrolled: 1-line block ×3, first 2 shown]
	s_nop 0
	global_store_dwordx4 v35, v[6:9], s[16:17]
	v_addc_co_u32_e32 v13, vcc, 0, v3, vcc
	v_mov_b32_e32 v6, s12
	v_mov_b32_e32 v7, s13
	;; [unrolled: 1-line block ×4, first 2 shown]
	global_store_dwordx4 v35, v[6:9], s[16:17] offset:16
	global_store_dwordx4 v35, v[6:9], s[16:17] offset:32
	;; [unrolled: 1-line block ×3, first 2 shown]
	s_and_saveexec_b64 s[12:13], s[4:5]
	s_cbranch_execz .LBB1_269
; %bb.262:
	v_mov_b32_e32 v8, 0
	global_load_dwordx2 v[16:17], v8, s[10:11] offset:32 glc
	global_load_dwordx2 v[2:3], v8, s[10:11] offset:40
	v_mov_b32_e32 v14, s6
	v_mov_b32_e32 v15, s7
	s_waitcnt vmcnt(0)
	v_readfirstlane_b32 s14, v2
	v_readfirstlane_b32 s15, v3
	s_and_b64 s[14:15], s[14:15], s[6:7]
	s_mul_i32 s15, s15, 24
	s_mul_hi_u32 s16, s14, 24
	s_mul_i32 s14, s14, 24
	s_add_i32 s15, s16, s15
	v_mov_b32_e32 v2, s15
	v_add_co_u32_e32 v6, vcc, s14, v0
	v_addc_co_u32_e32 v7, vcc, v1, v2, vcc
	global_store_dwordx2 v[6:7], v[16:17], off
	s_waitcnt vmcnt(0)
	global_atomic_cmpswap_x2 v[2:3], v8, v[14:17], s[10:11] offset:32 glc
	s_waitcnt vmcnt(0)
	v_cmp_ne_u64_e32 vcc, v[2:3], v[16:17]
	s_and_saveexec_b64 s[14:15], vcc
	s_cbranch_execz .LBB1_265
; %bb.263:
	s_mov_b64 s[16:17], 0
.LBB1_264:                              ; =>This Inner Loop Header: Depth=1
	s_sleep 1
	global_store_dwordx2 v[6:7], v[2:3], off
	v_mov_b32_e32 v0, s6
	v_mov_b32_e32 v1, s7
	s_waitcnt vmcnt(0)
	global_atomic_cmpswap_x2 v[0:1], v8, v[0:3], s[10:11] offset:32 glc
	s_waitcnt vmcnt(0)
	v_cmp_eq_u64_e32 vcc, v[0:1], v[2:3]
	v_mov_b32_e32 v3, v1
	s_or_b64 s[16:17], vcc, s[16:17]
	v_mov_b32_e32 v2, v0
	s_andn2_b64 exec, exec, s[16:17]
	s_cbranch_execnz .LBB1_264
.LBB1_265:
	s_or_b64 exec, exec, s[14:15]
	v_mov_b32_e32 v3, 0
	global_load_dwordx2 v[0:1], v3, s[10:11] offset:16
	s_mov_b64 s[14:15], exec
	v_mbcnt_lo_u32_b32 v2, s14, 0
	v_mbcnt_hi_u32_b32 v2, s15, v2
	v_cmp_eq_u32_e32 vcc, 0, v2
	s_and_saveexec_b64 s[16:17], vcc
	s_cbranch_execz .LBB1_267
; %bb.266:
	s_bcnt1_i32_b64 s14, s[14:15]
	v_mov_b32_e32 v2, s14
	s_waitcnt vmcnt(0)
	global_atomic_add_x2 v[0:1], v[2:3], off offset:8
.LBB1_267:
	s_or_b64 exec, exec, s[16:17]
	s_waitcnt vmcnt(0)
	global_load_dwordx2 v[2:3], v[0:1], off offset:16
	s_waitcnt vmcnt(0)
	v_cmp_eq_u64_e32 vcc, 0, v[2:3]
	s_cbranch_vccnz .LBB1_269
; %bb.268:
	global_load_dword v0, v[0:1], off offset:24
	v_mov_b32_e32 v1, 0
	s_waitcnt vmcnt(0)
	v_readfirstlane_b32 s14, v0
	s_and_b32 m0, s14, 0xffffff
	global_store_dwordx2 v[2:3], v[0:1], off
	s_sendmsg sendmsg(MSG_INTERRUPT)
.LBB1_269:
	s_or_b64 exec, exec, s[12:13]
	s_branch .LBB1_273
.LBB1_270:                              ;   in Loop: Header=BB1_273 Depth=1
	s_or_b64 exec, exec, s[12:13]
	v_readfirstlane_b32 s12, v0
	s_cmp_eq_u32 s12, 0
	s_cbranch_scc1 .LBB1_272
; %bb.271:                              ;   in Loop: Header=BB1_273 Depth=1
	s_sleep 1
	s_cbranch_execnz .LBB1_273
	s_branch .LBB1_275
.LBB1_272:
	s_branch .LBB1_275
.LBB1_273:                              ; =>This Inner Loop Header: Depth=1
	v_mov_b32_e32 v0, 1
	s_and_saveexec_b64 s[12:13], s[4:5]
	s_cbranch_execz .LBB1_270
; %bb.274:                              ;   in Loop: Header=BB1_273 Depth=1
	global_load_dword v0, v[10:11], off offset:20 glc
	s_waitcnt vmcnt(0)
	buffer_wbinvl1_vol
	v_and_b32_e32 v0, 1, v0
	s_branch .LBB1_270
.LBB1_275:
	global_load_dwordx2 v[0:1], v[12:13], off
	s_and_saveexec_b64 s[12:13], s[4:5]
	s_cbranch_execz .LBB1_278
; %bb.276:
	v_mov_b32_e32 v10, 0
	global_load_dwordx2 v[2:3], v10, s[10:11] offset:40
	global_load_dwordx2 v[13:14], v10, s[10:11] offset:24 glc
	global_load_dwordx2 v[6:7], v10, s[10:11]
	s_waitcnt vmcnt(2)
	v_readfirstlane_b32 s14, v2
	v_readfirstlane_b32 s15, v3
	s_add_u32 s16, s14, 1
	s_addc_u32 s17, s15, 0
	s_add_u32 s4, s16, s6
	s_addc_u32 s5, s17, s7
	s_cmp_eq_u64 s[4:5], 0
	s_cselect_b32 s5, s17, s5
	s_cselect_b32 s4, s16, s4
	s_and_b64 s[6:7], s[4:5], s[14:15]
	s_mul_i32 s7, s7, 24
	s_mul_hi_u32 s14, s6, 24
	s_mul_i32 s6, s6, 24
	s_add_i32 s7, s14, s7
	v_mov_b32_e32 v3, s7
	s_waitcnt vmcnt(0)
	v_add_co_u32_e32 v2, vcc, s6, v6
	v_addc_co_u32_e32 v3, vcc, v7, v3, vcc
	v_mov_b32_e32 v11, s4
	global_store_dwordx2 v[2:3], v[13:14], off
	v_mov_b32_e32 v12, s5
	s_waitcnt vmcnt(0)
	global_atomic_cmpswap_x2 v[8:9], v10, v[11:14], s[10:11] offset:24 glc
	s_mov_b64 s[6:7], 0
	s_waitcnt vmcnt(0)
	v_cmp_ne_u64_e32 vcc, v[8:9], v[13:14]
	s_and_b64 exec, exec, vcc
	s_cbranch_execz .LBB1_278
.LBB1_277:                              ; =>This Inner Loop Header: Depth=1
	s_sleep 1
	global_store_dwordx2 v[2:3], v[8:9], off
	v_mov_b32_e32 v6, s4
	v_mov_b32_e32 v7, s5
	s_waitcnt vmcnt(0)
	global_atomic_cmpswap_x2 v[6:7], v10, v[6:9], s[10:11] offset:24 glc
	s_waitcnt vmcnt(0)
	v_cmp_eq_u64_e32 vcc, v[6:7], v[8:9]
	v_mov_b32_e32 v9, v7
	s_or_b64 s[6:7], vcc, s[6:7]
	v_mov_b32_e32 v8, v6
	s_andn2_b64 exec, exec, s[6:7]
	s_cbranch_execnz .LBB1_277
.LBB1_278:
	s_or_b64 exec, exec, s[12:13]
	v_mov_b32_e32 v7, v5
	s_mov_b64 s[4:5], 0
	v_mov_b32_e32 v6, v4
.LBB1_279:                              ; =>This Inner Loop Header: Depth=1
	global_load_ubyte v8, v[6:7], off
	v_add_co_u32_e32 v2, vcc, 1, v6
	v_addc_co_u32_e32 v3, vcc, 0, v7, vcc
	v_mov_b32_e32 v7, v3
	v_mov_b32_e32 v6, v2
	s_waitcnt vmcnt(0)
	v_cmp_eq_u16_e32 vcc, 0, v8
	s_or_b64 s[4:5], vcc, s[4:5]
	s_andn2_b64 exec, exec, s[4:5]
	s_cbranch_execnz .LBB1_279
; %bb.280:
	s_or_b64 exec, exec, s[4:5]
	v_cmp_ne_u64_e32 vcc, 0, v[4:5]
	s_mov_b64 s[12:13], 0
	s_and_saveexec_b64 s[4:5], vcc
	s_xor_b64 s[6:7], exec, s[4:5]
	s_cbranch_execz .LBB1_366
; %bb.281:
	v_sub_u32_e32 v26, v2, v4
	v_ashrrev_i32_e32 v27, 31, v26
	v_and_b32_e32 v36, 2, v0
	v_mov_b32_e32 v29, 0
	v_and_b32_e32 v0, -3, v0
	s_mov_b32 s22, 0
	s_movk_i32 s23, 0x1e0
	v_mov_b32_e32 v8, 2
	v_mov_b32_e32 v9, 1
	s_branch .LBB1_283
.LBB1_282:                              ;   in Loop: Header=BB1_283 Depth=1
	s_or_b64 exec, exec, s[16:17]
	v_sub_co_u32_e32 v26, vcc, v26, v30
	v_subb_co_u32_e32 v27, vcc, v27, v31, vcc
	v_cmp_eq_u64_e32 vcc, 0, v[26:27]
	s_or_b64 s[12:13], vcc, s[12:13]
	v_add_co_u32_e32 v4, vcc, v4, v30
	v_addc_co_u32_e32 v5, vcc, v5, v31, vcc
	s_andn2_b64 exec, exec, s[12:13]
	s_cbranch_execz .LBB1_365
.LBB1_283:                              ; =>This Loop Header: Depth=1
                                        ;     Child Loop BB1_286 Depth 2
                                        ;     Child Loop BB1_294 Depth 2
	;; [unrolled: 1-line block ×11, first 2 shown]
	v_cmp_gt_u64_e32 vcc, 56, v[26:27]
	v_add_co_u32_e64 v12, s[4:5], 8, v4
	v_cndmask_b32_e32 v31, 0, v27, vcc
	v_cndmask_b32_e32 v30, 56, v26, vcc
	v_cmp_gt_u64_e32 vcc, 8, v[26:27]
	v_addc_co_u32_e64 v13, s[4:5], 0, v5, s[4:5]
	s_and_saveexec_b64 s[4:5], vcc
	s_xor_b64 s[4:5], exec, s[4:5]
	s_cbranch_execz .LBB1_289
; %bb.284:                              ;   in Loop: Header=BB1_283 Depth=1
	v_mov_b32_e32 v2, 0
	v_cmp_ne_u64_e32 vcc, 0, v[26:27]
	v_mov_b32_e32 v3, 0
	s_and_saveexec_b64 s[14:15], vcc
	s_cbranch_execz .LBB1_288
; %bb.285:                              ;   in Loop: Header=BB1_283 Depth=1
	v_lshlrev_b64 v[6:7], 3, v[30:31]
	v_mov_b32_e32 v2, 0
	v_mov_b32_e32 v11, v5
	s_mov_b64 s[16:17], 0
	v_mov_b32_e32 v3, 0
	v_mov_b32_e32 v10, v4
	s_mov_b64 s[18:19], 0
.LBB1_286:                              ;   Parent Loop BB1_283 Depth=1
                                        ; =>  This Inner Loop Header: Depth=2
	global_load_ubyte v7, v[10:11], off
	v_mov_b32_e32 v13, s22
	v_add_co_u32_e32 v10, vcc, 1, v10
	v_addc_co_u32_e32 v11, vcc, 0, v11, vcc
	s_waitcnt vmcnt(0)
	v_and_b32_e32 v12, 0xffff, v7
	v_lshlrev_b64 v[12:13], s18, v[12:13]
	s_add_u32 s18, s18, 8
	s_addc_u32 s19, s19, 0
	v_cmp_eq_u32_e32 vcc, s18, v6
	v_or_b32_e32 v3, v13, v3
	s_or_b64 s[16:17], vcc, s[16:17]
	v_or_b32_e32 v2, v12, v2
	s_andn2_b64 exec, exec, s[16:17]
	s_cbranch_execnz .LBB1_286
; %bb.287:                              ;   in Loop: Header=BB1_283 Depth=1
	s_or_b64 exec, exec, s[16:17]
.LBB1_288:                              ;   in Loop: Header=BB1_283 Depth=1
	s_or_b64 exec, exec, s[14:15]
	v_mov_b32_e32 v13, v5
	v_mov_b32_e32 v12, v4
.LBB1_289:                              ;   in Loop: Header=BB1_283 Depth=1
	s_or_saveexec_b64 s[4:5], s[4:5]
	v_mov_b32_e32 v14, 0
	s_xor_b64 exec, exec, s[4:5]
	s_cbranch_execz .LBB1_291
; %bb.290:                              ;   in Loop: Header=BB1_283 Depth=1
	global_load_dwordx2 v[2:3], v[4:5], off
	v_add_u32_e32 v14, -8, v30
.LBB1_291:                              ;   in Loop: Header=BB1_283 Depth=1
	s_or_b64 exec, exec, s[4:5]
	v_add_co_u32_e64 v6, s[4:5], 8, v12
	v_cmp_gt_u32_e32 vcc, 8, v14
	v_addc_co_u32_e64 v7, s[4:5], 0, v13, s[4:5]
                                        ; implicit-def: $vgpr10_vgpr11
	s_and_saveexec_b64 s[4:5], vcc
	s_xor_b64 s[4:5], exec, s[4:5]
	s_cbranch_execz .LBB1_297
; %bb.292:                              ;   in Loop: Header=BB1_283 Depth=1
	v_mov_b32_e32 v10, 0
	v_mov_b32_e32 v11, 0
	v_cmp_ne_u32_e32 vcc, 0, v14
	s_and_saveexec_b64 s[14:15], vcc
	s_cbranch_execz .LBB1_296
; %bb.293:                              ;   in Loop: Header=BB1_283 Depth=1
	v_mov_b32_e32 v10, 0
	s_mov_b64 s[16:17], 0
	v_mov_b32_e32 v11, 0
	s_mov_b64 s[18:19], 0
	s_mov_b64 s[20:21], 0
.LBB1_294:                              ;   Parent Loop BB1_283 Depth=1
                                        ; =>  This Inner Loop Header: Depth=2
	v_mov_b32_e32 v7, s21
	v_add_co_u32_e32 v6, vcc, s20, v12
	v_addc_co_u32_e32 v7, vcc, v13, v7, vcc
	global_load_ubyte v6, v[6:7], off
	s_add_u32 s20, s20, 1
	v_mov_b32_e32 v7, s22
	s_addc_u32 s21, s21, 0
	v_cmp_eq_u32_e32 vcc, s20, v14
	s_waitcnt vmcnt(0)
	v_and_b32_e32 v6, 0xffff, v6
	v_lshlrev_b64 v[6:7], s18, v[6:7]
	s_add_u32 s18, s18, 8
	s_addc_u32 s19, s19, 0
	v_or_b32_e32 v11, v7, v11
	s_or_b64 s[16:17], vcc, s[16:17]
	v_or_b32_e32 v10, v6, v10
	s_andn2_b64 exec, exec, s[16:17]
	s_cbranch_execnz .LBB1_294
; %bb.295:                              ;   in Loop: Header=BB1_283 Depth=1
	s_or_b64 exec, exec, s[16:17]
.LBB1_296:                              ;   in Loop: Header=BB1_283 Depth=1
	s_or_b64 exec, exec, s[14:15]
	v_mov_b32_e32 v6, v12
	v_mov_b32_e32 v7, v13
                                        ; implicit-def: $vgpr14
.LBB1_297:                              ;   in Loop: Header=BB1_283 Depth=1
	s_or_saveexec_b64 s[4:5], s[4:5]
	v_mov_b32_e32 v15, 0
	s_xor_b64 exec, exec, s[4:5]
	s_cbranch_execz .LBB1_299
; %bb.298:                              ;   in Loop: Header=BB1_283 Depth=1
	global_load_dwordx2 v[10:11], v[12:13], off
	v_add_u32_e32 v15, -8, v14
.LBB1_299:                              ;   in Loop: Header=BB1_283 Depth=1
	s_or_b64 exec, exec, s[4:5]
	v_add_co_u32_e64 v16, s[4:5], 8, v6
	v_cmp_gt_u32_e32 vcc, 8, v15
	v_addc_co_u32_e64 v17, s[4:5], 0, v7, s[4:5]
	s_and_saveexec_b64 s[4:5], vcc
	s_xor_b64 s[4:5], exec, s[4:5]
	s_cbranch_execz .LBB1_305
; %bb.300:                              ;   in Loop: Header=BB1_283 Depth=1
	v_mov_b32_e32 v12, 0
	v_mov_b32_e32 v13, 0
	v_cmp_ne_u32_e32 vcc, 0, v15
	s_and_saveexec_b64 s[14:15], vcc
	s_cbranch_execz .LBB1_304
; %bb.301:                              ;   in Loop: Header=BB1_283 Depth=1
	v_mov_b32_e32 v12, 0
	s_mov_b64 s[16:17], 0
	v_mov_b32_e32 v13, 0
	s_mov_b64 s[18:19], 0
	s_mov_b64 s[20:21], 0
.LBB1_302:                              ;   Parent Loop BB1_283 Depth=1
                                        ; =>  This Inner Loop Header: Depth=2
	v_mov_b32_e32 v14, s21
	v_add_co_u32_e32 v16, vcc, s20, v6
	v_addc_co_u32_e32 v17, vcc, v7, v14, vcc
	global_load_ubyte v14, v[16:17], off
	s_add_u32 s20, s20, 1
	v_mov_b32_e32 v17, s22
	s_addc_u32 s21, s21, 0
	v_cmp_eq_u32_e32 vcc, s20, v15
	s_waitcnt vmcnt(0)
	v_and_b32_e32 v16, 0xffff, v14
	v_lshlrev_b64 v[16:17], s18, v[16:17]
	s_add_u32 s18, s18, 8
	s_addc_u32 s19, s19, 0
	v_or_b32_e32 v13, v17, v13
	s_or_b64 s[16:17], vcc, s[16:17]
	v_or_b32_e32 v12, v16, v12
	s_andn2_b64 exec, exec, s[16:17]
	s_cbranch_execnz .LBB1_302
; %bb.303:                              ;   in Loop: Header=BB1_283 Depth=1
	s_or_b64 exec, exec, s[16:17]
.LBB1_304:                              ;   in Loop: Header=BB1_283 Depth=1
	s_or_b64 exec, exec, s[14:15]
	v_mov_b32_e32 v17, v7
	v_mov_b32_e32 v16, v6
                                        ; implicit-def: $vgpr15
.LBB1_305:                              ;   in Loop: Header=BB1_283 Depth=1
	s_or_saveexec_b64 s[4:5], s[4:5]
	v_mov_b32_e32 v18, 0
	s_xor_b64 exec, exec, s[4:5]
	s_cbranch_execz .LBB1_307
; %bb.306:                              ;   in Loop: Header=BB1_283 Depth=1
	global_load_dwordx2 v[12:13], v[6:7], off
	v_add_u32_e32 v18, -8, v15
.LBB1_307:                              ;   in Loop: Header=BB1_283 Depth=1
	s_or_b64 exec, exec, s[4:5]
	v_add_co_u32_e64 v6, s[4:5], 8, v16
	v_cmp_gt_u32_e32 vcc, 8, v18
	v_addc_co_u32_e64 v7, s[4:5], 0, v17, s[4:5]
                                        ; implicit-def: $vgpr14_vgpr15
	s_and_saveexec_b64 s[4:5], vcc
	s_xor_b64 s[4:5], exec, s[4:5]
	s_cbranch_execz .LBB1_313
; %bb.308:                              ;   in Loop: Header=BB1_283 Depth=1
	v_mov_b32_e32 v14, 0
	v_mov_b32_e32 v15, 0
	v_cmp_ne_u32_e32 vcc, 0, v18
	s_and_saveexec_b64 s[14:15], vcc
	s_cbranch_execz .LBB1_312
; %bb.309:                              ;   in Loop: Header=BB1_283 Depth=1
	v_mov_b32_e32 v14, 0
	s_mov_b64 s[16:17], 0
	v_mov_b32_e32 v15, 0
	s_mov_b64 s[18:19], 0
	s_mov_b64 s[20:21], 0
.LBB1_310:                              ;   Parent Loop BB1_283 Depth=1
                                        ; =>  This Inner Loop Header: Depth=2
	v_mov_b32_e32 v7, s21
	v_add_co_u32_e32 v6, vcc, s20, v16
	v_addc_co_u32_e32 v7, vcc, v17, v7, vcc
	global_load_ubyte v6, v[6:7], off
	s_add_u32 s20, s20, 1
	v_mov_b32_e32 v7, s22
	s_addc_u32 s21, s21, 0
	v_cmp_eq_u32_e32 vcc, s20, v18
	s_waitcnt vmcnt(0)
	v_and_b32_e32 v6, 0xffff, v6
	v_lshlrev_b64 v[6:7], s18, v[6:7]
	s_add_u32 s18, s18, 8
	s_addc_u32 s19, s19, 0
	v_or_b32_e32 v15, v7, v15
	s_or_b64 s[16:17], vcc, s[16:17]
	v_or_b32_e32 v14, v6, v14
	s_andn2_b64 exec, exec, s[16:17]
	s_cbranch_execnz .LBB1_310
; %bb.311:                              ;   in Loop: Header=BB1_283 Depth=1
	s_or_b64 exec, exec, s[16:17]
.LBB1_312:                              ;   in Loop: Header=BB1_283 Depth=1
	s_or_b64 exec, exec, s[14:15]
	v_mov_b32_e32 v6, v16
	v_mov_b32_e32 v7, v17
                                        ; implicit-def: $vgpr18
.LBB1_313:                              ;   in Loop: Header=BB1_283 Depth=1
	s_or_saveexec_b64 s[4:5], s[4:5]
	v_mov_b32_e32 v19, 0
	s_xor_b64 exec, exec, s[4:5]
	s_cbranch_execz .LBB1_315
; %bb.314:                              ;   in Loop: Header=BB1_283 Depth=1
	global_load_dwordx2 v[14:15], v[16:17], off
	v_add_u32_e32 v19, -8, v18
.LBB1_315:                              ;   in Loop: Header=BB1_283 Depth=1
	s_or_b64 exec, exec, s[4:5]
	v_add_co_u32_e64 v20, s[4:5], 8, v6
	v_cmp_gt_u32_e32 vcc, 8, v19
	v_addc_co_u32_e64 v21, s[4:5], 0, v7, s[4:5]
	s_and_saveexec_b64 s[4:5], vcc
	s_xor_b64 s[4:5], exec, s[4:5]
	s_cbranch_execz .LBB1_321
; %bb.316:                              ;   in Loop: Header=BB1_283 Depth=1
	v_mov_b32_e32 v16, 0
	v_mov_b32_e32 v17, 0
	v_cmp_ne_u32_e32 vcc, 0, v19
	s_and_saveexec_b64 s[14:15], vcc
	s_cbranch_execz .LBB1_320
; %bb.317:                              ;   in Loop: Header=BB1_283 Depth=1
	v_mov_b32_e32 v16, 0
	s_mov_b64 s[16:17], 0
	v_mov_b32_e32 v17, 0
	s_mov_b64 s[18:19], 0
	s_mov_b64 s[20:21], 0
.LBB1_318:                              ;   Parent Loop BB1_283 Depth=1
                                        ; =>  This Inner Loop Header: Depth=2
	v_mov_b32_e32 v18, s21
	v_add_co_u32_e32 v20, vcc, s20, v6
	v_addc_co_u32_e32 v21, vcc, v7, v18, vcc
	global_load_ubyte v18, v[20:21], off
	s_add_u32 s20, s20, 1
	v_mov_b32_e32 v21, s22
	s_addc_u32 s21, s21, 0
	v_cmp_eq_u32_e32 vcc, s20, v19
	s_waitcnt vmcnt(0)
	v_and_b32_e32 v20, 0xffff, v18
	v_lshlrev_b64 v[20:21], s18, v[20:21]
	s_add_u32 s18, s18, 8
	s_addc_u32 s19, s19, 0
	v_or_b32_e32 v17, v21, v17
	s_or_b64 s[16:17], vcc, s[16:17]
	v_or_b32_e32 v16, v20, v16
	s_andn2_b64 exec, exec, s[16:17]
	s_cbranch_execnz .LBB1_318
; %bb.319:                              ;   in Loop: Header=BB1_283 Depth=1
	s_or_b64 exec, exec, s[16:17]
.LBB1_320:                              ;   in Loop: Header=BB1_283 Depth=1
	s_or_b64 exec, exec, s[14:15]
	v_mov_b32_e32 v21, v7
	v_mov_b32_e32 v20, v6
                                        ; implicit-def: $vgpr19
.LBB1_321:                              ;   in Loop: Header=BB1_283 Depth=1
	s_or_saveexec_b64 s[4:5], s[4:5]
	v_mov_b32_e32 v22, 0
	s_xor_b64 exec, exec, s[4:5]
	s_cbranch_execz .LBB1_323
; %bb.322:                              ;   in Loop: Header=BB1_283 Depth=1
	global_load_dwordx2 v[16:17], v[6:7], off
	v_add_u32_e32 v22, -8, v19
.LBB1_323:                              ;   in Loop: Header=BB1_283 Depth=1
	s_or_b64 exec, exec, s[4:5]
	v_add_co_u32_e64 v6, s[4:5], 8, v20
	v_cmp_gt_u32_e32 vcc, 8, v22
	v_addc_co_u32_e64 v7, s[4:5], 0, v21, s[4:5]
                                        ; implicit-def: $vgpr18_vgpr19
	s_and_saveexec_b64 s[4:5], vcc
	s_xor_b64 s[4:5], exec, s[4:5]
	s_cbranch_execz .LBB1_329
; %bb.324:                              ;   in Loop: Header=BB1_283 Depth=1
	v_mov_b32_e32 v18, 0
	v_mov_b32_e32 v19, 0
	v_cmp_ne_u32_e32 vcc, 0, v22
	s_and_saveexec_b64 s[14:15], vcc
	s_cbranch_execz .LBB1_328
; %bb.325:                              ;   in Loop: Header=BB1_283 Depth=1
	v_mov_b32_e32 v18, 0
	s_mov_b64 s[16:17], 0
	v_mov_b32_e32 v19, 0
	s_mov_b64 s[18:19], 0
	s_mov_b64 s[20:21], 0
.LBB1_326:                              ;   Parent Loop BB1_283 Depth=1
                                        ; =>  This Inner Loop Header: Depth=2
	v_mov_b32_e32 v7, s21
	v_add_co_u32_e32 v6, vcc, s20, v20
	v_addc_co_u32_e32 v7, vcc, v21, v7, vcc
	global_load_ubyte v6, v[6:7], off
	s_add_u32 s20, s20, 1
	v_mov_b32_e32 v7, s22
	s_addc_u32 s21, s21, 0
	v_cmp_eq_u32_e32 vcc, s20, v22
	s_waitcnt vmcnt(0)
	v_and_b32_e32 v6, 0xffff, v6
	v_lshlrev_b64 v[6:7], s18, v[6:7]
	s_add_u32 s18, s18, 8
	s_addc_u32 s19, s19, 0
	v_or_b32_e32 v19, v7, v19
	s_or_b64 s[16:17], vcc, s[16:17]
	v_or_b32_e32 v18, v6, v18
	s_andn2_b64 exec, exec, s[16:17]
	s_cbranch_execnz .LBB1_326
; %bb.327:                              ;   in Loop: Header=BB1_283 Depth=1
	s_or_b64 exec, exec, s[16:17]
.LBB1_328:                              ;   in Loop: Header=BB1_283 Depth=1
	s_or_b64 exec, exec, s[14:15]
	v_mov_b32_e32 v6, v20
	v_mov_b32_e32 v7, v21
                                        ; implicit-def: $vgpr22
.LBB1_329:                              ;   in Loop: Header=BB1_283 Depth=1
	s_or_saveexec_b64 s[4:5], s[4:5]
	v_mov_b32_e32 v23, 0
	s_xor_b64 exec, exec, s[4:5]
	s_cbranch_execz .LBB1_331
; %bb.330:                              ;   in Loop: Header=BB1_283 Depth=1
	global_load_dwordx2 v[18:19], v[20:21], off
	v_add_u32_e32 v23, -8, v22
.LBB1_331:                              ;   in Loop: Header=BB1_283 Depth=1
	s_or_b64 exec, exec, s[4:5]
	v_cmp_gt_u32_e32 vcc, 8, v23
	s_and_saveexec_b64 s[4:5], vcc
	s_xor_b64 s[4:5], exec, s[4:5]
	s_cbranch_execz .LBB1_337
; %bb.332:                              ;   in Loop: Header=BB1_283 Depth=1
	v_mov_b32_e32 v20, 0
	v_mov_b32_e32 v21, 0
	v_cmp_ne_u32_e32 vcc, 0, v23
	s_and_saveexec_b64 s[14:15], vcc
	s_cbranch_execz .LBB1_336
; %bb.333:                              ;   in Loop: Header=BB1_283 Depth=1
	v_mov_b32_e32 v20, 0
	s_mov_b64 s[16:17], 0
	v_mov_b32_e32 v21, 0
	s_mov_b64 s[18:19], 0
.LBB1_334:                              ;   Parent Loop BB1_283 Depth=1
                                        ; =>  This Inner Loop Header: Depth=2
	global_load_ubyte v22, v[6:7], off
	v_mov_b32_e32 v25, s22
	v_add_co_u32_e32 v6, vcc, 1, v6
	v_add_u32_e32 v23, -1, v23
	v_addc_co_u32_e32 v7, vcc, 0, v7, vcc
	v_cmp_eq_u32_e32 vcc, 0, v23
	s_waitcnt vmcnt(0)
	v_and_b32_e32 v24, 0xffff, v22
	v_lshlrev_b64 v[24:25], s18, v[24:25]
	s_add_u32 s18, s18, 8
	s_addc_u32 s19, s19, 0
	v_or_b32_e32 v21, v25, v21
	s_or_b64 s[16:17], vcc, s[16:17]
	v_or_b32_e32 v20, v24, v20
	s_andn2_b64 exec, exec, s[16:17]
	s_cbranch_execnz .LBB1_334
; %bb.335:                              ;   in Loop: Header=BB1_283 Depth=1
	s_or_b64 exec, exec, s[16:17]
.LBB1_336:                              ;   in Loop: Header=BB1_283 Depth=1
	s_or_b64 exec, exec, s[14:15]
                                        ; implicit-def: $vgpr6_vgpr7
.LBB1_337:                              ;   in Loop: Header=BB1_283 Depth=1
	s_andn2_saveexec_b64 s[4:5], s[4:5]
	s_cbranch_execz .LBB1_339
; %bb.338:                              ;   in Loop: Header=BB1_283 Depth=1
	global_load_dwordx2 v[20:21], v[6:7], off
.LBB1_339:                              ;   in Loop: Header=BB1_283 Depth=1
	s_or_b64 exec, exec, s[4:5]
	v_readfirstlane_b32 s4, v34
	v_mov_b32_e32 v6, 0
	v_mov_b32_e32 v7, 0
	v_cmp_eq_u32_e64 s[4:5], s4, v34
	s_and_saveexec_b64 s[14:15], s[4:5]
	s_cbranch_execz .LBB1_345
; %bb.340:                              ;   in Loop: Header=BB1_283 Depth=1
	global_load_dwordx2 v[24:25], v29, s[10:11] offset:24 glc
	s_waitcnt vmcnt(0)
	buffer_wbinvl1_vol
	global_load_dwordx2 v[6:7], v29, s[10:11] offset:40
	global_load_dwordx2 v[22:23], v29, s[10:11]
	s_waitcnt vmcnt(1)
	v_and_b32_e32 v6, v6, v24
	v_and_b32_e32 v7, v7, v25
	v_mul_lo_u32 v7, v7, 24
	v_mul_hi_u32 v28, v6, 24
	v_mul_lo_u32 v6, v6, 24
	v_add_u32_e32 v7, v28, v7
	s_waitcnt vmcnt(0)
	v_add_co_u32_e32 v6, vcc, v22, v6
	v_addc_co_u32_e32 v7, vcc, v23, v7, vcc
	global_load_dwordx2 v[22:23], v[6:7], off glc
	s_waitcnt vmcnt(0)
	global_atomic_cmpswap_x2 v[6:7], v29, v[22:25], s[10:11] offset:24 glc
	s_waitcnt vmcnt(0)
	buffer_wbinvl1_vol
	v_cmp_ne_u64_e32 vcc, v[6:7], v[24:25]
	s_and_saveexec_b64 s[16:17], vcc
	s_cbranch_execz .LBB1_344
; %bb.341:                              ;   in Loop: Header=BB1_283 Depth=1
	s_mov_b64 s[18:19], 0
.LBB1_342:                              ;   Parent Loop BB1_283 Depth=1
                                        ; =>  This Inner Loop Header: Depth=2
	s_sleep 1
	global_load_dwordx2 v[22:23], v29, s[10:11] offset:40
	global_load_dwordx2 v[32:33], v29, s[10:11]
	v_mov_b32_e32 v25, v7
	v_mov_b32_e32 v24, v6
	s_waitcnt vmcnt(1)
	v_and_b32_e32 v6, v22, v24
	s_waitcnt vmcnt(0)
	v_mad_u64_u32 v[6:7], s[20:21], v6, 24, v[32:33]
	v_and_b32_e32 v22, v23, v25
	v_mad_u64_u32 v[22:23], s[20:21], v22, 24, v[7:8]
	v_mov_b32_e32 v7, v22
	global_load_dwordx2 v[22:23], v[6:7], off glc
	s_waitcnt vmcnt(0)
	global_atomic_cmpswap_x2 v[6:7], v29, v[22:25], s[10:11] offset:24 glc
	s_waitcnt vmcnt(0)
	buffer_wbinvl1_vol
	v_cmp_eq_u64_e32 vcc, v[6:7], v[24:25]
	s_or_b64 s[18:19], vcc, s[18:19]
	s_andn2_b64 exec, exec, s[18:19]
	s_cbranch_execnz .LBB1_342
; %bb.343:                              ;   in Loop: Header=BB1_283 Depth=1
	s_or_b64 exec, exec, s[18:19]
.LBB1_344:                              ;   in Loop: Header=BB1_283 Depth=1
	s_or_b64 exec, exec, s[16:17]
.LBB1_345:                              ;   in Loop: Header=BB1_283 Depth=1
	s_or_b64 exec, exec, s[14:15]
	global_load_dwordx2 v[32:33], v29, s[10:11] offset:40
	global_load_dwordx4 v[22:25], v29, s[10:11]
	v_readfirstlane_b32 s15, v7
	v_readfirstlane_b32 s14, v6
	s_mov_b64 s[16:17], exec
	s_waitcnt vmcnt(1)
	v_readfirstlane_b32 s18, v32
	v_readfirstlane_b32 s19, v33
	s_and_b64 s[18:19], s[18:19], s[14:15]
	s_mul_i32 s20, s19, 24
	s_mul_hi_u32 s21, s18, 24
	s_mul_i32 s24, s18, 24
	s_add_i32 s20, s21, s20
	v_mov_b32_e32 v6, s20
	s_waitcnt vmcnt(0)
	v_add_co_u32_e32 v32, vcc, s24, v22
	v_addc_co_u32_e32 v33, vcc, v23, v6, vcc
	s_and_saveexec_b64 s[20:21], s[4:5]
	s_cbranch_execz .LBB1_347
; %bb.346:                              ;   in Loop: Header=BB1_283 Depth=1
	v_mov_b32_e32 v6, s16
	v_mov_b32_e32 v7, s17
	global_store_dwordx4 v[32:33], v[6:9], off offset:8
.LBB1_347:                              ;   in Loop: Header=BB1_283 Depth=1
	s_or_b64 exec, exec, s[20:21]
	s_lshl_b64 s[16:17], s[18:19], 12
	v_mov_b32_e32 v6, s17
	v_add_co_u32_e32 v24, vcc, s16, v24
	v_addc_co_u32_e32 v25, vcc, v25, v6, vcc
	v_cmp_gt_u64_e32 vcc, 57, v[26:27]
	v_and_b32_e32 v0, 0xffffff1f, v0
	v_cndmask_b32_e32 v6, 0, v36, vcc
	v_lshl_add_u32 v7, v30, 2, 28
	v_or_b32_e32 v0, v0, v6
	v_and_or_b32 v0, v7, s23, v0
	v_readfirstlane_b32 s16, v24
	v_readfirstlane_b32 s17, v25
	s_nop 4
	global_store_dwordx4 v35, v[0:3], s[16:17]
	global_store_dwordx4 v35, v[10:13], s[16:17] offset:16
	global_store_dwordx4 v35, v[14:17], s[16:17] offset:32
	;; [unrolled: 1-line block ×3, first 2 shown]
	s_and_saveexec_b64 s[16:17], s[4:5]
	s_cbranch_execz .LBB1_355
; %bb.348:                              ;   in Loop: Header=BB1_283 Depth=1
	global_load_dwordx2 v[12:13], v29, s[10:11] offset:32 glc
	global_load_dwordx2 v[0:1], v29, s[10:11] offset:40
	v_mov_b32_e32 v10, s14
	v_mov_b32_e32 v11, s15
	s_waitcnt vmcnt(0)
	v_readfirstlane_b32 s18, v0
	v_readfirstlane_b32 s19, v1
	s_and_b64 s[18:19], s[18:19], s[14:15]
	s_mul_i32 s19, s19, 24
	s_mul_hi_u32 s20, s18, 24
	s_mul_i32 s18, s18, 24
	s_add_i32 s19, s20, s19
	v_mov_b32_e32 v0, s19
	v_add_co_u32_e32 v6, vcc, s18, v22
	v_addc_co_u32_e32 v7, vcc, v23, v0, vcc
	global_store_dwordx2 v[6:7], v[12:13], off
	s_waitcnt vmcnt(0)
	global_atomic_cmpswap_x2 v[2:3], v29, v[10:13], s[10:11] offset:32 glc
	s_waitcnt vmcnt(0)
	v_cmp_ne_u64_e32 vcc, v[2:3], v[12:13]
	s_and_saveexec_b64 s[18:19], vcc
	s_cbranch_execz .LBB1_351
; %bb.349:                              ;   in Loop: Header=BB1_283 Depth=1
	s_mov_b64 s[20:21], 0
.LBB1_350:                              ;   Parent Loop BB1_283 Depth=1
                                        ; =>  This Inner Loop Header: Depth=2
	s_sleep 1
	global_store_dwordx2 v[6:7], v[2:3], off
	v_mov_b32_e32 v0, s14
	v_mov_b32_e32 v1, s15
	s_waitcnt vmcnt(0)
	global_atomic_cmpswap_x2 v[0:1], v29, v[0:3], s[10:11] offset:32 glc
	s_waitcnt vmcnt(0)
	v_cmp_eq_u64_e32 vcc, v[0:1], v[2:3]
	v_mov_b32_e32 v3, v1
	s_or_b64 s[20:21], vcc, s[20:21]
	v_mov_b32_e32 v2, v0
	s_andn2_b64 exec, exec, s[20:21]
	s_cbranch_execnz .LBB1_350
.LBB1_351:                              ;   in Loop: Header=BB1_283 Depth=1
	s_or_b64 exec, exec, s[18:19]
	global_load_dwordx2 v[0:1], v29, s[10:11] offset:16
	s_mov_b64 s[20:21], exec
	v_mbcnt_lo_u32_b32 v2, s20, 0
	v_mbcnt_hi_u32_b32 v2, s21, v2
	v_cmp_eq_u32_e32 vcc, 0, v2
	s_and_saveexec_b64 s[18:19], vcc
	s_cbranch_execz .LBB1_353
; %bb.352:                              ;   in Loop: Header=BB1_283 Depth=1
	s_bcnt1_i32_b64 s20, s[20:21]
	v_mov_b32_e32 v28, s20
	s_waitcnt vmcnt(0)
	global_atomic_add_x2 v[0:1], v[28:29], off offset:8
.LBB1_353:                              ;   in Loop: Header=BB1_283 Depth=1
	s_or_b64 exec, exec, s[18:19]
	s_waitcnt vmcnt(0)
	global_load_dwordx2 v[2:3], v[0:1], off offset:16
	s_waitcnt vmcnt(0)
	v_cmp_eq_u64_e32 vcc, 0, v[2:3]
	s_cbranch_vccnz .LBB1_355
; %bb.354:                              ;   in Loop: Header=BB1_283 Depth=1
	global_load_dword v28, v[0:1], off offset:24
	s_waitcnt vmcnt(0)
	v_readfirstlane_b32 s18, v28
	s_and_b32 m0, s18, 0xffffff
	global_store_dwordx2 v[2:3], v[28:29], off
	s_sendmsg sendmsg(MSG_INTERRUPT)
.LBB1_355:                              ;   in Loop: Header=BB1_283 Depth=1
	s_or_b64 exec, exec, s[16:17]
	v_add_co_u32_e32 v0, vcc, v24, v35
	v_addc_co_u32_e32 v1, vcc, 0, v25, vcc
	s_branch .LBB1_359
.LBB1_356:                              ;   in Loop: Header=BB1_359 Depth=2
	s_or_b64 exec, exec, s[16:17]
	v_readfirstlane_b32 s16, v2
	s_cmp_eq_u32 s16, 0
	s_cbranch_scc1 .LBB1_358
; %bb.357:                              ;   in Loop: Header=BB1_359 Depth=2
	s_sleep 1
	s_cbranch_execnz .LBB1_359
	s_branch .LBB1_361
.LBB1_358:                              ;   in Loop: Header=BB1_283 Depth=1
	s_branch .LBB1_361
.LBB1_359:                              ;   Parent Loop BB1_283 Depth=1
                                        ; =>  This Inner Loop Header: Depth=2
	v_mov_b32_e32 v2, 1
	s_and_saveexec_b64 s[16:17], s[4:5]
	s_cbranch_execz .LBB1_356
; %bb.360:                              ;   in Loop: Header=BB1_359 Depth=2
	global_load_dword v2, v[32:33], off offset:20 glc
	s_waitcnt vmcnt(0)
	buffer_wbinvl1_vol
	v_and_b32_e32 v2, 1, v2
	s_branch .LBB1_356
.LBB1_361:                              ;   in Loop: Header=BB1_283 Depth=1
	global_load_dwordx2 v[0:1], v[0:1], off
	s_and_saveexec_b64 s[16:17], s[4:5]
	s_cbranch_execz .LBB1_282
; %bb.362:                              ;   in Loop: Header=BB1_283 Depth=1
	global_load_dwordx2 v[2:3], v29, s[10:11] offset:40
	global_load_dwordx2 v[14:15], v29, s[10:11] offset:24 glc
	global_load_dwordx2 v[6:7], v29, s[10:11]
	s_waitcnt vmcnt(2)
	v_readfirstlane_b32 s18, v2
	v_readfirstlane_b32 s19, v3
	s_add_u32 s20, s18, 1
	s_addc_u32 s21, s19, 0
	s_add_u32 s4, s20, s14
	s_addc_u32 s5, s21, s15
	s_cmp_eq_u64 s[4:5], 0
	s_cselect_b32 s5, s21, s5
	s_cselect_b32 s4, s20, s4
	s_and_b64 s[14:15], s[4:5], s[18:19]
	s_mul_i32 s15, s15, 24
	s_mul_hi_u32 s18, s14, 24
	s_mul_i32 s14, s14, 24
	s_add_i32 s15, s18, s15
	v_mov_b32_e32 v3, s15
	s_waitcnt vmcnt(0)
	v_add_co_u32_e32 v2, vcc, s14, v6
	v_addc_co_u32_e32 v3, vcc, v7, v3, vcc
	v_mov_b32_e32 v12, s4
	global_store_dwordx2 v[2:3], v[14:15], off
	v_mov_b32_e32 v13, s5
	s_waitcnt vmcnt(0)
	global_atomic_cmpswap_x2 v[12:13], v29, v[12:15], s[10:11] offset:24 glc
	s_waitcnt vmcnt(0)
	v_cmp_ne_u64_e32 vcc, v[12:13], v[14:15]
	s_and_b64 exec, exec, vcc
	s_cbranch_execz .LBB1_282
; %bb.363:                              ;   in Loop: Header=BB1_283 Depth=1
	s_mov_b64 s[14:15], 0
.LBB1_364:                              ;   Parent Loop BB1_283 Depth=1
                                        ; =>  This Inner Loop Header: Depth=2
	s_sleep 1
	global_store_dwordx2 v[2:3], v[12:13], off
	v_mov_b32_e32 v10, s4
	v_mov_b32_e32 v11, s5
	s_waitcnt vmcnt(0)
	global_atomic_cmpswap_x2 v[6:7], v29, v[10:13], s[10:11] offset:24 glc
	s_waitcnt vmcnt(0)
	v_cmp_eq_u64_e32 vcc, v[6:7], v[12:13]
	v_mov_b32_e32 v13, v7
	s_or_b64 s[14:15], vcc, s[14:15]
	v_mov_b32_e32 v12, v6
	s_andn2_b64 exec, exec, s[14:15]
	s_cbranch_execnz .LBB1_364
	s_branch .LBB1_282
.LBB1_365:
	s_or_b64 exec, exec, s[12:13]
                                        ; implicit-def: $vgpr35
                                        ; implicit-def: $vgpr34
.LBB1_366:
	s_andn2_saveexec_b64 s[6:7], s[6:7]
	s_cbranch_execz .LBB1_393
; %bb.367:
	v_readfirstlane_b32 s4, v34
	v_mov_b32_e32 v8, 0
	v_mov_b32_e32 v9, 0
	v_cmp_eq_u32_e64 s[4:5], s4, v34
	s_and_saveexec_b64 s[12:13], s[4:5]
	s_cbranch_execz .LBB1_373
; %bb.368:
	v_mov_b32_e32 v2, 0
	global_load_dwordx2 v[5:6], v2, s[10:11] offset:24 glc
	s_waitcnt vmcnt(0)
	buffer_wbinvl1_vol
	global_load_dwordx2 v[3:4], v2, s[10:11] offset:40
	global_load_dwordx2 v[7:8], v2, s[10:11]
	s_waitcnt vmcnt(1)
	v_and_b32_e32 v3, v3, v5
	v_and_b32_e32 v4, v4, v6
	v_mul_lo_u32 v4, v4, 24
	v_mul_hi_u32 v9, v3, 24
	v_mul_lo_u32 v3, v3, 24
	v_add_u32_e32 v4, v9, v4
	s_waitcnt vmcnt(0)
	v_add_co_u32_e32 v3, vcc, v7, v3
	v_addc_co_u32_e32 v4, vcc, v8, v4, vcc
	global_load_dwordx2 v[3:4], v[3:4], off glc
	s_waitcnt vmcnt(0)
	global_atomic_cmpswap_x2 v[8:9], v2, v[3:6], s[10:11] offset:24 glc
	s_waitcnt vmcnt(0)
	buffer_wbinvl1_vol
	v_cmp_ne_u64_e32 vcc, v[8:9], v[5:6]
	s_and_saveexec_b64 s[14:15], vcc
	s_cbranch_execz .LBB1_372
; %bb.369:
	s_mov_b64 s[16:17], 0
.LBB1_370:                              ; =>This Inner Loop Header: Depth=1
	s_sleep 1
	global_load_dwordx2 v[3:4], v2, s[10:11] offset:40
	global_load_dwordx2 v[10:11], v2, s[10:11]
	v_mov_b32_e32 v5, v8
	v_mov_b32_e32 v6, v9
	s_waitcnt vmcnt(1)
	v_and_b32_e32 v3, v3, v5
	s_waitcnt vmcnt(0)
	v_mad_u64_u32 v[7:8], s[18:19], v3, 24, v[10:11]
	v_and_b32_e32 v4, v4, v6
	v_mov_b32_e32 v3, v8
	v_mad_u64_u32 v[3:4], s[18:19], v4, 24, v[3:4]
	v_mov_b32_e32 v8, v3
	global_load_dwordx2 v[3:4], v[7:8], off glc
	s_waitcnt vmcnt(0)
	global_atomic_cmpswap_x2 v[8:9], v2, v[3:6], s[10:11] offset:24 glc
	s_waitcnt vmcnt(0)
	buffer_wbinvl1_vol
	v_cmp_eq_u64_e32 vcc, v[8:9], v[5:6]
	s_or_b64 s[16:17], vcc, s[16:17]
	s_andn2_b64 exec, exec, s[16:17]
	s_cbranch_execnz .LBB1_370
; %bb.371:
	s_or_b64 exec, exec, s[16:17]
.LBB1_372:
	s_or_b64 exec, exec, s[14:15]
.LBB1_373:
	s_or_b64 exec, exec, s[12:13]
	v_mov_b32_e32 v2, 0
	global_load_dwordx2 v[10:11], v2, s[10:11] offset:40
	global_load_dwordx4 v[4:7], v2, s[10:11]
	v_readfirstlane_b32 s13, v9
	v_readfirstlane_b32 s12, v8
	s_mov_b64 s[14:15], exec
	s_waitcnt vmcnt(1)
	v_readfirstlane_b32 s16, v10
	v_readfirstlane_b32 s17, v11
	s_and_b64 s[16:17], s[16:17], s[12:13]
	s_mul_i32 s18, s17, 24
	s_mul_hi_u32 s19, s16, 24
	s_mul_i32 s20, s16, 24
	s_add_i32 s18, s19, s18
	v_mov_b32_e32 v3, s18
	s_waitcnt vmcnt(0)
	v_add_co_u32_e32 v8, vcc, s20, v4
	v_addc_co_u32_e32 v9, vcc, v5, v3, vcc
	s_and_saveexec_b64 s[18:19], s[4:5]
	s_cbranch_execz .LBB1_375
; %bb.374:
	v_mov_b32_e32 v10, s14
	v_mov_b32_e32 v11, s15
	;; [unrolled: 1-line block ×4, first 2 shown]
	global_store_dwordx4 v[8:9], v[10:13], off offset:8
.LBB1_375:
	s_or_b64 exec, exec, s[18:19]
	s_lshl_b64 s[14:15], s[16:17], 12
	v_mov_b32_e32 v3, s15
	v_add_co_u32_e32 v10, vcc, s14, v6
	v_addc_co_u32_e32 v11, vcc, v7, v3, vcc
	s_movk_i32 s14, 0xff1f
	v_and_or_b32 v0, v0, s14, 32
	s_mov_b32 s16, 0
	v_mov_b32_e32 v3, v2
	v_readfirstlane_b32 s14, v10
	v_readfirstlane_b32 s15, v11
	v_add_co_u32_e32 v6, vcc, v10, v35
	s_mov_b32 s17, s16
	s_mov_b32 s18, s16
	s_mov_b32 s19, s16
	s_nop 0
	global_store_dwordx4 v35, v[0:3], s[14:15]
	v_addc_co_u32_e32 v7, vcc, 0, v11, vcc
	v_mov_b32_e32 v0, s16
	v_mov_b32_e32 v1, s17
	;; [unrolled: 1-line block ×4, first 2 shown]
	global_store_dwordx4 v35, v[0:3], s[14:15] offset:16
	global_store_dwordx4 v35, v[0:3], s[14:15] offset:32
	;; [unrolled: 1-line block ×3, first 2 shown]
	s_and_saveexec_b64 s[14:15], s[4:5]
	s_cbranch_execz .LBB1_383
; %bb.376:
	v_mov_b32_e32 v10, 0
	global_load_dwordx2 v[13:14], v10, s[10:11] offset:32 glc
	global_load_dwordx2 v[0:1], v10, s[10:11] offset:40
	v_mov_b32_e32 v11, s12
	v_mov_b32_e32 v12, s13
	s_waitcnt vmcnt(0)
	v_readfirstlane_b32 s16, v0
	v_readfirstlane_b32 s17, v1
	s_and_b64 s[16:17], s[16:17], s[12:13]
	s_mul_i32 s17, s17, 24
	s_mul_hi_u32 s18, s16, 24
	s_mul_i32 s16, s16, 24
	s_add_i32 s17, s18, s17
	v_mov_b32_e32 v0, s17
	v_add_co_u32_e32 v4, vcc, s16, v4
	v_addc_co_u32_e32 v5, vcc, v5, v0, vcc
	global_store_dwordx2 v[4:5], v[13:14], off
	s_waitcnt vmcnt(0)
	global_atomic_cmpswap_x2 v[2:3], v10, v[11:14], s[10:11] offset:32 glc
	s_waitcnt vmcnt(0)
	v_cmp_ne_u64_e32 vcc, v[2:3], v[13:14]
	s_and_saveexec_b64 s[16:17], vcc
	s_cbranch_execz .LBB1_379
; %bb.377:
	s_mov_b64 s[18:19], 0
.LBB1_378:                              ; =>This Inner Loop Header: Depth=1
	s_sleep 1
	global_store_dwordx2 v[4:5], v[2:3], off
	v_mov_b32_e32 v0, s12
	v_mov_b32_e32 v1, s13
	s_waitcnt vmcnt(0)
	global_atomic_cmpswap_x2 v[0:1], v10, v[0:3], s[10:11] offset:32 glc
	s_waitcnt vmcnt(0)
	v_cmp_eq_u64_e32 vcc, v[0:1], v[2:3]
	v_mov_b32_e32 v3, v1
	s_or_b64 s[18:19], vcc, s[18:19]
	v_mov_b32_e32 v2, v0
	s_andn2_b64 exec, exec, s[18:19]
	s_cbranch_execnz .LBB1_378
.LBB1_379:
	s_or_b64 exec, exec, s[16:17]
	v_mov_b32_e32 v3, 0
	global_load_dwordx2 v[0:1], v3, s[10:11] offset:16
	s_mov_b64 s[16:17], exec
	v_mbcnt_lo_u32_b32 v2, s16, 0
	v_mbcnt_hi_u32_b32 v2, s17, v2
	v_cmp_eq_u32_e32 vcc, 0, v2
	s_and_saveexec_b64 s[18:19], vcc
	s_cbranch_execz .LBB1_381
; %bb.380:
	s_bcnt1_i32_b64 s16, s[16:17]
	v_mov_b32_e32 v2, s16
	s_waitcnt vmcnt(0)
	global_atomic_add_x2 v[0:1], v[2:3], off offset:8
.LBB1_381:
	s_or_b64 exec, exec, s[18:19]
	s_waitcnt vmcnt(0)
	global_load_dwordx2 v[2:3], v[0:1], off offset:16
	s_waitcnt vmcnt(0)
	v_cmp_eq_u64_e32 vcc, 0, v[2:3]
	s_cbranch_vccnz .LBB1_383
; %bb.382:
	global_load_dword v0, v[0:1], off offset:24
	v_mov_b32_e32 v1, 0
	s_waitcnt vmcnt(0)
	v_readfirstlane_b32 s16, v0
	s_and_b32 m0, s16, 0xffffff
	global_store_dwordx2 v[2:3], v[0:1], off
	s_sendmsg sendmsg(MSG_INTERRUPT)
.LBB1_383:
	s_or_b64 exec, exec, s[14:15]
	s_branch .LBB1_387
.LBB1_384:                              ;   in Loop: Header=BB1_387 Depth=1
	s_or_b64 exec, exec, s[14:15]
	v_readfirstlane_b32 s14, v0
	s_cmp_eq_u32 s14, 0
	s_cbranch_scc1 .LBB1_386
; %bb.385:                              ;   in Loop: Header=BB1_387 Depth=1
	s_sleep 1
	s_cbranch_execnz .LBB1_387
	s_branch .LBB1_389
.LBB1_386:
	s_branch .LBB1_389
.LBB1_387:                              ; =>This Inner Loop Header: Depth=1
	v_mov_b32_e32 v0, 1
	s_and_saveexec_b64 s[14:15], s[4:5]
	s_cbranch_execz .LBB1_384
; %bb.388:                              ;   in Loop: Header=BB1_387 Depth=1
	global_load_dword v0, v[8:9], off offset:20 glc
	s_waitcnt vmcnt(0)
	buffer_wbinvl1_vol
	v_and_b32_e32 v0, 1, v0
	s_branch .LBB1_384
.LBB1_389:
	global_load_dwordx2 v[0:1], v[6:7], off
	s_and_saveexec_b64 s[14:15], s[4:5]
	s_cbranch_execz .LBB1_392
; %bb.390:
	v_mov_b32_e32 v8, 0
	global_load_dwordx2 v[2:3], v8, s[10:11] offset:40
	global_load_dwordx2 v[11:12], v8, s[10:11] offset:24 glc
	global_load_dwordx2 v[4:5], v8, s[10:11]
	s_waitcnt vmcnt(2)
	v_readfirstlane_b32 s16, v2
	v_readfirstlane_b32 s17, v3
	s_add_u32 s18, s16, 1
	s_addc_u32 s19, s17, 0
	s_add_u32 s4, s18, s12
	s_addc_u32 s5, s19, s13
	s_cmp_eq_u64 s[4:5], 0
	s_cselect_b32 s5, s19, s5
	s_cselect_b32 s4, s18, s4
	s_and_b64 s[12:13], s[4:5], s[16:17]
	s_mul_i32 s13, s13, 24
	s_mul_hi_u32 s16, s12, 24
	s_mul_i32 s12, s12, 24
	s_add_i32 s13, s16, s13
	v_mov_b32_e32 v2, s13
	s_waitcnt vmcnt(0)
	v_add_co_u32_e32 v6, vcc, s12, v4
	v_addc_co_u32_e32 v7, vcc, v5, v2, vcc
	v_mov_b32_e32 v9, s4
	global_store_dwordx2 v[6:7], v[11:12], off
	v_mov_b32_e32 v10, s5
	s_waitcnt vmcnt(0)
	global_atomic_cmpswap_x2 v[4:5], v8, v[9:12], s[10:11] offset:24 glc
	s_mov_b64 s[12:13], 0
	s_waitcnt vmcnt(0)
	v_cmp_ne_u64_e32 vcc, v[4:5], v[11:12]
	s_and_b64 exec, exec, vcc
	s_cbranch_execz .LBB1_392
.LBB1_391:                              ; =>This Inner Loop Header: Depth=1
	s_sleep 1
	global_store_dwordx2 v[6:7], v[4:5], off
	v_mov_b32_e32 v2, s4
	v_mov_b32_e32 v3, s5
	s_waitcnt vmcnt(0)
	global_atomic_cmpswap_x2 v[2:3], v8, v[2:5], s[10:11] offset:24 glc
	s_waitcnt vmcnt(0)
	v_cmp_eq_u64_e32 vcc, v[2:3], v[4:5]
	v_mov_b32_e32 v5, v3
	s_or_b64 s[12:13], vcc, s[12:13]
	v_mov_b32_e32 v4, v2
	s_andn2_b64 exec, exec, s[12:13]
	s_cbranch_execnz .LBB1_391
.LBB1_392:
	s_or_b64 exec, exec, s[14:15]
.LBB1_393:
	s_or_b64 exec, exec, s[6:7]
	s_getpc_b64 s[4:5]
	s_add_u32 s4, s4, .str.3@rel32@lo+4
	s_addc_u32 s5, s5, .str.3@rel32@hi+12
	s_getpc_b64 s[6:7]
	s_add_u32 s6, s6, .str.3@rel32@lo+32
	s_addc_u32 s7, s7, .str.3@rel32@hi+40
	s_sub_i32 s10, s6, s4
	s_ashr_i32 s11, s10, 31
	s_getpc_b64 s[6:7]
	s_add_u32 s6, s6, __ockl_fprintf_append_string_n@rel32@lo+4
	s_addc_u32 s7, s7, __ockl_fprintf_append_string_n@rel32@hi+12
	v_mov_b32_e32 v2, s4
	v_mov_b32_e32 v3, s5
	;; [unrolled: 1-line block ×5, first 2 shown]
	s_swappc_b64 s[30:31], s[6:7]
	s_trap 2
.Lfunc_end1:
	.size	__assert_fail, .Lfunc_end1-__assert_fail
                                        ; -- End function
	.set .L__assert_fail.num_vgpr, max(41, .L__ockl_fprintf_append_string_n.num_vgpr)
	.set .L__assert_fail.num_agpr, max(0, .L__ockl_fprintf_append_string_n.num_agpr)
	.set .L__assert_fail.numbered_sgpr, max(34, .L__ockl_fprintf_append_string_n.numbered_sgpr)
	.set .L__assert_fail.num_named_barrier, max(0, .L__ockl_fprintf_append_string_n.num_named_barrier)
	.set .L__assert_fail.private_seg_size, 64+max(.L__ockl_fprintf_append_string_n.private_seg_size)
	.set .L__assert_fail.uses_vcc, or(1, .L__ockl_fprintf_append_string_n.uses_vcc)
	.set .L__assert_fail.uses_flat_scratch, or(0, .L__ockl_fprintf_append_string_n.uses_flat_scratch)
	.set .L__assert_fail.has_dyn_sized_stack, or(0, .L__ockl_fprintf_append_string_n.has_dyn_sized_stack)
	.set .L__assert_fail.has_recursion, or(0, .L__ockl_fprintf_append_string_n.has_recursion)
	.set .L__assert_fail.has_indirect_call, or(0, .L__ockl_fprintf_append_string_n.has_indirect_call)
	.section	.AMDGPU.csdata,"",@progbits
; Function info:
; codeLenInByte = 13844
; TotalNumSgprs: 38
; NumVgprs: 41
; ScratchSize: 64
; MemoryBound: 0
	.text
	.p2align	2                               ; -- Begin function _ZN12_GLOBAL__N_17runRingI14__hip_fp8_e5m28FuncProdIS1_E11ProtoSimpleILi1ELi1ELi0ELi1ELi0ELi0EELi0ELi1ELi0EEEviiP15ncclDevWorkColl
	.type	_ZN12_GLOBAL__N_17runRingI14__hip_fp8_e5m28FuncProdIS1_E11ProtoSimpleILi1ELi1ELi0ELi1ELi0ELi0EELi0ELi1ELi0EEEviiP15ncclDevWorkColl,@function
_ZN12_GLOBAL__N_17runRingI14__hip_fp8_e5m28FuncProdIS1_E11ProtoSimpleILi1ELi1ELi0ELi1ELi0ELi0EELi0ELi1ELi0EEEviiP15ncclDevWorkColl: ; @_ZN12_GLOBAL__N_17runRingI14__hip_fp8_e5m28FuncProdIS1_E11ProtoSimpleILi1ELi1ELi0ELi1ELi0ELi0EELi0ELi1ELi0EEEviiP15ncclDevWorkColl
; %bb.0:
	s_waitcnt vmcnt(0) expcnt(0) lgkmcnt(0)
	s_mov_b32 s4, s33
	s_mov_b32 s33, s32
	s_or_saveexec_b64 s[6:7], -1
	buffer_store_dword v63, off, s[0:3], s33 offset:184 ; 4-byte Folded Spill
	s_mov_b64 exec, s[6:7]
	v_writelane_b32 v63, s4, 22
	s_addk_i32 s32, 0x3000
	buffer_store_dword v40, off, s[0:3], s33 offset:56 ; 4-byte Folded Spill
	buffer_store_dword v41, off, s[0:3], s33 offset:52 ; 4-byte Folded Spill
	;; [unrolled: 1-line block ×14, first 2 shown]
	buffer_store_dword v62, off, s[0:3], s33 ; 4-byte Folded Spill
	v_writelane_b32 v63, s34, 0
	v_writelane_b32 v63, s35, 1
	;; [unrolled: 1-line block ×22, first 2 shown]
	s_trap 2
	ds_read_b64 v[14:15], v0
	ds_read_b32 v6, v0
	v_mov_b32_e32 v19, v1
	v_mov_b32_e32 v46, v0
	flat_load_ushort v16, v[2:3] offset:8
	flat_load_dwordx2 v[8:9], v[2:3]
	s_waitcnt lgkmcnt(0)
	v_ashrrev_i32_e32 v1, 31, v15
	v_mov_b32_e32 v0, v15
	v_lshlrev_b64 v[0:1], 2, v[0:1]
                                        ; implicit-def: $vgpr26_vgpr27
                                        ; implicit-def: $vgpr4_vgpr5
                                        ; implicit-def: $vgpr54_vgpr55
	v_add_co_u32_e32 v0, vcc, v14, v0
	v_addc_co_u32_e32 v1, vcc, v15, v1, vcc
	v_add_co_u32_e32 v0, vcc, -4, v0
	v_addc_co_u32_e32 v1, vcc, -1, v1, vcc
	flat_load_dword v0, v[0:1]
	s_waitcnt vmcnt(0)
	v_mov_b32_e32 v15, v9
	v_cmp_ne_u32_sdwa s[4:5], v6, v8 src0_sel:DWORD src1_sel:BYTE_0
	s_and_saveexec_b64 s[6:7], s[4:5]
	s_xor_b64 s[4:5], exec, s[6:7]
	s_cbranch_execz .LBB2_6
; %bb.1:
	v_not_b32_sdwa v1, v8 dst_sel:DWORD dst_unused:UNUSED_PAD src0_sel:BYTE_0
	v_cmp_ne_u32_sdwa s[6:7], v6, v8 src0_sel:DWORD src1_sel:BYTE_1
                                        ; implicit-def: $vgpr26_vgpr27
                                        ; implicit-def: $vgpr4_vgpr5
                                        ; implicit-def: $vgpr54_vgpr55
	s_and_saveexec_b64 s[10:11], s[6:7]
	s_xor_b64 s[6:7], exec, s[10:11]
	s_cbranch_execz .LBB2_3
; %bb.2:
	flat_load_dwordx4 v[7:10], v[2:3] offset:72
	flat_load_dwordx2 v[4:5], v[2:3] offset:96
	v_add_u32_e32 v1, v6, v1
	v_ashrrev_i32_e32 v6, 31, v1
	s_waitcnt vmcnt(0) lgkmcnt(0)
	v_mul_lo_u32 v6, v9, v6
	v_mad_u64_u32 v[54:55], s[10:11], v9, v1, v[7:8]
	v_mul_lo_u32 v1, v10, v1
	v_lshrrev_b64 v[26:27], 12, v[4:5]
	v_mov_b32_e32 v4, v9
	v_mov_b32_e32 v5, v10
	v_add3_u32 v55, v1, v55, v6
                                        ; implicit-def: $vgpr8
                                        ; implicit-def: $vgpr1
.LBB2_3:
	s_andn2_saveexec_b64 s[6:7], s[6:7]
	s_cbranch_execz .LBB2_5
; %bb.4:
	flat_load_dwordx4 v[9:12], v[2:3] offset:72
	flat_load_dwordx4 v[4:7], v[2:3] offset:88
	v_add_u32_sdwa v1, v8, v1 dst_sel:DWORD dst_unused:UNUSED_PAD src0_sel:BYTE_1 src1_sel:DWORD
	s_waitcnt vmcnt(0) lgkmcnt(0)
	v_ashrrev_i32_e32 v6, 31, v1
	v_mul_lo_u32 v6, v11, v6
	v_mad_u64_u32 v[54:55], s[10:11], v11, v1, v[9:10]
	v_mul_lo_u32 v1, v12, v1
	v_lshrrev_b32_e32 v26, 1, v7
	v_add3_u32 v55, v1, v55, v6
.LBB2_5:
	s_or_b64 exec, exec, s[6:7]
.LBB2_6:
	s_andn2_saveexec_b64 s[4:5], s[4:5]
	s_cbranch_execz .LBB2_8
; %bb.7:
	flat_load_dwordx2 v[6:7], v[2:3] offset:96
	flat_load_dwordx2 v[4:5], v[2:3] offset:72
	v_mov_b32_e32 v54, 0
	v_mov_b32_e32 v55, 0
	s_waitcnt vmcnt(0) lgkmcnt(0)
	v_lshlrev_b64 v[26:27], 9, v[6:7]
.LBB2_8:
	s_or_b64 exec, exec, s[4:5]
	s_trap 2
	s_waitcnt lgkmcnt(0)
	ds_read_b64 v[6:7], v0
	s_waitcnt lgkmcnt(0)
	v_cmp_ne_u32_e32 vcc, -1, v6
	v_cndmask_b32_e64 v18, 0, 1, vcc
	v_cmp_ne_u32_e32 vcc, -1, v7
	v_addc_co_u32_e64 v1, s[4:5], 0, v18, vcc
	v_lshlrev_b32_e32 v6, 1, v1
	v_cmp_le_u32_e64 s[4:5], v6, v19
	s_and_saveexec_b64 s[6:7], s[4:5]
	s_xor_b64 s[26:27], exec, s[6:7]
	s_cbranch_execz .LBB2_3493
; %bb.9:
	flat_load_dwordx4 v[10:13], v[2:3] offset:16
	flat_load_dwordx2 v[32:33], v[2:3] offset:104
	s_trap 2
	s_load_dword s4, s[8:9], 0x0
	v_mov_b32_e32 v2, 0
	v_mov_b32_e32 v60, 4
	s_waitcnt lgkmcnt(0)
	s_cmp_lt_u32 s12, s4
	s_cselect_b32 s4, 12, 18
	s_add_u32 s4, s8, s4
	s_addc_u32 s5, s9, 0
	global_load_ushort v45, v2, s[4:5]
	ds_read_b32 v2, v0
	v_cmp_ge_i32_e64 s[4:5], v46, v18
	s_waitcnt lgkmcnt(0)
	v_readfirstlane_b32 s48, v2
	s_and_saveexec_b64 s[6:7], s[4:5]
	s_cbranch_execz .LBB2_19
; %bb.10:
	v_cmp_ge_u32_e64 s[4:5], v46, v1
                                        ; implicit-def: $vgpr60
	s_and_saveexec_b64 s[10:11], s[4:5]
	s_xor_b64 s[4:5], exec, s[10:11]
	s_cbranch_execz .LBB2_16
; %bb.11:
	v_cndmask_b32_e64 v2, 0, 1, vcc
	v_sub_u32_e32 v2, v19, v2
	v_cmp_ge_u32_e32 vcc, v46, v2
	s_and_saveexec_b64 s[10:11], vcc
	s_xor_b64 s[10:11], exec, s[10:11]
; %bb.12:
                                        ; implicit-def: $vgpr1
; %bb.13:
	s_or_saveexec_b64 s[10:11], s[10:11]
	v_mov_b32_e32 v60, 16
	s_xor_b64 exec, exec, s[10:11]
; %bb.14:
	v_sub_u32_e32 v1, v19, v1
	v_cmp_lt_i32_e32 vcc, v46, v1
	v_cndmask_b32_e64 v60, 32, 0, vcc
; %bb.15:
	s_or_b64 exec, exec, s[10:11]
.LBB2_16:
	s_andn2_saveexec_b64 s[4:5], s[4:5]
; %bb.17:
	v_mov_b32_e32 v60, 8
; %bb.18:
	s_or_b64 exec, exec, s[4:5]
.LBB2_19:
	s_or_b64 exec, exec, s[6:7]
	v_and_b32_e32 v1, 36, v60
	v_cmp_ne_u32_e32 vcc, 0, v1
	v_mov_b32_e32 v36, -1
	s_and_saveexec_b64 s[4:5], vcc
	s_cbranch_execz .LBB2_21
; %bb.20:
	s_trap 2
	ds_read_b32 v36, v0
.LBB2_21:
	s_or_b64 exec, exec, s[4:5]
	v_and_b32_e32 v1, 24, v60
	v_cmp_ne_u32_e64 s[4:5], 0, v1
	s_and_saveexec_b64 s[6:7], s[4:5]
	s_cbranch_execz .LBB2_23
; %bb.22:
	s_trap 2
	s_waitcnt lgkmcnt(0)
	ds_read_b32 v36, v0
.LBB2_23:
	s_or_b64 exec, exec, s[6:7]
	v_lshrrev_b64 v[1:2], 31, v[15:16]
	v_mov_b32_e32 v58, 0
	v_mov_b32_e32 v6, 0
	;; [unrolled: 1-line block ×3, first 2 shown]
	v_and_b32_e32 v1, 3, v1
	v_mov_b32_e32 v7, 0
	s_waitcnt lgkmcnt(0)
	v_ashrrev_i32_e32 v37, 31, v36
                                        ; implicit-def: $vgpr2_vgpr3
                                        ; kill: killed $vgpr2_vgpr3
                                        ; implicit-def: $vgpr40
                                        ; implicit-def: $vgpr28_vgpr29
                                        ; implicit-def: $vgpr61_vgpr62
                                        ; implicit-def: $vgpr22_vgpr23
	s_and_saveexec_b64 s[4:5], vcc
	s_cbranch_execz .LBB2_33
; %bb.24:
	s_trap 2
	ds_read_b64 v[2:3], v0
	v_lshlrev_b64 v[6:7], 3, v[36:37]
	s_movk_i32 s6, 0xa8
	s_waitcnt lgkmcnt(0)
	v_add_co_u32_e32 v2, vcc, v2, v6
	v_addc_co_u32_e32 v3, vcc, v3, v7, vcc
	flat_load_dwordx2 v[2:3], v[2:3]
	v_and_b32_e32 v6, 0xffff, v1
	s_waitcnt vmcnt(0) lgkmcnt(0)
	v_mad_u64_u32 v[16:17], s[6:7], v6, s6, v[2:3]
	flat_load_dword v2, v[16:17] offset:640
	s_waitcnt vmcnt(0) lgkmcnt(0)
	v_cmp_eq_u32_e32 vcc, 1, v2
                                        ; implicit-def: $vgpr2_vgpr3
                                        ; kill: killed $vgpr2_vgpr3
	s_and_saveexec_b64 s[6:7], vcc
	s_cbranch_execz .LBB2_26
; %bb.25:
	flat_load_dwordx2 v[6:7], v[16:17] offset:648
	v_or_b32_e32 v60, 0x2000, v60
	s_waitcnt vmcnt(0) lgkmcnt(0)
	flat_load_dwordx2 v[2:3], v[6:7]
	s_trap 2
	s_waitcnt vmcnt(0) lgkmcnt(0)
	ds_write_b64 v0, v[2:3]
	flat_load_dwordx2 v[2:3], v[6:7] offset:8
	s_waitcnt vmcnt(0) lgkmcnt(0)
	ds_write_b64 v0, v[2:3]
	buffer_store_dword v6, off, s[0:3], s33 offset:144 ; 4-byte Folded Spill
	s_nop 0
	buffer_store_dword v7, off, s[0:3], s33 offset:148 ; 4-byte Folded Spill
	flat_load_dwordx2 v[2:3], v[6:7] offset:16
	s_waitcnt vmcnt(0) lgkmcnt(0)
	ds_write_b64 v0, v[2:3]
.LBB2_26:
	s_or_b64 exec, exec, s[6:7]
	flat_load_dwordx2 v[8:9], v[16:17] offset:608
	v_and_b32_e32 v2, 32, v60
	v_cmp_ne_u32_e32 vcc, 0, v2
                                        ; implicit-def: $vgpr22_vgpr23
	s_and_saveexec_b64 s[6:7], vcc
	s_cbranch_execz .LBB2_28
; %bb.27:
	flat_load_dwordx2 v[22:23], v[16:17] offset:560
	s_waitcnt vmcnt(0) lgkmcnt(0)
	flat_store_dwordx2 v[22:23], v[8:9]
.LBB2_28:
	s_or_b64 exec, exec, s[6:7]
	v_add_co_u32_e32 v58, vcc, 0x1f8, v16
	v_addc_co_u32_e32 v59, vcc, 0, v17, vcc
	v_and_b32_e32 v2, 4, v60
	v_mov_b32_e32 v6, 0
	v_mov_b32_e32 v7, 0
	v_cmp_ne_u32_e32 vcc, 0, v2
                                        ; implicit-def: $vgpr40
                                        ; implicit-def: $vgpr28_vgpr29
                                        ; implicit-def: $vgpr61_vgpr62
	s_and_saveexec_b64 s[6:7], vcc
	s_cbranch_execz .LBB2_32
; %bb.29:
	v_and_b32_e32 v2, 0x800, v60
	v_cmp_eq_u32_e32 vcc, 0, v2
	s_and_saveexec_b64 s[10:11], vcc
	s_cbranch_execz .LBB2_31
; %bb.30:
	s_trap 2
	ds_write_b64 v0, v[58:59]
.LBB2_31:
	s_or_b64 exec, exec, s[10:11]
	flat_load_dwordx2 v[22:23], v[16:17] offset:552
	v_or_b32_e32 v2, 0x100, v60
	s_waitcnt vmcnt(0) lgkmcnt(0)
	flat_load_dwordx2 v[28:29], v[22:23] glc
	flat_load_dwordx2 v[6:7], v[16:17] offset:600
	flat_load_dword v40, v[16:17] offset:576
	flat_load_dwordx2 v[61:62], v[16:17] offset:520
	s_waitcnt vmcnt(0) lgkmcnt(0)
	v_cmp_eq_u64_e32 vcc, 0, v[6:7]
	v_cndmask_b32_e32 v60, v2, v60, vcc
.LBB2_32:
	s_or_b64 exec, exec, s[6:7]
.LBB2_33:
	s_or_b64 exec, exec, s[4:5]
	v_and_b32_e32 v2, 24, v60
	v_cmp_ne_u32_e32 vcc, 0, v2
                                        ; implicit-def: $vgpr52_vgpr53
	s_and_saveexec_b64 s[4:5], vcc
	s_cbranch_execz .LBB2_41
; %bb.34:
	s_trap 2
	ds_read_b64 v[2:3], v0
	v_lshlrev_b64 v[6:7], 3, v[36:37]
	v_and_b32_e32 v1, 0xffff, v1
	s_movk_i32 s6, 0xa8
                                        ; implicit-def: $vgpr52_vgpr53
	s_waitcnt lgkmcnt(0)
	v_add_co_u32_e32 v2, vcc, v2, v6
	v_addc_co_u32_e32 v3, vcc, v3, v7, vcc
	flat_load_dwordx2 v[2:3], v[2:3]
	s_waitcnt vmcnt(0) lgkmcnt(0)
	v_mad_u64_u32 v[58:59], s[6:7], v1, s6, v[2:3]
	v_or_b32_e32 v1, 0x100, v60
	flat_load_dwordx4 v[6:9], v[58:59] offset:96
	s_waitcnt vmcnt(0) lgkmcnt(0)
	v_cmp_eq_u64_e32 vcc, 0, v[6:7]
	v_cndmask_b32_e32 v60, v1, v60, vcc
	v_and_b32_e32 v1, 16, v60
	v_cmp_ne_u32_e32 vcc, 0, v1
	s_and_saveexec_b64 s[6:7], vcc
	s_cbranch_execz .LBB2_36
; %bb.35:
	flat_load_dwordx2 v[22:23], v[58:59] offset:48
	flat_load_dwordx2 v[52:53], v[58:59] offset:120
	;; [unrolled: 1-line block ×3, first 2 shown]
.LBB2_36:
	s_or_b64 exec, exec, s[6:7]
	v_and_b32_e32 v1, 8, v60
	v_cmp_ne_u32_e32 vcc, 0, v1
	s_and_saveexec_b64 s[6:7], vcc
	s_cbranch_execz .LBB2_40
; %bb.37:
	v_and_b32_e32 v1, 0x800, v60
	v_cmp_eq_u32_e32 vcc, 0, v1
	s_and_saveexec_b64 s[10:11], vcc
	s_cbranch_execz .LBB2_39
; %bb.38:
	s_trap 2
	ds_write_b64 v0, v[58:59]
.LBB2_39:
	s_or_b64 exec, exec, s[10:11]
	s_waitcnt vmcnt(0) lgkmcnt(0)
	flat_load_dwordx2 v[22:23], v[58:59] offset:56
	s_waitcnt vmcnt(0) lgkmcnt(0)
	flat_load_dwordx2 v[28:29], v[22:23] glc
	flat_load_dword v40, v[58:59] offset:72
	flat_load_dwordx2 v[61:62], v[58:59] offset:16
.LBB2_40:
	s_or_b64 exec, exec, s[6:7]
.LBB2_41:
	s_or_b64 exec, exec, s[4:5]
	v_cmp_eq_u32_e64 s[4:5], 0, v46
	s_and_saveexec_b64 s[6:7], s[4:5]
	s_cbranch_execz .LBB2_43
; %bb.42:
	s_waitcnt vmcnt(0)
	v_mov_b32_e32 v1, v12
	v_mov_b32_e32 v2, v13
	ds_write2_b64 v0, v[1:2], v[10:11] offset1:1
	v_mov_b32_e32 v1, 0
	v_mov_b32_e32 v2, v1
	s_trap 2
	ds_write_b64 v0, v[1:2]
	ds_write_b64 v0, v[32:33]
.LBB2_43:
	s_or_b64 exec, exec, s[6:7]
	v_bfe_u32 v1, v15, 1, 30
	s_waitcnt vmcnt(0)
	v_and_b32_e32 v32, 0x3ffffe00, v26
	v_mov_b32_e32 v33, 0
	v_cmp_ne_u32_e32 vcc, v0, v1
                                        ; implicit-def: $vgpr26_vgpr27
	s_and_saveexec_b64 s[6:7], vcc
	s_xor_b64 s[28:29], exec, s[6:7]
	s_cbranch_execz .LBB2_3285
; %bb.44:
	v_cmp_ne_u32_e32 vcc, v14, v1
                                        ; implicit-def: $vgpr26_vgpr27
	s_and_saveexec_b64 s[6:7], vcc
	s_xor_b64 s[40:41], exec, s[6:7]
	s_cbranch_execz .LBB2_1668
; %bb.45:
	v_mov_b32_e32 v26, 0
	v_cmp_ne_u64_e32 vcc, 0, v[4:5]
	v_mov_b32_e32 v27, 0
	s_and_saveexec_b64 s[42:43], vcc
	s_cbranch_execz .LBB2_1667
; %bb.46:
	v_and_b32_e32 v0, 63, v31
	v_cmp_eq_u32_e64 s[12:13], 0, v0
	v_ashrrev_i32_e32 v0, 31, v46
	v_lshrrev_b32_e32 v0, 26, v0
	v_add_u32_e32 v0, v46, v0
	v_and_b32_e32 v1, 0xffffffc0, v0
	v_ashrrev_i32_e32 v0, 6, v0
	v_sub_u32_e32 v0, 0, v0
	s_waitcnt lgkmcnt(0)
	buffer_store_dword v61, off, s[0:3], s33 offset:68 ; 4-byte Folded Spill
	s_nop 0
	buffer_store_dword v62, off, s[0:3], s33 offset:72 ; 4-byte Folded Spill
	buffer_store_dword v58, off, s[0:3], s33 offset:152 ; 4-byte Folded Spill
	s_nop 0
	buffer_store_dword v59, off, s[0:3], s33 offset:156 ; 4-byte Folded Spill
	s_trap 2
	buffer_store_dword v0, off, s[0:3], s33 offset:168 ; 4-byte Folded Spill
	v_lshlrev_b32_e32 v0, 4, v46
	s_ashr_i32 s6, s48, 31
	v_lshrrev_b32_e32 v2, 6, v19
	buffer_store_dword v0, off, s[0:3], s33 offset:108 ; 4-byte Folded Spill
	v_ashrrev_i32_e32 v0, 31, v0
	s_lshr_b32 s6, s6, 24
	buffer_store_dword v0, off, s[0:3], s33 offset:176 ; 4-byte Folded Spill
	v_lshlrev_b32_e32 v0, 10, v2
	s_add_i32 s6, s48, s6
	v_cmp_eq_u32_e32 vcc, 64, v19
	v_sub_u32_e32 v1, v46, v1
	buffer_store_dword v0, off, s[0:3], s33 offset:60 ; 4-byte Folded Spill
	v_lshlrev_b32_e32 v0, 9, v2
	v_cmp_eq_u64_e64 s[18:19], 0, v[52:53]
	v_mov_b32_e32 v38, 0
	v_mov_b32_e32 v26, 0
	s_mov_b32 s58, -1
	s_ashr_i32 s49, s6, 8
	v_cmp_ge_i32_e64 s[6:7], v46, v19
	v_ashrrev_i32_e32 v41, 31, v40
	v_cmp_ne_u32_e64 s[10:11], 64, v19
	v_cmp_ne_u32_sdwa s[44:45], v19, v45 src0_sel:DWORD src1_sel:WORD_0
	v_mov_b32_e32 v37, 0
	s_movk_i32 s50, 0xffc0
	v_cmp_le_i32_e64 s[14:15], v1, v18
	buffer_store_dword v1, off, s[0:3], s33 offset:172 ; 4-byte Folded Spill
	v_cmp_lt_i32_e64 s[16:17], v1, v18
	v_mov_b32_e32 v18, v2
	buffer_store_dword v0, off, s[0:3], s33 offset:64 ; 4-byte Folded Spill
	buffer_store_dword v19, off, s[0:3], s33 offset:140 ; 4-byte Folded Spill
	v_and_b32_e32 v42, 0x3fc0, v19
	s_mov_b64 s[46:47], 0
	v_mov_b32_e32 v39, 0
	v_mov_b32_e32 v27, 0
	s_movk_i32 s51, 0x108
	v_mov_b32_e32 v43, 1
	s_xor_b64 s[56:57], vcc, -1
	s_movk_i32 s52, 0xff80
	s_movk_i32 s53, 0x7c
	s_brev_b32 s54, 1
	s_mov_b32 s59, 0xffffff
	s_movk_i32 s55, 0x7f
	s_movk_i32 s64, 0x80
	s_mov_b64 s[60:61], 0x7f800000
	s_mov_b64 s[62:63], 0x47600001
	s_movk_i32 s65, 0x72
	s_mov_b64 s[72:73], 0xffffff
	s_mov_b32 s66, 0x7c0000
	s_brev_b32 s67, 62
	s_mov_b32 s68, 0x3ffffc00
	v_mov_b32_e32 v44, 0xc8
	v_mov_b32_e32 v47, 0x90
	v_mov_b32_e32 v20, -1
	v_mov_b32_e32 v21, 0xff800000
	v_mov_b32_e32 v61, 0x7f800000
	;; [unrolled: 1-line block ×4, first 2 shown]
	v_bfrev_b32_e32 v0, 1
	buffer_store_dword v46, off, s[0:3], s33 offset:84 ; 4-byte Folded Spill
	buffer_store_dword v54, off, s[0:3], s33 offset:76 ; 4-byte Folded Spill
	s_nop 0
	buffer_store_dword v55, off, s[0:3], s33 offset:80 ; 4-byte Folded Spill
	buffer_store_dword v40, off, s[0:3], s33 offset:100 ; 4-byte Folded Spill
	;; [unrolled: 1-line block ×3, first 2 shown]
	s_nop 0
	buffer_store_dword v53, off, s[0:3], s33 offset:116 ; 4-byte Folded Spill
	buffer_store_dword v41, off, s[0:3], s33 offset:124 ; 4-byte Folded Spill
	;; [unrolled: 1-line block ×5, first 2 shown]
	s_branch .LBB2_49
.LBB2_47:                               ;   in Loop: Header=BB2_49 Depth=1
	s_or_b64 exec, exec, s[20:21]
.LBB2_48:                               ;   in Loop: Header=BB2_49 Depth=1
	s_or_b64 exec, exec, s[22:23]
	v_add_co_u32_e32 v38, vcc, v38, v32
	v_addc_co_u32_e32 v39, vcc, 0, v39, vcc
	v_cmp_ge_u64_e32 vcc, v[38:39], v[4:5]
	s_or_b64 s[46:47], vcc, s[46:47]
	s_andn2_b64 exec, exec, s[46:47]
	s_cbranch_execz .LBB2_1666
.LBB2_49:                               ; =>This Loop Header: Depth=1
                                        ;     Child Loop BB2_58 Depth 2
                                        ;     Child Loop BB2_84 Depth 2
	;; [unrolled: 1-line block ×10, first 2 shown]
	v_sub_co_u32_e32 v10, vcc, v4, v38
	v_subb_co_u32_e32 v11, vcc, v5, v39, vcc
	v_cmp_lt_u64_e32 vcc, v[32:33], v[10:11]
	v_cndmask_b32_e64 v49, v11, 0, vcc
	v_cndmask_b32_e32 v48, v10, v32, vcc
	v_cmp_eq_u64_e32 vcc, 0, v[48:49]
	v_add_u32_e32 v1, 15, v48
	v_and_b32_e32 v1, 0x7ffffff0, v1
	s_or_b64 s[74:75], s[6:7], vcc
	v_max_i32_e32 v49, s49, v1
	s_xor_b64 s[20:21], s[74:75], -1
	v_mov_b32_e32 v1, v37
	s_and_saveexec_b64 s[76:77], s[20:21]
	s_cbranch_execz .LBB2_1616
; %bb.50:                               ;   in Loop: Header=BB2_49 Depth=1
	s_and_saveexec_b64 s[20:21], s[4:5]
	s_cbranch_execz .LBB2_52
; %bb.51:                               ;   in Loop: Header=BB2_49 Depth=1
	s_trap 2
	ds_read_b64 v[10:11], v0
	v_mov_b32_e32 v36, v37
	ds_write_b64 v0, v[36:37]
	s_waitcnt lgkmcnt(0)
	v_add_co_u32_e32 v1, vcc, v10, v54
	v_addc_co_u32_e32 v3, vcc, v11, v55, vcc
	v_add_co_u32_e32 v10, vcc, v1, v38
	v_addc_co_u32_e32 v11, vcc, v3, v39, vcc
	ds_write_b64 v0, v[10:11]
.LBB2_52:                               ;   in Loop: Header=BB2_49 Depth=1
	s_or_b64 exec, exec, s[20:21]
	v_and_b32_e32 v1, 12, v60
	v_min_u32_e32 v49, v49, v48
	v_cmp_ne_u32_e32 vcc, 0, v1
	s_and_saveexec_b64 s[22:23], vcc
	s_cbranch_execz .LBB2_76
; %bb.53:                               ;   in Loop: Header=BB2_49 Depth=1
	v_and_b32_e32 v1, 8, v60
	v_add_co_u32_e32 v12, vcc, v28, v1
	v_addc_co_u32_e32 v13, vcc, 0, v29, vcc
	v_add_co_u32_e32 v10, vcc, 1, v8
	v_addc_co_u32_e32 v11, vcc, 0, v9, vcc
	v_cmp_lt_u64_e32 vcc, v[12:13], v[10:11]
	s_and_saveexec_b64 s[24:25], vcc
	s_cbranch_execz .LBB2_65
; %bb.54:                               ;   in Loop: Header=BB2_49 Depth=1
	v_and_b32_e32 v3, 64, v60
	s_mov_b32 s69, 0
	v_cmp_eq_u32_e32 vcc, 0, v3
	s_mov_b64 s[78:79], 0
                                        ; implicit-def: $sgpr88_sgpr89
                                        ; implicit-def: $sgpr90_sgpr91
                                        ; implicit-def: $sgpr92_sgpr93
	s_branch .LBB2_58
.LBB2_55:                               ;   in Loop: Header=BB2_58 Depth=2
	s_waitcnt vmcnt(0) lgkmcnt(0)
	v_add_co_u32_e64 v12, s[20:21], v28, v1
	v_addc_co_u32_e64 v13, s[20:21], 0, v29, s[20:21]
	v_cmp_ge_u64_e64 s[20:21], v[12:13], v[10:11]
	s_or_b64 s[34:35], s[34:35], exec
	s_orn2_b64 s[30:31], s[20:21], exec
.LBB2_56:                               ;   in Loop: Header=BB2_58 Depth=2
	s_or_b64 exec, exec, s[38:39]
	s_andn2_b64 s[20:21], s[92:93], exec
	s_and_b64 s[92:93], s[34:35], exec
	s_or_b64 s[92:93], s[20:21], s[92:93]
	s_andn2_b64 s[20:21], s[90:91], exec
	s_and_b64 s[90:91], s[30:31], exec
	s_or_b64 s[90:91], s[20:21], s[90:91]
.LBB2_57:                               ;   in Loop: Header=BB2_58 Depth=2
	s_or_b64 exec, exec, s[94:95]
	s_and_b64 s[20:21], exec, s[90:91]
	s_or_b64 s[78:79], s[20:21], s[78:79]
	s_andn2_b64 s[20:21], s[88:89], exec
	s_and_b64 s[88:89], s[92:93], exec
	s_or_b64 s[88:89], s[20:21], s[88:89]
	s_andn2_b64 exec, exec, s[78:79]
	s_cbranch_execz .LBB2_62
.LBB2_58:                               ;   Parent Loop BB2_49 Depth=1
                                        ; =>  This Inner Loop Header: Depth=2
	s_sleep 1
	s_waitcnt vmcnt(0) lgkmcnt(0)
	flat_load_dwordx2 v[28:29], v[22:23] glc
	s_or_b64 s[92:93], s[92:93], exec
	s_or_b64 s[90:91], s[90:91], exec
                                        ; implicit-def: $vgpr9
	s_and_saveexec_b64 s[94:95], vcc
	s_cbranch_execz .LBB2_57
; %bb.59:                               ;   in Loop: Header=BB2_58 Depth=2
	s_cmpk_lt_i32 s69, 0x270f
	s_cselect_b64 s[36:37], -1, 0
	s_cmpk_gt_i32 s69, 0x270e
	s_mov_b64 s[30:31], -1
	s_cbranch_scc0 .LBB2_61
; %bb.60:                               ;   in Loop: Header=BB2_58 Depth=2
	s_trap 2
	ds_read_b64 v[12:13], v0
	s_andn2_b64 s[36:37], s[36:37], exec
	s_mov_b32 s69, 0
	s_mov_b64 s[34:35], 0
	s_waitcnt vmcnt(0) lgkmcnt(0)
	flat_load_dword v9, v[12:13] glc
	s_waitcnt vmcnt(0) lgkmcnt(0)
	buffer_wbinvl1_vol
	v_cmp_eq_u32_e64 s[20:21], 0, v9
	s_and_b64 s[20:21], s[20:21], exec
	s_or_b64 s[36:37], s[36:37], s[20:21]
	s_and_saveexec_b64 s[38:39], s[36:37]
	s_cbranch_execz .LBB2_56
	s_branch .LBB2_55
.LBB2_61:                               ;   in Loop: Header=BB2_58 Depth=2
	s_add_i32 s69, s69, 1
	s_mov_b64 s[34:35], -1
                                        ; implicit-def: $vgpr9
	s_and_saveexec_b64 s[38:39], s[36:37]
	s_cbranch_execz .LBB2_56
	s_branch .LBB2_55
.LBB2_62:                               ;   in Loop: Header=BB2_49 Depth=1
	s_or_b64 exec, exec, s[78:79]
	s_xor_b64 s[20:21], s[88:89], -1
	s_and_saveexec_b64 s[78:79], s[20:21]
	s_xor_b64 s[20:21], exec, s[78:79]
	s_cbranch_execz .LBB2_64
; %bb.63:                               ;   in Loop: Header=BB2_49 Depth=1
	v_or_b32_e32 v60, 64, v60
	s_waitcnt lgkmcnt(0)
	ds_write_b32 v0, v9
	s_trap 2
.LBB2_64:                               ;   in Loop: Header=BB2_49 Depth=1
	s_or_b64 exec, exec, s[20:21]
.LBB2_65:                               ;   in Loop: Header=BB2_49 Depth=1
	s_or_b64 exec, exec, s[24:25]
	v_and_b32_e32 v3, 0x108, v60
	v_cmp_ne_u32_e32 vcc, s51, v3
	v_and_b32_e32 v14, 7, v8
	;;#ASMSTART
	s_wakeup
	;;#ASMEND
	s_and_saveexec_b64 s[20:21], vcc
	s_xor_b64 s[20:21], exec, s[20:21]
	s_andn2_saveexec_b64 s[20:21], s[20:21]
	s_cbranch_execz .LBB2_67
; %bb.66:                               ;   in Loop: Header=BB2_49 Depth=1
	v_mad_u64_u32 v[8:9], s[24:25], v14, 24, v[6:7]
	v_mov_b32_e32 v50, v37
	flat_store_dwordx2 v[8:9], v[49:50] offset:8
.LBB2_67:                               ;   in Loop: Header=BB2_49 Depth=1
	s_or_b64 exec, exec, s[20:21]
	v_and_b32_e32 v3, 0x100, v60
	v_cmp_ne_u32_e32 vcc, 0, v3
	s_mov_b64 s[20:21], -1
                                        ; implicit-def: $vgpr8_vgpr9
	s_and_saveexec_b64 s[24:25], vcc
	s_cbranch_execz .LBB2_71
; %bb.68:                               ;   in Loop: Header=BB2_49 Depth=1
	v_mad_u64_u32 v[12:13], s[20:21], v14, 24, v[6:7]
	v_mov_b32_e32 v3, v13
	v_mad_u64_u32 v[8:9], s[20:21], v37, 24, v[3:4]
	v_mov_b32_e32 v13, v8
	flat_load_dword v3, v[12:13]
                                        ; implicit-def: $vgpr8_vgpr9
	s_waitcnt vmcnt(0) lgkmcnt(0)
	v_cmp_ne_u32_e32 vcc, 1, v3
	v_cmp_eq_u32_e64 s[20:21], 1, v3
	s_and_saveexec_b64 s[78:79], s[20:21]
	s_cbranch_execz .LBB2_70
; %bb.69:                               ;   in Loop: Header=BB2_49 Depth=1
	flat_load_dword v8, v[12:13] offset:4 glc
	s_waitcnt vmcnt(0) lgkmcnt(0)
	v_ashrrev_i32_e32 v9, 31, v8
.LBB2_70:                               ;   in Loop: Header=BB2_49 Depth=1
	s_or_b64 exec, exec, s[78:79]
	s_orn2_b64 s[20:21], vcc, exec
.LBB2_71:                               ;   in Loop: Header=BB2_49 Depth=1
	s_or_b64 exec, exec, s[24:25]
	s_and_saveexec_b64 s[24:25], s[20:21]
	s_cbranch_execz .LBB2_73
; %bb.72:                               ;   in Loop: Header=BB2_49 Depth=1
	v_mul_lo_u32 v3, v37, v40
	v_mul_lo_u32 v12, v14, v41
	v_mad_u64_u32 v[8:9], s[20:21], v14, v40, 0
	v_add3_u32 v9, v9, v12, v3
.LBB2_73:                               ;   in Loop: Header=BB2_49 Depth=1
	s_or_b64 exec, exec, s[24:25]
	buffer_load_dword v12, off, s[0:3], s33 offset:68 ; 4-byte Folded Reload
	buffer_load_dword v13, off, s[0:3], s33 offset:72 ; 4-byte Folded Reload
	v_cmp_eq_u32_e32 vcc, 0, v1
	v_cndmask_b32_e32 v1, v44, v47, vcc
	v_add_u32_e32 v1, v0, v1
	s_waitcnt vmcnt(0)
	v_add_co_u32_e32 v8, vcc, v12, v8
	v_addc_co_u32_e32 v9, vcc, v13, v9, vcc
	ds_write_b64 v1, v[8:9] offset:584
	v_and_b32_e32 v1, 0x2000, v60
	v_cmp_ne_u32_e32 vcc, 0, v1
	s_and_saveexec_b64 s[20:21], vcc
	s_cbranch_execz .LBB2_75
; %bb.74:                               ;   in Loop: Header=BB2_49 Depth=1
	ds_read_b64 v[8:9], v0 offset:872
	s_waitcnt lgkmcnt(0)
	v_add_co_u32_e32 v8, vcc, 1, v8
	v_addc_co_u32_e32 v9, vcc, 0, v9, vcc
	ds_write_b64 v0, v[8:9] offset:872
.LBB2_75:                               ;   in Loop: Header=BB2_49 Depth=1
	s_or_b64 exec, exec, s[20:21]
	v_mov_b32_e32 v8, v10
	v_mov_b32_e32 v9, v11
.LBB2_76:                               ;   in Loop: Header=BB2_49 Depth=1
	s_or_b64 exec, exec, s[22:23]
	s_and_saveexec_b64 s[20:21], s[10:11]
	s_cbranch_execz .LBB2_95
; %bb.77:                               ;   in Loop: Header=BB2_49 Depth=1
	s_and_saveexec_b64 s[22:23], s[44:45]
	s_xor_b64 s[22:23], exec, s[22:23]
	s_cbranch_execz .LBB2_92
; %bb.78:                               ;   in Loop: Header=BB2_49 Depth=1
	s_and_saveexec_b64 s[24:25], s[12:13]
	s_cbranch_execz .LBB2_91
; %bb.79:                               ;   in Loop: Header=BB2_49 Depth=1
	s_mov_b64 s[88:89], exec
	v_mbcnt_lo_u32_b32 v1, s88, 0
	v_mbcnt_hi_u32_b32 v1, s89, v1
	v_cmp_eq_u32_e32 vcc, 0, v1
	s_waitcnt vmcnt(0) lgkmcnt(0)
	buffer_wbinvl1_vol
	s_and_saveexec_b64 s[78:79], vcc
	s_cbranch_execz .LBB2_81
; %bb.80:                               ;   in Loop: Header=BB2_49 Depth=1
	s_bcnt1_i32_b64 s88, s[88:89]
	v_mov_b32_e32 v36, s88
	ds_add_u64 v0, v[36:37]
	s_trap 2
.LBB2_81:                               ;   in Loop: Header=BB2_49 Depth=1
	s_or_b64 exec, exec, s[78:79]
	s_trap 2
	ds_read_b64 v[10:11], v0
	s_waitcnt lgkmcnt(0)
	v_add_co_u32_e32 v26, vcc, v26, v18
	v_addc_co_u32_e32 v27, vcc, 0, v27, vcc
	v_cmp_lt_u64_e32 vcc, v[10:11], v[26:27]
	s_and_saveexec_b64 s[78:79], vcc
	s_cbranch_execz .LBB2_90
; %bb.82:                               ;   in Loop: Header=BB2_49 Depth=1
	s_mov_b32 s34, 0
	s_mov_b64 s[88:89], 0
                                        ; implicit-def: $sgpr90_sgpr91
                                        ; implicit-def: $sgpr92_sgpr93
	s_branch .LBB2_84
.LBB2_83:                               ;   in Loop: Header=BB2_84 Depth=2
	s_or_b64 exec, exec, s[30:31]
	s_and_b64 s[94:95], exec, vcc
	s_or_b64 s[88:89], s[94:95], s[88:89]
	s_andn2_b64 s[90:91], s[90:91], exec
	s_and_b64 s[94:95], s[92:93], exec
	s_or_b64 s[90:91], s[90:91], s[94:95]
	s_andn2_b64 exec, exec, s[88:89]
	s_cbranch_execz .LBB2_88
.LBB2_84:                               ;   Parent Loop BB2_49 Depth=1
                                        ; =>  This Inner Loop Header: Depth=2
	s_add_i32 s34, s34, 1
	s_cmpk_lg_i32 s34, 0x2710
	s_cselect_b64 s[94:95], -1, 0
	s_and_b64 vcc, exec, s[94:95]
	s_cbranch_vccz .LBB2_86
; %bb.85:                               ;   in Loop: Header=BB2_84 Depth=2
	s_mov_b64 vcc, -1
	s_or_b64 s[92:93], s[92:93], exec
	s_and_saveexec_b64 s[30:31], s[94:95]
	s_cbranch_execz .LBB2_83
	s_branch .LBB2_87
.LBB2_86:                               ;   in Loop: Header=BB2_84 Depth=2
	s_trap 2
	ds_read_b64 v[10:11], v0
	s_andn2_b64 s[94:95], s[94:95], exec
	s_mov_b32 s34, 0
	s_waitcnt lgkmcnt(0)
	flat_load_dword v1, v[10:11] glc
	s_waitcnt vmcnt(0) lgkmcnt(0)
	buffer_wbinvl1_vol
	v_cmp_eq_u32_e32 vcc, 0, v1
	s_and_b64 vcc, vcc, exec
	s_or_b64 s[94:95], s[94:95], vcc
	s_mov_b64 vcc, -1
	s_or_b64 s[92:93], s[92:93], exec
	s_and_saveexec_b64 s[30:31], s[94:95]
	s_cbranch_execz .LBB2_83
.LBB2_87:                               ;   in Loop: Header=BB2_84 Depth=2
	s_sleep 1
	s_trap 2
	ds_read_b64 v[10:11], v0
	s_waitcnt lgkmcnt(0)
	s_andn2_b64 s[92:93], s[92:93], exec
	v_cmp_ge_u64_e32 vcc, v[10:11], v[26:27]
	s_orn2_b64 vcc, vcc, exec
	s_branch .LBB2_83
.LBB2_88:                               ;   in Loop: Header=BB2_49 Depth=1
	s_or_b64 exec, exec, s[88:89]
	s_and_saveexec_b64 s[88:89], s[90:91]
	s_xor_b64 s[88:89], exec, s[88:89]
	s_cbranch_execz .LBB2_90
; %bb.89:                               ;   in Loop: Header=BB2_49 Depth=1
	ds_write_b32 v0, v43
	s_trap 2
.LBB2_90:                               ;   in Loop: Header=BB2_49 Depth=1
	s_or_b64 exec, exec, s[78:79]
	;;#ASMSTART
	s_wakeup
	;;#ASMEND
.LBB2_91:                               ;   in Loop: Header=BB2_49 Depth=1
	s_or_b64 exec, exec, s[24:25]
.LBB2_92:                               ;   in Loop: Header=BB2_49 Depth=1
	s_andn2_saveexec_b64 s[22:23], s[22:23]
	s_cbranch_execz .LBB2_94
; %bb.93:                               ;   in Loop: Header=BB2_49 Depth=1
	s_waitcnt vmcnt(0) lgkmcnt(0)
	buffer_wbinvl1_vol
	s_barrier
.LBB2_94:                               ;   in Loop: Header=BB2_49 Depth=1
	s_or_b64 exec, exec, s[22:23]
.LBB2_95:                               ;   in Loop: Header=BB2_49 Depth=1
	s_or_b64 exec, exec, s[20:21]
	s_trap 2
	ds_read_b32 v1, v0
	v_and_b32_e32 v3, 0x4000, v60
	v_cmp_ne_u32_e32 vcc, 0, v3
	s_and_b64 s[22:23], s[56:57], vcc
	s_and_saveexec_b64 s[20:21], s[22:23]
	s_cbranch_execz .LBB2_114
; %bb.96:                               ;   in Loop: Header=BB2_49 Depth=1
	s_and_saveexec_b64 s[22:23], s[44:45]
	s_xor_b64 s[22:23], exec, s[22:23]
	s_cbranch_execz .LBB2_111
; %bb.97:                               ;   in Loop: Header=BB2_49 Depth=1
	s_and_saveexec_b64 s[24:25], s[12:13]
	s_cbranch_execz .LBB2_110
; %bb.98:                               ;   in Loop: Header=BB2_49 Depth=1
	s_mov_b64 s[88:89], exec
	v_mbcnt_lo_u32_b32 v3, s88, 0
	v_mbcnt_hi_u32_b32 v3, s89, v3
	v_cmp_eq_u32_e32 vcc, 0, v3
	s_waitcnt vmcnt(0) lgkmcnt(0)
	buffer_wbinvl1_vol
	s_and_saveexec_b64 s[78:79], vcc
	s_cbranch_execz .LBB2_100
; %bb.99:                               ;   in Loop: Header=BB2_49 Depth=1
	s_bcnt1_i32_b64 s88, s[88:89]
	v_mov_b32_e32 v36, s88
	ds_add_u64 v0, v[36:37]
	s_trap 2
.LBB2_100:                              ;   in Loop: Header=BB2_49 Depth=1
	s_or_b64 exec, exec, s[78:79]
	s_trap 2
	ds_read_b64 v[10:11], v0
	s_waitcnt lgkmcnt(0)
	v_add_co_u32_e32 v26, vcc, v26, v18
	v_addc_co_u32_e32 v27, vcc, 0, v27, vcc
	v_cmp_lt_u64_e32 vcc, v[10:11], v[26:27]
	s_and_saveexec_b64 s[78:79], vcc
	s_cbranch_execz .LBB2_109
; %bb.101:                              ;   in Loop: Header=BB2_49 Depth=1
	s_mov_b32 s34, 0
	s_mov_b64 s[88:89], 0
                                        ; implicit-def: $sgpr90_sgpr91
                                        ; implicit-def: $sgpr92_sgpr93
	s_branch .LBB2_103
.LBB2_102:                              ;   in Loop: Header=BB2_103 Depth=2
	s_or_b64 exec, exec, s[30:31]
	s_and_b64 s[94:95], exec, vcc
	s_or_b64 s[88:89], s[94:95], s[88:89]
	s_andn2_b64 s[90:91], s[90:91], exec
	s_and_b64 s[94:95], s[92:93], exec
	s_or_b64 s[90:91], s[90:91], s[94:95]
	s_andn2_b64 exec, exec, s[88:89]
	s_cbranch_execz .LBB2_107
.LBB2_103:                              ;   Parent Loop BB2_49 Depth=1
                                        ; =>  This Inner Loop Header: Depth=2
	s_add_i32 s34, s34, 1
	s_cmpk_lg_i32 s34, 0x2710
	s_cselect_b64 s[94:95], -1, 0
	s_and_b64 vcc, exec, s[94:95]
	s_cbranch_vccz .LBB2_105
; %bb.104:                              ;   in Loop: Header=BB2_103 Depth=2
	s_mov_b64 vcc, -1
	s_or_b64 s[92:93], s[92:93], exec
	s_and_saveexec_b64 s[30:31], s[94:95]
	s_cbranch_execz .LBB2_102
	s_branch .LBB2_106
.LBB2_105:                              ;   in Loop: Header=BB2_103 Depth=2
	s_trap 2
	ds_read_b64 v[10:11], v0
	s_andn2_b64 s[94:95], s[94:95], exec
	s_mov_b32 s34, 0
	s_waitcnt lgkmcnt(0)
	flat_load_dword v3, v[10:11] glc
	s_waitcnt vmcnt(0) lgkmcnt(0)
	buffer_wbinvl1_vol
	v_cmp_eq_u32_e32 vcc, 0, v3
	s_and_b64 vcc, vcc, exec
	s_or_b64 s[94:95], s[94:95], vcc
	s_mov_b64 vcc, -1
	s_or_b64 s[92:93], s[92:93], exec
	s_and_saveexec_b64 s[30:31], s[94:95]
	s_cbranch_execz .LBB2_102
.LBB2_106:                              ;   in Loop: Header=BB2_103 Depth=2
	s_sleep 1
	s_trap 2
	ds_read_b64 v[10:11], v0
	s_waitcnt lgkmcnt(0)
	s_andn2_b64 s[92:93], s[92:93], exec
	v_cmp_ge_u64_e32 vcc, v[10:11], v[26:27]
	s_orn2_b64 vcc, vcc, exec
	s_branch .LBB2_102
.LBB2_107:                              ;   in Loop: Header=BB2_49 Depth=1
	s_or_b64 exec, exec, s[88:89]
	s_and_saveexec_b64 s[88:89], s[90:91]
	s_xor_b64 s[88:89], exec, s[88:89]
	s_cbranch_execz .LBB2_109
; %bb.108:                              ;   in Loop: Header=BB2_49 Depth=1
	ds_write_b32 v0, v43
	s_trap 2
.LBB2_109:                              ;   in Loop: Header=BB2_49 Depth=1
	s_or_b64 exec, exec, s[78:79]
	;;#ASMSTART
	s_wakeup
	;;#ASMEND
.LBB2_110:                              ;   in Loop: Header=BB2_49 Depth=1
	s_or_b64 exec, exec, s[24:25]
.LBB2_111:                              ;   in Loop: Header=BB2_49 Depth=1
	s_andn2_saveexec_b64 s[22:23], s[22:23]
	s_cbranch_execz .LBB2_113
; %bb.112:                              ;   in Loop: Header=BB2_49 Depth=1
	s_waitcnt vmcnt(0) lgkmcnt(0)
	buffer_wbinvl1_vol
	s_barrier
.LBB2_113:                              ;   in Loop: Header=BB2_49 Depth=1
	s_or_b64 exec, exec, s[22:23]
.LBB2_114:                              ;   in Loop: Header=BB2_49 Depth=1
	s_or_b64 exec, exec, s[20:21]
	s_trap 2
	ds_read_b64 v[11:12], v0
	s_waitcnt lgkmcnt(0)
	v_cmp_eq_u64_e32 vcc, 0, v[11:12]
	s_cbranch_vccnz .LBB2_122
; %bb.115:                              ;   in Loop: Header=BB2_49 Depth=1
	s_trap 2
	ds_read_b64 v[16:17], v0
	s_waitcnt lgkmcnt(0)
	v_cmp_eq_u64_e32 vcc, 0, v[16:17]
	s_cbranch_vccnz .LBB2_122
; %bb.116:                              ;   in Loop: Header=BB2_49 Depth=1
	s_mov_b64 s[20:21], -1
	s_and_saveexec_b64 s[22:23], s[14:15]
	s_cbranch_execz .LBB2_118
; %bb.117:                              ;   in Loop: Header=BB2_49 Depth=1
	ds_read_b32 v3, v0 offset:720
	s_waitcnt lgkmcnt(0)
	v_and_b32_e32 v3, 15, v3
	v_cmp_eq_u32_e32 vcc, 0, v3
	s_orn2_b64 s[20:21], vcc, exec
.LBB2_118:                              ;   in Loop: Header=BB2_49 Depth=1
	s_or_b64 exec, exec, s[22:23]
	s_and_saveexec_b64 s[22:23], s[16:17]
	s_cbranch_execz .LBB2_120
; %bb.119:                              ;   in Loop: Header=BB2_49 Depth=1
	ds_read_b32 v3, v0 offset:784
	s_waitcnt lgkmcnt(0)
	v_and_b32_e32 v3, 15, v3
	v_cmp_eq_u32_e32 vcc, 0, v3
	s_and_b64 s[24:25], s[20:21], vcc
	s_andn2_b64 s[20:21], s[20:21], exec
	s_and_b64 s[24:25], s[24:25], exec
	s_or_b64 s[20:21], s[20:21], s[24:25]
.LBB2_120:                              ;   in Loop: Header=BB2_49 Depth=1
	s_or_b64 exec, exec, s[22:23]
	v_cmp_eq_u32_e32 vcc, 0, v1
	s_xor_b64 s[20:21], s[20:21], -1
	v_cndmask_b32_e32 v56, 0, v49, vcc
	v_cndmask_b32_e64 v1, 0, 1, s[20:21]
	s_mov_b64 s[78:79], -1
	v_cmp_ne_u32_e32 vcc, 0, v1
	v_mov_b32_e32 v13, 0
	v_mov_b32_e32 v10, v56
	v_mov_b32_e32 v1, v46
	s_cbranch_vccz .LBB2_123
; %bb.121:                              ;   in Loop: Header=BB2_49 Depth=1
	s_and_saveexec_b64 s[22:23], s[78:79]
	s_cbranch_execnz .LBB2_1222
	s_branch .LBB2_1590
.LBB2_122:                              ;   in Loop: Header=BB2_49 Depth=1
	s_mov_b64 s[20:21], 0
	s_and_saveexec_b64 s[22:23], s[10:11]
	s_cbranch_execnz .LBB2_1591
	s_branch .LBB2_1609
.LBB2_123:                              ;   in Loop: Header=BB2_49 Depth=1
	buffer_store_dword v16, off, s[0:3], s33 offset:92 ; 4-byte Folded Spill
	s_nop 0
	buffer_store_dword v17, off, s[0:3], s33 offset:96 ; 4-byte Folded Spill
	buffer_load_dword v1, off, s[0:3], s33 offset:108 ; 4-byte Folded Reload
	buffer_load_dword v3, off, s[0:3], s33 offset:168 ; 4-byte Folded Reload
	v_and_b32_e32 v31, 0x3ff, v56
	v_cmp_lt_u32_e32 vcc, 15, v31
	buffer_store_dword v56, off, s[0:3], s33 offset:88 ; 4-byte Folded Spill
	s_waitcnt vmcnt(0)
	v_sub_u32_e32 v57, v56, v1
	v_lshrrev_b32_e32 v1, 10, v56
	s_waitcnt vmcnt(1)
	v_addc_co_u32_e64 v56, s[20:21], v1, v3, vcc
	v_cmp_lt_i32_e64 s[20:21], 15, v57
	s_and_saveexec_b64 s[78:79], s[20:21]
	s_cbranch_execz .LBB2_671
; %bb.124:                              ;   in Loop: Header=BB2_49 Depth=1
	s_trap 2
	buffer_load_dword v1, off, s[0:3], s33 offset:108 ; 4-byte Folded Reload
	buffer_load_dword v3, off, s[0:3], s33 offset:176 ; 4-byte Folded Reload
	v_mov_b32_e32 v13, v12
	v_mov_b32_e32 v12, v11
	ds_read_b64 v[10:11], v0
	s_mov_b64 s[88:89], 0
	s_waitcnt vmcnt(1)
	v_add_co_u32_e64 v54, s[20:21], v12, v1
	buffer_store_dword v12, off, s[0:3], s33 offset:160 ; 4-byte Folded Spill
	s_nop 0
	buffer_store_dword v13, off, s[0:3], s33 offset:164 ; 4-byte Folded Spill
	s_waitcnt vmcnt(2)
	v_addc_co_u32_e64 v55, s[20:21], v13, v3, s[20:21]
	s_waitcnt lgkmcnt(0)
	v_add_co_u32_e64 v40, s[20:21], v10, v1
	v_addc_co_u32_e64 v41, s[20:21], v11, v3, s[20:21]
	buffer_load_dword v10, off, s[0:3], s33 offset:92 ; 4-byte Folded Reload
	buffer_load_dword v11, off, s[0:3], s33 offset:96 ; 4-byte Folded Reload
	s_waitcnt vmcnt(1)
	v_add_co_u32_e64 v42, s[20:21], v10, v1
	s_waitcnt vmcnt(0)
	v_addc_co_u32_e64 v43, s[20:21], v11, v3, s[20:21]
	s_branch .LBB2_127
.LBB2_125:                              ;   in Loop: Header=BB2_127 Depth=2
	s_or_b64 exec, exec, s[24:25]
.LBB2_126:                              ;   in Loop: Header=BB2_127 Depth=2
	s_or_b64 exec, exec, s[22:23]
	v_lshl_or_b32 v3, v59, 8, v47
	v_lshlrev_b32_e32 v11, 16, v46
	v_lshlrev_b32_e32 v12, 24, v30
	v_or3_b32 v12, v3, v11, v12
	v_lshl_or_b32 v1, v1, 8, v58
	v_lshlrev_b32_e32 v3, 16, v50
	v_lshlrev_b32_e32 v11, 24, v51
	v_or3_b32 v11, v1, v3, v11
	v_lshl_or_b32 v1, v53, 8, v52
	v_lshlrev_b32_e32 v3, 16, v62
	v_lshlrev_b32_e32 v13, 24, v24
	v_or3_b32 v13, v1, v3, v13
	v_lshlrev_b32_e32 v1, 24, v10
	v_lshlrev_b32_e32 v3, 16, v14
	v_lshl_or_b32 v10, v44, 8, v25
	v_or3_b32 v14, v10, v3, v1
	buffer_load_dword v1, off, s[0:3], s33 offset:60 ; 4-byte Folded Reload
	v_sub_u32_e32 v56, v56, v18
	global_store_dwordx4 v[42:43], v[11:14], off glc slc
	s_waitcnt vmcnt(1)
	v_add_co_u32_e64 v54, s[20:21], v54, v1
	v_addc_co_u32_e64 v55, s[20:21], 0, v55, s[20:21]
	v_add_co_u32_e64 v40, s[20:21], v40, v1
	v_addc_co_u32_e64 v41, s[20:21], 0, v41, s[20:21]
	;; [unrolled: 2-line block ×3, first 2 shown]
	v_sub_u32_e32 v57, v57, v1
	v_cmp_gt_i32_e64 s[20:21], 16, v57
	s_or_b64 s[88:89], s[20:21], s[88:89]
	s_andn2_b64 exec, exec, s[88:89]
	s_cbranch_execz .LBB2_670
.LBB2_127:                              ;   Parent Loop BB2_49 Depth=1
                                        ; =>  This Inner Loop Header: Depth=2
	global_load_dwordx4 v[14:17], v[54:55], off glc slc
	global_load_dwordx4 v[10:13], v[40:41], off glc slc
	v_mov_b32_e32 v1, 0
	s_waitcnt vmcnt(1)
	v_cmp_ne_u16_sdwa s[20:21], v14, v37 src0_sel:BYTE_0 src1_sel:DWORD
	s_and_saveexec_b64 s[22:23], s[20:21]
	s_cbranch_execz .LBB2_135
; %bb.128:                              ;   in Loop: Header=BB2_127 Depth=2
	v_cmp_ne_u16_sdwa s[20:21], sext(v14), s52 src0_sel:BYTE_0 src1_sel:DWORD
	v_bfrev_b32_e32 v1, 1
	s_and_saveexec_b64 s[24:25], s[20:21]
	s_cbranch_execz .LBB2_134
; %bb.129:                              ;   in Loop: Header=BB2_127 Depth=2
	v_and_b32_e32 v1, 0x7c, v14
	v_and_b32_e32 v3, 3, v14
	v_cmp_ne_u32_e64 s[20:21], s53, v1
                                        ; implicit-def: $vgpr1
	s_and_saveexec_b64 s[90:91], s[20:21]
	s_xor_b64 s[90:91], exec, s[90:91]
	s_cbranch_execz .LBB2_131
; %bb.130:                              ;   in Loop: Header=BB2_127 Depth=2
	v_ffbh_u32_e32 v24, v3
	v_min_u32_e32 v30, 32, v24
	v_subrev_u32_e32 v24, 29, v30
	v_lshlrev_b64 v[24:25], v24, v[14:15]
	v_bfe_u32 v1, v14, 2, 5
	v_and_b32_e32 v24, 3, v24
	v_cmp_eq_u32_e64 s[20:21], 0, v1
	v_sub_u32_e32 v25, 30, v30
	v_cndmask_b32_e64 v3, v3, v24, s[20:21]
	v_lshlrev_b32_e32 v24, 24, v14
	v_cndmask_b32_e64 v1, v1, v25, s[20:21]
	v_and_b32_e32 v24, 0x80000000, v24
	v_lshl_add_u32 v1, v1, 23, v24
	v_lshl_or_b32 v1, v3, 21, v1
	v_add_u32_e32 v1, 0x38000000, v1
                                        ; implicit-def: $vgpr3
.LBB2_131:                              ;   in Loop: Header=BB2_127 Depth=2
	s_andn2_saveexec_b64 s[90:91], s[90:91]
; %bb.132:                              ;   in Loop: Header=BB2_127 Depth=2
	v_cmp_gt_i16_sdwa s[20:21], sext(v14), v20 src0_sel:BYTE_0 src1_sel:DWORD
	v_cndmask_b32_e64 v1, v21, v61, s[20:21]
	v_cmp_eq_u32_e64 s[20:21], 0, v3
	v_cndmask_b32_e64 v1, v2, v1, s[20:21]
; %bb.133:                              ;   in Loop: Header=BB2_127 Depth=2
	s_or_b64 exec, exec, s[90:91]
.LBB2_134:                              ;   in Loop: Header=BB2_127 Depth=2
	s_or_b64 exec, exec, s[24:25]
.LBB2_135:                              ;   in Loop: Header=BB2_127 Depth=2
	s_or_b64 exec, exec, s[22:23]
	s_waitcnt vmcnt(0)
	v_cmp_gt_i16_sdwa s[22:23], v10, s55 src0_sel:BYTE_0 src1_sel:DWORD
	s_mov_b64 s[20:21], 0
	s_and_saveexec_b64 s[24:25], s[22:23]
	s_xor_b64 s[22:23], exec, s[24:25]
	s_cbranch_execz .LBB2_650
; %bb.136:                              ;   in Loop: Header=BB2_127 Depth=2
	v_cmp_eq_u16_sdwa s[90:91], v10, s64 src0_sel:BYTE_0 src1_sel:DWORD
	s_mov_b64 s[20:21], -1
	s_and_saveexec_b64 s[24:25], s[90:91]
; %bb.137:                              ;   in Loop: Header=BB2_127 Depth=2
	s_xor_b64 s[20:21], exec, -1
; %bb.138:                              ;   in Loop: Header=BB2_127 Depth=2
	s_or_b64 exec, exec, s[24:25]
	s_and_b64 s[20:21], s[20:21], exec
	s_or_saveexec_b64 s[22:23], s[22:23]
	v_bfrev_b32_e32 v3, 1
	s_xor_b64 exec, exec, s[22:23]
	s_cbranch_execnz .LBB2_651
.LBB2_139:                              ;   in Loop: Header=BB2_127 Depth=2
	s_or_b64 exec, exec, s[22:23]
	s_and_saveexec_b64 s[90:91], s[20:21]
	s_cbranch_execz .LBB2_141
.LBB2_140:                              ;   in Loop: Header=BB2_127 Depth=2
	v_and_b32_e32 v3, 3, v10
	v_and_b32_e32 v24, 0x7c, v10
	v_cmp_eq_u32_e64 s[20:21], s53, v24
	v_ffbh_u32_e32 v24, v3
	v_min_u32_e32 v34, 32, v24
	v_subrev_u32_e32 v24, 29, v34
	v_bfe_u32 v30, v10, 2, 5
	v_lshlrev_b64 v[24:25], v24, v[10:11]
	v_cmp_eq_u32_e64 s[22:23], 0, v30
	v_sub_u32_e32 v25, 30, v34
	v_cndmask_b32_e64 v25, v30, v25, s[22:23]
	v_lshlrev_b32_e32 v30, 24, v10
	v_and_b32_e32 v24, 3, v24
	v_and_b32_e32 v30, 0x80000000, v30
	v_cndmask_b32_e64 v24, v3, v24, s[22:23]
	v_lshl_add_u32 v25, v25, 23, v30
	v_cmp_gt_i16_sdwa s[24:25], sext(v10), v20 src0_sel:BYTE_0 src1_sel:DWORD
	v_lshl_or_b32 v24, v24, 21, v25
	v_cmp_eq_u32_e64 s[22:23], 0, v3
	v_cndmask_b32_e64 v3, v21, v61, s[24:25]
	v_add_u32_e32 v24, 0x38000000, v24
	v_cndmask_b32_e64 v3, v2, v3, s[22:23]
	v_cndmask_b32_e64 v3, v24, v3, s[20:21]
.LBB2_141:                              ;   in Loop: Header=BB2_127 Depth=2
	s_or_b64 exec, exec, s[90:91]
	v_mul_f32_e32 v24, v1, v3
	v_and_b32_e32 v50, 0x7f800000, v24
	v_mov_b32_e32 v51, v37
	v_cmp_ne_u64_e64 s[20:21], s[60:61], v[50:51]
	v_and_b32_e32 v36, 0x7fffff, v24
                                        ; implicit-def: $vgpr58
	s_and_saveexec_b64 s[22:23], s[20:21]
	s_xor_b64 s[24:25], exec, s[22:23]
	s_cbranch_execz .LBB2_155
; %bb.142:                              ;   in Loop: Header=BB2_127 Depth=2
	v_and_b32_e32 v50, 0x7fffffff, v24
	v_mov_b32_e32 v51, v37
	v_cmp_gt_u64_e64 s[20:21], s[62:63], v[50:51]
	v_and_b32_sdwa v1, v24, s64 dst_sel:DWORD dst_unused:UNUSED_PAD src0_sel:BYTE_3 src1_sel:DWORD
                                        ; implicit-def: $vgpr58
	s_and_saveexec_b64 s[22:23], s[20:21]
	s_xor_b64 s[90:91], exec, s[22:23]
	s_cbranch_execz .LBB2_152
; %bb.143:                              ;   in Loop: Header=BB2_127 Depth=2
	v_mov_b32_e32 v58, 0
	v_cmp_ne_u32_e64 s[20:21], 0, v24
	s_and_saveexec_b64 s[92:93], s[20:21]
	s_cbranch_execz .LBB2_151
; %bb.144:                              ;   in Loop: Header=BB2_127 Depth=2
	v_bfe_u32 v24, v24, 23, 8
	v_cmp_gt_u32_e64 s[22:23], s65, v24
	v_sub_u32_e32 v3, 0x71, v24
	v_cmp_eq_u32_e64 s[20:21], 0, v24
	v_cndmask_b32_e64 v3, 0, v3, s[22:23]
	v_mov_b32_e32 v30, 0x70
	v_or_b32_e32 v25, 0x800000, v36
	v_cndmask_b32_e64 v3, v3, v30, s[20:21]
	v_cndmask_b32_e64 v36, v25, v36, s[20:21]
	v_add_u32_e32 v25, 21, v3
	v_lshlrev_b64 v[50:51], v25, -1
	v_add_u32_e32 v25, 20, v3
	v_lshlrev_b64 v[52:53], v25, 1
	v_lshrrev_b64 v[44:45], v3, v[36:37]
	v_bfi_b32 v51, v51, 0, 0
	v_bfi_b32 v50, v50, 0, v36
	v_cmp_eq_u64_e64 s[22:23], v[50:51], v[52:53]
	v_mov_b32_e32 v46, v45
	v_mov_b32_e32 v45, v44
	s_and_saveexec_b64 s[94:95], s[22:23]
; %bb.145:                              ;   in Loop: Header=BB2_127 Depth=2
	v_bfe_u32 v25, v44, 21, 1
	v_add_co_u32_e64 v25, s[22:23], v44, v25
	v_add_co_u32_e64 v45, s[22:23], -1, v25
; %bb.146:                              ;   in Loop: Header=BB2_127 Depth=2
	s_or_b64 exec, exec, s[94:95]
	v_add_u32_e32 v24, 0xffffff81, v24
	v_mov_b32_e32 v25, 0xffffff82
	v_cndmask_b32_e64 v24, v24, v25, s[20:21]
	v_lshrrev_b32_e32 v25, 23, v44
	v_add3_u32 v25, v3, v24, v25
	v_add_u32_e32 v24, 14, v25
	v_and_b32_e32 v3, 0x1fffff, v45
	v_add_u32_e32 v36, v3, v44
	v_cmp_ne_u32_e64 s[20:21], 0, v24
                                        ; implicit-def: $vgpr44_vgpr45
                                        ; implicit-def: $vgpr3
	s_and_saveexec_b64 s[22:23], s[20:21]
	s_xor_b64 s[22:23], exec, s[22:23]
; %bb.147:                              ;   in Loop: Header=BB2_127 Depth=2
	v_cmp_lt_u64_e64 s[20:21], s[72:73], v[36:37]
	v_add_u32_e32 v3, 15, v25
	v_cndmask_b32_e64 v3, v24, v3, s[20:21]
	v_cndmask_b32_e64 v24, 0, 1, s[20:21]
	v_lshrrev_b64 v[44:45], v24, v[36:37]
; %bb.148:                              ;   in Loop: Header=BB2_127 Depth=2
	s_andn2_saveexec_b64 s[20:21], s[22:23]
; %bb.149:                              ;   in Loop: Header=BB2_127 Depth=2
	v_mov_b32_e32 v45, v37
	v_bfe_u32 v3, v36, 23, 1
	v_mov_b32_e32 v44, v36
; %bb.150:                              ;   in Loop: Header=BB2_127 Depth=2
	s_or_b64 exec, exec, s[20:21]
	v_lshrrev_b64 v[24:25], 21, v[44:45]
	v_cmp_gt_i32_e64 s[20:21], 32, v3
	v_cndmask_b32_e64 v25, 0, v25, s[20:21]
	v_cndmask_b32_e64 v24, 3, v24, s[20:21]
	v_cmp_eq_u32_e64 s[20:21], 0, v3
	v_min_i32_e32 v3, 31, v3
	v_cmp_eq_u64_e64 s[22:23], 0, v[24:25]
	v_lshlrev_b32_e32 v3, 2, v3
	v_and_b32_e32 v3, 0xfc, v3
	v_and_or_b32 v3, v24, 3, v3
	s_and_b64 s[20:21], s[20:21], s[22:23]
	v_cndmask_b32_e64 v3, v3, 0, s[20:21]
	v_or_b32_e32 v58, v3, v1
.LBB2_151:                              ;   in Loop: Header=BB2_127 Depth=2
	s_or_b64 exec, exec, s[92:93]
                                        ; implicit-def: $vgpr1
.LBB2_152:                              ;   in Loop: Header=BB2_127 Depth=2
	s_andn2_saveexec_b64 s[20:21], s[90:91]
; %bb.153:                              ;   in Loop: Header=BB2_127 Depth=2
	v_or_b32_e32 v58, 0x7b, v1
; %bb.154:                              ;   in Loop: Header=BB2_127 Depth=2
	s_or_b64 exec, exec, s[20:21]
                                        ; implicit-def: $vgpr24
.LBB2_155:                              ;   in Loop: Header=BB2_127 Depth=2
	s_andn2_saveexec_b64 s[22:23], s[24:25]
	s_cbranch_execz .LBB2_161
; %bb.156:                              ;   in Loop: Header=BB2_127 Depth=2
	v_cmp_ne_u64_e64 s[20:21], 0, v[36:37]
                                        ; implicit-def: $vgpr58
	s_and_saveexec_b64 s[24:25], s[20:21]
	s_xor_b64 s[20:21], exec, s[24:25]
; %bb.157:                              ;   in Loop: Header=BB2_127 Depth=2
	v_or_b32_sdwa v58, v24, s55 dst_sel:DWORD dst_unused:UNUSED_PAD src0_sel:BYTE_3 src1_sel:DWORD
                                        ; implicit-def: $vgpr24
; %bb.158:                              ;   in Loop: Header=BB2_127 Depth=2
	s_andn2_saveexec_b64 s[24:25], s[20:21]
; %bb.159:                              ;   in Loop: Header=BB2_127 Depth=2
	v_cmp_lt_i32_e64 s[20:21], -1, v24
	v_bfrev_b32_e32 v1, 0.5
	v_cndmask_b32_e64 v58, v1, v19, s[20:21]
; %bb.160:                              ;   in Loop: Header=BB2_127 Depth=2
	s_or_b64 exec, exec, s[24:25]
.LBB2_161:                              ;   in Loop: Header=BB2_127 Depth=2
	s_or_b64 exec, exec, s[22:23]
	v_lshrrev_b16_e32 v36, 8, v14
	v_cmp_ne_u16_e64 s[20:21], 0, v36
	v_mov_b32_e32 v1, 0
	s_and_saveexec_b64 s[22:23], s[20:21]
	s_cbranch_execz .LBB2_169
; %bb.162:                              ;   in Loop: Header=BB2_127 Depth=2
	v_cmp_ne_u16_e64 s[20:21], s64, v36
	v_bfrev_b32_e32 v1, 1
	s_and_saveexec_b64 s[24:25], s[20:21]
	s_cbranch_execz .LBB2_168
; %bb.163:                              ;   in Loop: Header=BB2_127 Depth=2
	v_and_b32_e32 v1, 0x7c, v36
	v_and_b32_e32 v3, 3, v36
	v_cmp_ne_u32_e64 s[20:21], s53, v1
                                        ; implicit-def: $vgpr1
	s_and_saveexec_b64 s[90:91], s[20:21]
	s_xor_b64 s[90:91], exec, s[90:91]
	s_cbranch_execz .LBB2_165
; %bb.164:                              ;   in Loop: Header=BB2_127 Depth=2
	v_ffbh_u32_e32 v24, v3
	v_min_u32_e32 v30, 32, v24
	v_subrev_u32_e32 v24, 29, v30
	v_lshlrev_b64 v[24:25], v24, v[36:37]
	v_bfe_u32 v1, v36, 2, 5
	v_and_b32_e32 v24, 3, v24
	v_cmp_eq_u32_e64 s[20:21], 0, v1
	v_sub_u32_e32 v25, 30, v30
	v_cndmask_b32_e64 v3, v3, v24, s[20:21]
	v_lshlrev_b32_e32 v24, 16, v14
	v_cndmask_b32_e64 v1, v1, v25, s[20:21]
	v_and_b32_e32 v24, 0x80000000, v24
	v_lshl_add_u32 v1, v1, 23, v24
	v_lshl_or_b32 v1, v3, 21, v1
	v_add_u32_e32 v1, 0x38000000, v1
                                        ; implicit-def: $vgpr3
.LBB2_165:                              ;   in Loop: Header=BB2_127 Depth=2
	s_andn2_saveexec_b64 s[90:91], s[90:91]
; %bb.166:                              ;   in Loop: Header=BB2_127 Depth=2
	v_cmp_lt_i16_e64 s[20:21], -1, v14
	v_cndmask_b32_e64 v1, v21, v61, s[20:21]
	v_cmp_eq_u32_e64 s[20:21], 0, v3
	v_cndmask_b32_e64 v1, v2, v1, s[20:21]
; %bb.167:                              ;   in Loop: Header=BB2_127 Depth=2
	s_or_b64 exec, exec, s[90:91]
.LBB2_168:                              ;   in Loop: Header=BB2_127 Depth=2
	s_or_b64 exec, exec, s[24:25]
.LBB2_169:                              ;   in Loop: Header=BB2_127 Depth=2
	s_or_b64 exec, exec, s[22:23]
	v_lshrrev_b16_e32 v36, 8, v10
	v_cmp_lt_i16_e64 s[20:21], s55, v36
	s_mov_b64 s[22:23], 0
	s_and_saveexec_b64 s[24:25], s[20:21]
	s_xor_b64 s[24:25], exec, s[24:25]
	s_cbranch_execz .LBB2_652
; %bb.170:                              ;   in Loop: Header=BB2_127 Depth=2
	v_cmp_eq_u16_e64 s[20:21], s64, v36
	s_mov_b64 s[22:23], -1
	s_and_saveexec_b64 s[90:91], s[20:21]
; %bb.171:                              ;   in Loop: Header=BB2_127 Depth=2
	s_xor_b64 s[22:23], exec, -1
; %bb.172:                              ;   in Loop: Header=BB2_127 Depth=2
	s_or_b64 exec, exec, s[90:91]
	s_and_b64 s[22:23], s[22:23], exec
	s_or_saveexec_b64 s[24:25], s[24:25]
	v_bfrev_b32_e32 v3, 1
	s_xor_b64 exec, exec, s[24:25]
	s_cbranch_execnz .LBB2_653
.LBB2_173:                              ;   in Loop: Header=BB2_127 Depth=2
	s_or_b64 exec, exec, s[24:25]
	s_and_saveexec_b64 s[90:91], s[22:23]
	s_cbranch_execz .LBB2_175
.LBB2_174:                              ;   in Loop: Header=BB2_127 Depth=2
	v_and_b32_e32 v3, 3, v36
	v_and_b32_e32 v24, 0x7c, v36
	v_cmp_eq_u32_e64 s[20:21], s53, v24
	v_ffbh_u32_e32 v24, v3
	v_min_u32_e32 v34, 32, v24
	v_subrev_u32_e32 v24, 29, v34
	v_bfe_u32 v30, v36, 2, 5
	v_lshlrev_b64 v[24:25], v24, v[36:37]
	v_cmp_eq_u32_e64 s[22:23], 0, v30
	v_sub_u32_e32 v25, 30, v34
	v_cndmask_b32_e64 v25, v30, v25, s[22:23]
	v_lshlrev_b32_e32 v30, 24, v36
	v_and_b32_e32 v24, 3, v24
	v_and_b32_e32 v30, 0x80000000, v30
	v_cndmask_b32_e64 v24, v3, v24, s[22:23]
	v_lshl_add_u32 v25, v25, 23, v30
	v_cmp_lt_i16_e64 s[24:25], -1, v10
	v_lshl_or_b32 v24, v24, 21, v25
	v_cmp_eq_u32_e64 s[22:23], 0, v3
	v_cndmask_b32_e64 v3, v21, v61, s[24:25]
	v_add_u32_e32 v24, 0x38000000, v24
	v_cndmask_b32_e64 v3, v2, v3, s[22:23]
	v_cndmask_b32_e64 v3, v24, v3, s[20:21]
.LBB2_175:                              ;   in Loop: Header=BB2_127 Depth=2
	s_or_b64 exec, exec, s[90:91]
	v_mul_f32_e32 v25, v1, v3
	v_and_b32_e32 v50, 0x7f800000, v25
	v_mov_b32_e32 v51, v37
	v_cmp_ne_u64_e64 s[20:21], s[60:61], v[50:51]
	v_and_b32_e32 v36, 0x7fffff, v25
                                        ; implicit-def: $vgpr1
	s_and_saveexec_b64 s[22:23], s[20:21]
	s_xor_b64 s[24:25], exec, s[22:23]
	s_cbranch_execz .LBB2_189
; %bb.176:                              ;   in Loop: Header=BB2_127 Depth=2
	v_and_b32_e32 v50, 0x7fffffff, v25
	v_mov_b32_e32 v51, v37
	v_cmp_gt_u64_e64 s[20:21], s[62:63], v[50:51]
	v_and_b32_sdwa v24, v25, s64 dst_sel:DWORD dst_unused:UNUSED_PAD src0_sel:BYTE_3 src1_sel:DWORD
                                        ; implicit-def: $vgpr1
	s_and_saveexec_b64 s[22:23], s[20:21]
	s_xor_b64 s[90:91], exec, s[22:23]
	s_cbranch_execz .LBB2_186
; %bb.177:                              ;   in Loop: Header=BB2_127 Depth=2
	v_mov_b32_e32 v1, 0
	v_cmp_ne_u32_e64 s[20:21], 0, v25
	s_and_saveexec_b64 s[92:93], s[20:21]
	s_cbranch_execz .LBB2_185
; %bb.178:                              ;   in Loop: Header=BB2_127 Depth=2
	v_bfe_u32 v1, v25, 23, 8
	v_cmp_gt_u32_e64 s[22:23], s65, v1
	v_sub_u32_e32 v3, 0x71, v1
	v_cmp_eq_u32_e64 s[20:21], 0, v1
	v_cndmask_b32_e64 v3, 0, v3, s[22:23]
	v_mov_b32_e32 v30, 0x70
	v_or_b32_e32 v25, 0x800000, v36
	v_cndmask_b32_e64 v3, v3, v30, s[20:21]
	v_cndmask_b32_e64 v36, v25, v36, s[20:21]
	v_add_u32_e32 v25, 21, v3
	v_lshlrev_b64 v[50:51], v25, -1
	v_add_u32_e32 v25, 20, v3
	v_lshlrev_b64 v[52:53], v25, 1
	v_lshrrev_b64 v[44:45], v3, v[36:37]
	v_bfi_b32 v51, v51, 0, 0
	v_bfi_b32 v50, v50, 0, v36
	v_cmp_eq_u64_e64 s[22:23], v[50:51], v[52:53]
	v_mov_b32_e32 v46, v45
	v_mov_b32_e32 v45, v44
	s_and_saveexec_b64 s[94:95], s[22:23]
; %bb.179:                              ;   in Loop: Header=BB2_127 Depth=2
	v_bfe_u32 v25, v44, 21, 1
	v_add_co_u32_e64 v25, s[22:23], v44, v25
	v_add_co_u32_e64 v45, s[22:23], -1, v25
; %bb.180:                              ;   in Loop: Header=BB2_127 Depth=2
	s_or_b64 exec, exec, s[94:95]
	v_add_u32_e32 v1, 0xffffff81, v1
	v_mov_b32_e32 v25, 0xffffff82
	v_cndmask_b32_e64 v1, v1, v25, s[20:21]
	v_lshrrev_b32_e32 v25, 23, v44
	v_add3_u32 v25, v3, v1, v25
	v_add_u32_e32 v3, 14, v25
	v_and_b32_e32 v1, 0x1fffff, v45
	v_add_u32_e32 v36, v1, v44
	v_cmp_ne_u32_e64 s[20:21], 0, v3
                                        ; implicit-def: $vgpr44_vgpr45
                                        ; implicit-def: $vgpr1
	s_and_saveexec_b64 s[22:23], s[20:21]
	s_xor_b64 s[22:23], exec, s[22:23]
; %bb.181:                              ;   in Loop: Header=BB2_127 Depth=2
	v_cmp_lt_u64_e64 s[20:21], s[72:73], v[36:37]
	v_add_u32_e32 v1, 15, v25
	v_cndmask_b32_e64 v1, v3, v1, s[20:21]
	v_cndmask_b32_e64 v3, 0, 1, s[20:21]
	v_lshrrev_b64 v[44:45], v3, v[36:37]
; %bb.182:                              ;   in Loop: Header=BB2_127 Depth=2
	s_andn2_saveexec_b64 s[20:21], s[22:23]
; %bb.183:                              ;   in Loop: Header=BB2_127 Depth=2
	v_mov_b32_e32 v45, v37
	v_bfe_u32 v1, v36, 23, 1
	v_mov_b32_e32 v44, v36
; %bb.184:                              ;   in Loop: Header=BB2_127 Depth=2
	s_or_b64 exec, exec, s[20:21]
	v_lshrrev_b64 v[50:51], 21, v[44:45]
	v_cmp_gt_i32_e64 s[20:21], 32, v1
	v_cndmask_b32_e64 v51, 0, v51, s[20:21]
	v_cndmask_b32_e64 v50, 3, v50, s[20:21]
	v_cmp_eq_u32_e64 s[20:21], 0, v1
	v_min_i32_e32 v1, 31, v1
	v_cmp_eq_u64_e64 s[22:23], 0, v[50:51]
	v_lshlrev_b32_e32 v1, 2, v1
	v_and_b32_e32 v1, 0xfc, v1
	v_and_or_b32 v1, v50, 3, v1
	s_and_b64 s[20:21], s[20:21], s[22:23]
	v_cndmask_b32_e64 v1, v1, 0, s[20:21]
	v_or_b32_e32 v1, v1, v24
.LBB2_185:                              ;   in Loop: Header=BB2_127 Depth=2
	s_or_b64 exec, exec, s[92:93]
                                        ; implicit-def: $vgpr24
.LBB2_186:                              ;   in Loop: Header=BB2_127 Depth=2
	s_andn2_saveexec_b64 s[20:21], s[90:91]
; %bb.187:                              ;   in Loop: Header=BB2_127 Depth=2
	v_or_b32_e32 v1, 0x7b, v24
; %bb.188:                              ;   in Loop: Header=BB2_127 Depth=2
	s_or_b64 exec, exec, s[20:21]
                                        ; implicit-def: $vgpr25
.LBB2_189:                              ;   in Loop: Header=BB2_127 Depth=2
	s_andn2_saveexec_b64 s[22:23], s[24:25]
	s_cbranch_execz .LBB2_195
; %bb.190:                              ;   in Loop: Header=BB2_127 Depth=2
	v_cmp_ne_u64_e64 s[20:21], 0, v[36:37]
                                        ; implicit-def: $vgpr1
	s_and_saveexec_b64 s[24:25], s[20:21]
	s_xor_b64 s[20:21], exec, s[24:25]
; %bb.191:                              ;   in Loop: Header=BB2_127 Depth=2
	v_or_b32_sdwa v1, v25, s55 dst_sel:DWORD dst_unused:UNUSED_PAD src0_sel:BYTE_3 src1_sel:DWORD
                                        ; implicit-def: $vgpr25
; %bb.192:                              ;   in Loop: Header=BB2_127 Depth=2
	s_andn2_saveexec_b64 s[24:25], s[20:21]
; %bb.193:                              ;   in Loop: Header=BB2_127 Depth=2
	v_cmp_lt_i32_e64 s[20:21], -1, v25
	v_bfrev_b32_e32 v1, 0.5
	v_cndmask_b32_e64 v1, v1, v19, s[20:21]
; %bb.194:                              ;   in Loop: Header=BB2_127 Depth=2
	s_or_b64 exec, exec, s[24:25]
.LBB2_195:                              ;   in Loop: Header=BB2_127 Depth=2
	s_or_b64 exec, exec, s[22:23]
	v_lshrrev_b32_e32 v30, 16, v14
	v_cmp_ne_u16_sdwa s[20:21], v30, v37 src0_sel:BYTE_0 src1_sel:DWORD
	v_mov_b32_e32 v24, 0
	s_and_saveexec_b64 s[22:23], s[20:21]
	s_cbranch_execz .LBB2_203
; %bb.196:                              ;   in Loop: Header=BB2_127 Depth=2
	v_cmp_ne_u16_sdwa s[20:21], v30, s64 src0_sel:BYTE_0 src1_sel:DWORD
	v_bfrev_b32_e32 v24, 1
	s_and_saveexec_b64 s[24:25], s[20:21]
	s_cbranch_execz .LBB2_202
; %bb.197:                              ;   in Loop: Header=BB2_127 Depth=2
	v_and_b32_e32 v24, 0x7c0000, v14
	v_bfe_u32 v3, v14, 16, 2
	v_cmp_ne_u32_e64 s[20:21], s66, v24
                                        ; implicit-def: $vgpr24
	s_and_saveexec_b64 s[90:91], s[20:21]
	s_xor_b64 s[90:91], exec, s[90:91]
	s_cbranch_execz .LBB2_199
; %bb.198:                              ;   in Loop: Header=BB2_127 Depth=2
	v_ffbh_u32_e32 v24, v3
	v_min_u32_e32 v35, 32, v24
	v_subrev_u32_e32 v24, 29, v35
	v_lshlrev_b64 v[24:25], v24, v[30:31]
	v_bfe_u32 v34, v14, 18, 5
	v_and_b32_e32 v24, 3, v24
	v_cmp_eq_u32_e64 s[20:21], 0, v34
	v_sub_u32_e32 v25, 30, v35
	v_cndmask_b32_e64 v3, v3, v24, s[20:21]
	v_lshlrev_b32_e32 v24, 8, v14
	v_cndmask_b32_e64 v25, v34, v25, s[20:21]
	v_and_b32_e32 v24, 0x80000000, v24
	v_lshl_add_u32 v24, v25, 23, v24
	v_lshl_or_b32 v3, v3, 21, v24
	v_add_u32_e32 v24, 0x38000000, v3
                                        ; implicit-def: $vgpr3
                                        ; implicit-def: $vgpr30
.LBB2_199:                              ;   in Loop: Header=BB2_127 Depth=2
	s_andn2_saveexec_b64 s[90:91], s[90:91]
; %bb.200:                              ;   in Loop: Header=BB2_127 Depth=2
	v_cmp_gt_i16_sdwa s[20:21], sext(v30), v20 src0_sel:BYTE_0 src1_sel:DWORD
	v_cndmask_b32_e64 v24, v21, v61, s[20:21]
	v_cmp_eq_u32_e64 s[20:21], 0, v3
	v_cndmask_b32_e64 v24, v2, v24, s[20:21]
; %bb.201:                              ;   in Loop: Header=BB2_127 Depth=2
	s_or_b64 exec, exec, s[90:91]
.LBB2_202:                              ;   in Loop: Header=BB2_127 Depth=2
	s_or_b64 exec, exec, s[24:25]
.LBB2_203:                              ;   in Loop: Header=BB2_127 Depth=2
	s_or_b64 exec, exec, s[22:23]
	v_lshrrev_b32_e32 v30, 16, v10
	v_cmp_gt_i16_sdwa s[22:23], v30, s55 src0_sel:BYTE_0 src1_sel:DWORD
	s_mov_b64 s[20:21], 0
	s_and_saveexec_b64 s[24:25], s[22:23]
	s_xor_b64 s[22:23], exec, s[24:25]
	s_cbranch_execz .LBB2_654
; %bb.204:                              ;   in Loop: Header=BB2_127 Depth=2
	v_cmp_eq_u16_sdwa s[90:91], v30, s64 src0_sel:BYTE_0 src1_sel:DWORD
	s_mov_b64 s[20:21], -1
	s_and_saveexec_b64 s[24:25], s[90:91]
; %bb.205:                              ;   in Loop: Header=BB2_127 Depth=2
	s_xor_b64 s[20:21], exec, -1
; %bb.206:                              ;   in Loop: Header=BB2_127 Depth=2
	s_or_b64 exec, exec, s[24:25]
	s_and_b64 s[20:21], s[20:21], exec
	s_or_saveexec_b64 s[22:23], s[22:23]
	v_bfrev_b32_e32 v3, 1
	s_xor_b64 exec, exec, s[22:23]
	s_cbranch_execnz .LBB2_655
.LBB2_207:                              ;   in Loop: Header=BB2_127 Depth=2
	s_or_b64 exec, exec, s[22:23]
	s_and_saveexec_b64 s[90:91], s[20:21]
	s_cbranch_execz .LBB2_209
.LBB2_208:                              ;   in Loop: Header=BB2_127 Depth=2
	v_and_b32_e32 v3, 3, v30
	v_and_b32_e32 v34, 0x7c0000, v10
	v_cmp_eq_u32_e64 s[20:21], s66, v34
	v_ffbh_u32_e32 v34, v3
	v_min_u32_e32 v34, 32, v34
	v_subrev_u32_e32 v35, 29, v34
	v_lshlrev_b64 v[50:51], v35, v[30:31]
	v_bfe_u32 v25, v10, 18, 5
	v_cmp_eq_u32_e64 s[22:23], 0, v25
	v_sub_u32_e32 v34, 30, v34
	v_and_b32_e32 v35, 3, v50
	v_cndmask_b32_e64 v25, v25, v34, s[22:23]
	v_cndmask_b32_e64 v34, v3, v35, s[22:23]
	v_lshlrev_b32_e32 v35, 24, v30
	v_and_b32_e32 v35, 0x80000000, v35
	v_lshl_add_u32 v25, v25, 23, v35
	v_cmp_gt_i16_sdwa s[24:25], sext(v30), v20 src0_sel:BYTE_0 src1_sel:DWORD
	v_lshl_or_b32 v25, v34, 21, v25
	v_cmp_eq_u32_e64 s[22:23], 0, v3
	v_cndmask_b32_e64 v3, v21, v61, s[24:25]
	v_add_u32_e32 v25, 0x38000000, v25
	v_cndmask_b32_e64 v3, v2, v3, s[22:23]
	v_cndmask_b32_e64 v3, v25, v3, s[20:21]
.LBB2_209:                              ;   in Loop: Header=BB2_127 Depth=2
	s_or_b64 exec, exec, s[90:91]
	v_mul_f32_e32 v25, v24, v3
	v_and_b32_e32 v50, 0x7f800000, v25
	v_mov_b32_e32 v51, v37
	v_cmp_ne_u64_e64 s[20:21], s[60:61], v[50:51]
	v_and_b32_e32 v36, 0x7fffff, v25
                                        ; implicit-def: $vgpr50
	s_and_saveexec_b64 s[22:23], s[20:21]
	s_xor_b64 s[24:25], exec, s[22:23]
	s_cbranch_execz .LBB2_223
; %bb.210:                              ;   in Loop: Header=BB2_127 Depth=2
	v_and_b32_e32 v50, 0x7fffffff, v25
	v_mov_b32_e32 v51, v37
	v_cmp_gt_u64_e64 s[20:21], s[62:63], v[50:51]
	v_and_b32_sdwa v24, v25, s64 dst_sel:DWORD dst_unused:UNUSED_PAD src0_sel:BYTE_3 src1_sel:DWORD
                                        ; implicit-def: $vgpr50
	s_and_saveexec_b64 s[22:23], s[20:21]
	s_xor_b64 s[90:91], exec, s[22:23]
	s_cbranch_execz .LBB2_220
; %bb.211:                              ;   in Loop: Header=BB2_127 Depth=2
	v_mov_b32_e32 v50, 0
	v_cmp_ne_u32_e64 s[20:21], 0, v25
	s_and_saveexec_b64 s[92:93], s[20:21]
	s_cbranch_execz .LBB2_219
; %bb.212:                              ;   in Loop: Header=BB2_127 Depth=2
	v_bfe_u32 v25, v25, 23, 8
	v_cmp_gt_u32_e64 s[22:23], s65, v25
	v_sub_u32_e32 v3, 0x71, v25
	v_cmp_eq_u32_e64 s[20:21], 0, v25
	v_cndmask_b32_e64 v3, 0, v3, s[22:23]
	v_mov_b32_e32 v34, 0x70
	v_or_b32_e32 v30, 0x800000, v36
	v_cndmask_b32_e64 v3, v3, v34, s[20:21]
	v_cndmask_b32_e64 v36, v30, v36, s[20:21]
	v_add_u32_e32 v30, 21, v3
	v_lshlrev_b64 v[50:51], v30, -1
	v_add_u32_e32 v30, 20, v3
	v_lshlrev_b64 v[52:53], v30, 1
	v_lshrrev_b64 v[44:45], v3, v[36:37]
	v_bfi_b32 v51, v51, 0, 0
	v_bfi_b32 v50, v50, 0, v36
	v_cmp_eq_u64_e64 s[22:23], v[50:51], v[52:53]
	v_mov_b32_e32 v46, v45
	v_mov_b32_e32 v45, v44
	s_and_saveexec_b64 s[94:95], s[22:23]
; %bb.213:                              ;   in Loop: Header=BB2_127 Depth=2
	v_bfe_u32 v30, v44, 21, 1
	v_add_co_u32_e64 v30, s[22:23], v44, v30
	v_add_co_u32_e64 v45, s[22:23], -1, v30
; %bb.214:                              ;   in Loop: Header=BB2_127 Depth=2
	s_or_b64 exec, exec, s[94:95]
	v_add_u32_e32 v25, 0xffffff81, v25
	v_mov_b32_e32 v30, 0xffffff82
	v_cndmask_b32_e64 v25, v25, v30, s[20:21]
	v_lshrrev_b32_e32 v30, 23, v44
	v_add3_u32 v30, v3, v25, v30
	v_add_u32_e32 v25, 14, v30
	v_and_b32_e32 v3, 0x1fffff, v45
	v_add_u32_e32 v36, v3, v44
	v_cmp_ne_u32_e64 s[20:21], 0, v25
                                        ; implicit-def: $vgpr44_vgpr45
                                        ; implicit-def: $vgpr3
	s_and_saveexec_b64 s[22:23], s[20:21]
	s_xor_b64 s[22:23], exec, s[22:23]
; %bb.215:                              ;   in Loop: Header=BB2_127 Depth=2
	v_cmp_lt_u64_e64 s[20:21], s[72:73], v[36:37]
	v_add_u32_e32 v3, 15, v30
	v_cndmask_b32_e64 v3, v25, v3, s[20:21]
	v_cndmask_b32_e64 v25, 0, 1, s[20:21]
	v_lshrrev_b64 v[44:45], v25, v[36:37]
; %bb.216:                              ;   in Loop: Header=BB2_127 Depth=2
	s_andn2_saveexec_b64 s[20:21], s[22:23]
; %bb.217:                              ;   in Loop: Header=BB2_127 Depth=2
	v_mov_b32_e32 v45, v37
	v_bfe_u32 v3, v36, 23, 1
	v_mov_b32_e32 v44, v36
; %bb.218:                              ;   in Loop: Header=BB2_127 Depth=2
	s_or_b64 exec, exec, s[20:21]
	v_lshrrev_b64 v[50:51], 21, v[44:45]
	v_cmp_gt_i32_e64 s[20:21], 32, v3
	v_cndmask_b32_e64 v51, 0, v51, s[20:21]
	v_cndmask_b32_e64 v50, 3, v50, s[20:21]
	v_cmp_eq_u32_e64 s[20:21], 0, v3
	v_min_i32_e32 v3, 31, v3
	v_cmp_eq_u64_e64 s[22:23], 0, v[50:51]
	v_lshlrev_b32_e32 v3, 2, v3
	v_and_b32_e32 v3, 0xfc, v3
	v_and_or_b32 v3, v50, 3, v3
	s_and_b64 s[20:21], s[20:21], s[22:23]
	v_cndmask_b32_e64 v3, v3, 0, s[20:21]
	v_or_b32_e32 v50, v3, v24
.LBB2_219:                              ;   in Loop: Header=BB2_127 Depth=2
	s_or_b64 exec, exec, s[92:93]
                                        ; implicit-def: $vgpr24
.LBB2_220:                              ;   in Loop: Header=BB2_127 Depth=2
	s_andn2_saveexec_b64 s[20:21], s[90:91]
; %bb.221:                              ;   in Loop: Header=BB2_127 Depth=2
	v_or_b32_e32 v50, 0x7b, v24
; %bb.222:                              ;   in Loop: Header=BB2_127 Depth=2
	s_or_b64 exec, exec, s[20:21]
                                        ; implicit-def: $vgpr25
.LBB2_223:                              ;   in Loop: Header=BB2_127 Depth=2
	s_andn2_saveexec_b64 s[22:23], s[24:25]
	s_cbranch_execz .LBB2_229
; %bb.224:                              ;   in Loop: Header=BB2_127 Depth=2
	v_cmp_ne_u64_e64 s[20:21], 0, v[36:37]
                                        ; implicit-def: $vgpr50
	s_and_saveexec_b64 s[24:25], s[20:21]
	s_xor_b64 s[20:21], exec, s[24:25]
; %bb.225:                              ;   in Loop: Header=BB2_127 Depth=2
	v_or_b32_sdwa v50, v25, s55 dst_sel:DWORD dst_unused:UNUSED_PAD src0_sel:BYTE_3 src1_sel:DWORD
                                        ; implicit-def: $vgpr25
; %bb.226:                              ;   in Loop: Header=BB2_127 Depth=2
	s_andn2_saveexec_b64 s[24:25], s[20:21]
; %bb.227:                              ;   in Loop: Header=BB2_127 Depth=2
	v_cmp_lt_i32_e64 s[20:21], -1, v25
	v_bfrev_b32_e32 v3, 0.5
	v_cndmask_b32_e64 v50, v3, v19, s[20:21]
; %bb.228:                              ;   in Loop: Header=BB2_127 Depth=2
	s_or_b64 exec, exec, s[24:25]
.LBB2_229:                              ;   in Loop: Header=BB2_127 Depth=2
	s_or_b64 exec, exec, s[22:23]
	v_cmp_lt_u32_e64 s[20:21], s59, v14
	v_mov_b32_e32 v24, 0
	s_and_saveexec_b64 s[22:23], s[20:21]
	s_cbranch_execz .LBB2_237
; %bb.230:                              ;   in Loop: Header=BB2_127 Depth=2
	v_lshrrev_b32_e32 v30, 24, v14
	v_cmp_ne_u32_e64 s[20:21], s64, v30
	v_bfrev_b32_e32 v24, 1
	s_and_saveexec_b64 s[24:25], s[20:21]
	s_cbranch_execz .LBB2_236
; %bb.231:                              ;   in Loop: Header=BB2_127 Depth=2
	v_and_b32_e32 v24, 0x7c000000, v14
	v_bfe_u32 v3, v14, 24, 2
	v_cmp_ne_u32_e64 s[20:21], s67, v24
                                        ; implicit-def: $vgpr24
	s_and_saveexec_b64 s[90:91], s[20:21]
	s_xor_b64 s[90:91], exec, s[90:91]
	s_cbranch_execz .LBB2_233
; %bb.232:                              ;   in Loop: Header=BB2_127 Depth=2
	v_ffbh_u32_e32 v24, v3
	v_min_u32_e32 v35, 32, v24
	v_subrev_u32_e32 v24, 29, v35
	v_lshlrev_b64 v[24:25], v24, v[30:31]
	v_bfe_u32 v34, v14, 26, 5
	v_sub_u32_e32 v25, 30, v35
	v_and_b32_e32 v24, 3, v24
	v_cmp_eq_u32_e64 s[20:21], 0, v34
	v_cndmask_b32_e64 v25, v34, v25, s[20:21]
	v_cndmask_b32_e64 v3, v3, v24, s[20:21]
	v_and_b32_e32 v24, 0x80000000, v14
	v_lshl_add_u32 v24, v25, 23, v24
	v_lshl_or_b32 v3, v3, 21, v24
	v_add_u32_e32 v24, 0x38000000, v3
                                        ; implicit-def: $vgpr3
.LBB2_233:                              ;   in Loop: Header=BB2_127 Depth=2
	s_andn2_saveexec_b64 s[90:91], s[90:91]
; %bb.234:                              ;   in Loop: Header=BB2_127 Depth=2
	v_cmp_lt_i32_e64 s[20:21], -1, v14
	v_cndmask_b32_e64 v24, v21, v61, s[20:21]
	v_cmp_eq_u32_e64 s[20:21], 0, v3
	v_cndmask_b32_e64 v24, v2, v24, s[20:21]
; %bb.235:                              ;   in Loop: Header=BB2_127 Depth=2
	s_or_b64 exec, exec, s[90:91]
.LBB2_236:                              ;   in Loop: Header=BB2_127 Depth=2
	s_or_b64 exec, exec, s[24:25]
.LBB2_237:                              ;   in Loop: Header=BB2_127 Depth=2
	s_or_b64 exec, exec, s[22:23]
	v_bfe_u32 v25, v10, 24, 2
	v_and_b32_e32 v34, 0x7c000000, v10
	v_cmp_eq_u32_e64 s[20:21], s67, v34
	v_ffbh_u32_e32 v34, v25
	v_min_u32_e32 v34, 32, v34
	v_lshrrev_b32_e32 v3, 24, v10
	v_subrev_u32_e32 v35, 29, v34
	v_lshlrev_b64 v[51:52], v35, v[3:4]
	v_bfe_u32 v30, v10, 26, 5
	v_cmp_eq_u32_e64 s[22:23], 0, v30
	v_sub_u32_e32 v34, 30, v34
	v_and_b32_e32 v35, 3, v51
	v_cndmask_b32_e64 v30, v30, v34, s[22:23]
	v_cndmask_b32_e64 v34, v25, v35, s[22:23]
	v_and_b32_e32 v35, 0x80000000, v10
	v_lshl_add_u32 v30, v30, 23, v35
	v_cmp_lt_i32_e64 s[24:25], -1, v10
	v_lshl_or_b32 v30, v34, 21, v30
	v_cmp_eq_u32_e64 s[22:23], 0, v25
	v_cndmask_b32_e64 v25, v21, v61, s[24:25]
	v_add_u32_e32 v30, 0x38000000, v30
	v_cndmask_b32_e64 v25, v2, v25, s[22:23]
	v_cndmask_b32_e64 v25, v30, v25, s[20:21]
	v_cmp_ne_u32_e64 s[20:21], s64, v3
	v_cndmask_b32_e64 v3, v0, v25, s[20:21]
	v_cmp_lt_u32_e64 s[20:21], s59, v10
	v_cndmask_b32_e64 v3, 0, v3, s[20:21]
	v_mul_f32_e32 v25, v3, v24
	v_and_b32_e32 v51, 0x7f800000, v25
	v_mov_b32_e32 v52, v37
	v_cmp_ne_u64_e64 s[20:21], s[60:61], v[51:52]
	v_and_b32_e32 v36, 0x7fffff, v25
                                        ; implicit-def: $vgpr51
	s_and_saveexec_b64 s[22:23], s[20:21]
	s_xor_b64 s[24:25], exec, s[22:23]
	s_cbranch_execz .LBB2_251
; %bb.238:                              ;   in Loop: Header=BB2_127 Depth=2
	v_and_b32_e32 v51, 0x7fffffff, v25
	v_mov_b32_e32 v52, v37
	v_cmp_gt_u64_e64 s[20:21], s[62:63], v[51:52]
	v_and_b32_sdwa v24, v25, s64 dst_sel:DWORD dst_unused:UNUSED_PAD src0_sel:BYTE_3 src1_sel:DWORD
                                        ; implicit-def: $vgpr51
	s_and_saveexec_b64 s[22:23], s[20:21]
	s_xor_b64 s[90:91], exec, s[22:23]
	s_cbranch_execz .LBB2_248
; %bb.239:                              ;   in Loop: Header=BB2_127 Depth=2
	v_mov_b32_e32 v51, 0
	v_cmp_ne_u32_e64 s[20:21], 0, v25
	s_and_saveexec_b64 s[92:93], s[20:21]
	s_cbranch_execz .LBB2_247
; %bb.240:                              ;   in Loop: Header=BB2_127 Depth=2
	v_bfe_u32 v25, v25, 23, 8
	v_cmp_gt_u32_e64 s[22:23], s65, v25
	v_sub_u32_e32 v3, 0x71, v25
	v_cmp_eq_u32_e64 s[20:21], 0, v25
	v_cndmask_b32_e64 v3, 0, v3, s[22:23]
	v_mov_b32_e32 v34, 0x70
	v_or_b32_e32 v30, 0x800000, v36
	v_cndmask_b32_e64 v3, v3, v34, s[20:21]
	v_cndmask_b32_e64 v36, v30, v36, s[20:21]
	v_add_u32_e32 v30, 21, v3
	v_lshlrev_b64 v[51:52], v30, -1
	v_add_u32_e32 v30, 20, v3
	v_lshlrev_b64 v[44:45], v30, 1
	v_bfi_b32 v52, v52, 0, 0
	v_bfi_b32 v51, v51, 0, v36
	v_cmp_eq_u64_e64 s[22:23], v[51:52], v[44:45]
	v_lshrrev_b64 v[44:45], v3, v[36:37]
	v_mov_b32_e32 v46, v45
	v_mov_b32_e32 v45, v44
	s_and_saveexec_b64 s[94:95], s[22:23]
; %bb.241:                              ;   in Loop: Header=BB2_127 Depth=2
	v_bfe_u32 v30, v44, 21, 1
	v_add_co_u32_e64 v30, s[22:23], v44, v30
	v_add_co_u32_e64 v45, s[22:23], -1, v30
; %bb.242:                              ;   in Loop: Header=BB2_127 Depth=2
	s_or_b64 exec, exec, s[94:95]
	v_add_u32_e32 v25, 0xffffff81, v25
	v_mov_b32_e32 v30, 0xffffff82
	v_cndmask_b32_e64 v25, v25, v30, s[20:21]
	v_lshrrev_b32_e32 v30, 23, v44
	v_add3_u32 v30, v3, v25, v30
	v_add_u32_e32 v25, 14, v30
	v_and_b32_e32 v3, 0x1fffff, v45
	v_add_u32_e32 v36, v3, v44
	v_cmp_ne_u32_e64 s[20:21], 0, v25
                                        ; implicit-def: $vgpr44_vgpr45
                                        ; implicit-def: $vgpr3
	s_and_saveexec_b64 s[22:23], s[20:21]
	s_xor_b64 s[22:23], exec, s[22:23]
; %bb.243:                              ;   in Loop: Header=BB2_127 Depth=2
	v_cmp_lt_u64_e64 s[20:21], s[72:73], v[36:37]
	v_add_u32_e32 v3, 15, v30
	v_cndmask_b32_e64 v3, v25, v3, s[20:21]
	v_cndmask_b32_e64 v25, 0, 1, s[20:21]
	v_lshrrev_b64 v[44:45], v25, v[36:37]
; %bb.244:                              ;   in Loop: Header=BB2_127 Depth=2
	s_andn2_saveexec_b64 s[20:21], s[22:23]
; %bb.245:                              ;   in Loop: Header=BB2_127 Depth=2
	v_mov_b32_e32 v45, v37
	v_bfe_u32 v3, v36, 23, 1
	v_mov_b32_e32 v44, v36
; %bb.246:                              ;   in Loop: Header=BB2_127 Depth=2
	s_or_b64 exec, exec, s[20:21]
	v_lshrrev_b64 v[51:52], 21, v[44:45]
	v_cmp_gt_i32_e64 s[20:21], 32, v3
	v_cndmask_b32_e64 v52, 0, v52, s[20:21]
	v_cndmask_b32_e64 v51, 3, v51, s[20:21]
	v_cmp_eq_u32_e64 s[20:21], 0, v3
	v_min_i32_e32 v3, 31, v3
	v_cmp_eq_u64_e64 s[22:23], 0, v[51:52]
	v_lshlrev_b32_e32 v3, 2, v3
	v_and_b32_e32 v3, 0xfc, v3
	v_and_or_b32 v3, v51, 3, v3
	s_and_b64 s[20:21], s[20:21], s[22:23]
	v_cndmask_b32_e64 v3, v3, 0, s[20:21]
	v_or_b32_e32 v51, v3, v24
.LBB2_247:                              ;   in Loop: Header=BB2_127 Depth=2
	s_or_b64 exec, exec, s[92:93]
                                        ; implicit-def: $vgpr24
.LBB2_248:                              ;   in Loop: Header=BB2_127 Depth=2
	s_andn2_saveexec_b64 s[20:21], s[90:91]
; %bb.249:                              ;   in Loop: Header=BB2_127 Depth=2
	v_or_b32_e32 v51, 0x7b, v24
; %bb.250:                              ;   in Loop: Header=BB2_127 Depth=2
	s_or_b64 exec, exec, s[20:21]
                                        ; implicit-def: $vgpr25
.LBB2_251:                              ;   in Loop: Header=BB2_127 Depth=2
	s_andn2_saveexec_b64 s[22:23], s[24:25]
	s_cbranch_execz .LBB2_257
; %bb.252:                              ;   in Loop: Header=BB2_127 Depth=2
	v_cmp_ne_u64_e64 s[20:21], 0, v[36:37]
                                        ; implicit-def: $vgpr51
	s_and_saveexec_b64 s[24:25], s[20:21]
	s_xor_b64 s[20:21], exec, s[24:25]
; %bb.253:                              ;   in Loop: Header=BB2_127 Depth=2
	v_or_b32_sdwa v51, v25, s55 dst_sel:DWORD dst_unused:UNUSED_PAD src0_sel:BYTE_3 src1_sel:DWORD
                                        ; implicit-def: $vgpr25
; %bb.254:                              ;   in Loop: Header=BB2_127 Depth=2
	s_andn2_saveexec_b64 s[24:25], s[20:21]
; %bb.255:                              ;   in Loop: Header=BB2_127 Depth=2
	v_cmp_lt_i32_e64 s[20:21], -1, v25
	v_bfrev_b32_e32 v3, 0.5
	v_cndmask_b32_e64 v51, v3, v19, s[20:21]
; %bb.256:                              ;   in Loop: Header=BB2_127 Depth=2
	s_or_b64 exec, exec, s[24:25]
.LBB2_257:                              ;   in Loop: Header=BB2_127 Depth=2
	s_or_b64 exec, exec, s[22:23]
	v_mov_b32_e32 v36, v15
	v_cmp_ne_u16_sdwa s[20:21], v15, v37 src0_sel:BYTE_0 src1_sel:DWORD
	v_mov_b32_e32 v24, 0
	s_and_saveexec_b64 s[22:23], s[20:21]
	s_cbranch_execz .LBB2_265
; %bb.258:                              ;   in Loop: Header=BB2_127 Depth=2
	v_cmp_ne_u16_sdwa s[20:21], v15, s64 src0_sel:BYTE_0 src1_sel:DWORD
	v_bfrev_b32_e32 v24, 1
	s_and_saveexec_b64 s[24:25], s[20:21]
	s_cbranch_execz .LBB2_264
; %bb.259:                              ;   in Loop: Header=BB2_127 Depth=2
	v_and_b32_e32 v24, 0x7c, v15
	v_and_b32_e32 v3, 3, v15
	v_cmp_ne_u32_e64 s[20:21], s53, v24
                                        ; implicit-def: $vgpr24
	s_and_saveexec_b64 s[90:91], s[20:21]
	s_xor_b64 s[90:91], exec, s[90:91]
	s_cbranch_execz .LBB2_261
; %bb.260:                              ;   in Loop: Header=BB2_127 Depth=2
	v_ffbh_u32_e32 v24, v3
	v_min_u32_e32 v34, 32, v24
	v_subrev_u32_e32 v24, 29, v34
	v_lshlrev_b64 v[24:25], v24, v[36:37]
	v_bfe_u32 v30, v15, 2, 5
	v_and_b32_e32 v24, 3, v24
	v_cmp_eq_u32_e64 s[20:21], 0, v30
	v_sub_u32_e32 v25, 30, v34
	v_cndmask_b32_e64 v3, v3, v24, s[20:21]
	v_lshlrev_b32_e32 v24, 24, v15
	v_cndmask_b32_e64 v25, v30, v25, s[20:21]
	v_and_b32_e32 v24, 0x80000000, v24
	v_lshl_add_u32 v24, v25, 23, v24
	v_lshl_or_b32 v3, v3, 21, v24
	v_add_u32_e32 v24, 0x38000000, v3
                                        ; implicit-def: $vgpr3
.LBB2_261:                              ;   in Loop: Header=BB2_127 Depth=2
	s_andn2_saveexec_b64 s[90:91], s[90:91]
; %bb.262:                              ;   in Loop: Header=BB2_127 Depth=2
	v_cmp_gt_i16_sdwa s[20:21], sext(v15), v20 src0_sel:BYTE_0 src1_sel:DWORD
	v_cndmask_b32_e64 v24, v21, v61, s[20:21]
	v_cmp_eq_u32_e64 s[20:21], 0, v3
	v_cndmask_b32_e64 v24, v2, v24, s[20:21]
; %bb.263:                              ;   in Loop: Header=BB2_127 Depth=2
	s_or_b64 exec, exec, s[90:91]
.LBB2_264:                              ;   in Loop: Header=BB2_127 Depth=2
	s_or_b64 exec, exec, s[24:25]
.LBB2_265:                              ;   in Loop: Header=BB2_127 Depth=2
	s_or_b64 exec, exec, s[22:23]
	v_cmp_gt_i16_sdwa s[22:23], v11, s55 src0_sel:BYTE_0 src1_sel:DWORD
	s_mov_b64 s[20:21], 0
	s_and_saveexec_b64 s[24:25], s[22:23]
	s_xor_b64 s[22:23], exec, s[24:25]
	s_cbranch_execz .LBB2_269
; %bb.266:                              ;   in Loop: Header=BB2_127 Depth=2
	v_cmp_eq_u16_sdwa s[90:91], v11, s64 src0_sel:BYTE_0 src1_sel:DWORD
	s_mov_b64 s[20:21], -1
	s_and_saveexec_b64 s[24:25], s[90:91]
; %bb.267:                              ;   in Loop: Header=BB2_127 Depth=2
	s_xor_b64 s[20:21], exec, -1
; %bb.268:                              ;   in Loop: Header=BB2_127 Depth=2
	s_or_b64 exec, exec, s[24:25]
	s_and_b64 s[20:21], s[20:21], exec
.LBB2_269:                              ;   in Loop: Header=BB2_127 Depth=2
	s_or_saveexec_b64 s[22:23], s[22:23]
	v_bfrev_b32_e32 v3, 1
	s_xor_b64 exec, exec, s[22:23]
; %bb.270:                              ;   in Loop: Header=BB2_127 Depth=2
	v_cmp_ne_u16_sdwa s[24:25], v11, v37 src0_sel:BYTE_0 src1_sel:DWORD
	s_andn2_b64 s[20:21], s[20:21], exec
	s_and_b64 s[24:25], s[24:25], exec
	v_mov_b32_e32 v3, 0
	s_or_b64 s[20:21], s[20:21], s[24:25]
; %bb.271:                              ;   in Loop: Header=BB2_127 Depth=2
	s_or_b64 exec, exec, s[22:23]
	v_mov_b32_e32 v44, v11
	v_mov_b32_e32 v45, v37
	s_and_saveexec_b64 s[90:91], s[20:21]
	s_cbranch_execz .LBB2_273
; %bb.272:                              ;   in Loop: Header=BB2_127 Depth=2
	v_and_b32_e32 v3, 3, v11
	v_and_b32_e32 v30, 0x7c, v11
	v_cmp_eq_u32_e64 s[20:21], s53, v30
	v_ffbh_u32_e32 v30, v3
	v_min_u32_e32 v30, 32, v30
	v_subrev_u32_e32 v34, 29, v30
	v_lshlrev_b64 v[52:53], v34, v[44:45]
	v_bfe_u32 v25, v11, 2, 5
	v_cmp_eq_u32_e64 s[22:23], 0, v25
	v_sub_u32_e32 v30, 30, v30
	v_and_b32_e32 v34, 3, v52
	v_cndmask_b32_e64 v25, v25, v30, s[22:23]
	v_cndmask_b32_e64 v30, v3, v34, s[22:23]
	v_lshlrev_b32_e32 v34, 24, v11
	v_and_b32_e32 v34, 0x80000000, v34
	v_lshl_add_u32 v25, v25, 23, v34
	v_cmp_gt_i16_sdwa s[24:25], sext(v11), v20 src0_sel:BYTE_0 src1_sel:DWORD
	v_lshl_or_b32 v25, v30, 21, v25
	v_cmp_eq_u32_e64 s[22:23], 0, v3
	v_cndmask_b32_e64 v3, v21, v61, s[24:25]
	v_add_u32_e32 v25, 0x38000000, v25
	v_cndmask_b32_e64 v3, v2, v3, s[22:23]
	v_cndmask_b32_e64 v3, v25, v3, s[20:21]
.LBB2_273:                              ;   in Loop: Header=BB2_127 Depth=2
	s_or_b64 exec, exec, s[90:91]
	v_mul_f32_e32 v25, v24, v3
	v_and_b32_e32 v52, 0x7f800000, v25
	v_mov_b32_e32 v53, v37
	v_cmp_ne_u64_e64 s[20:21], s[60:61], v[52:53]
	v_and_b32_e32 v45, 0x7fffff, v25
	v_mov_b32_e32 v46, v37
                                        ; implicit-def: $vgpr47
	s_and_saveexec_b64 s[22:23], s[20:21]
	s_xor_b64 s[24:25], exec, s[22:23]
	s_cbranch_execz .LBB2_287
; %bb.274:                              ;   in Loop: Header=BB2_127 Depth=2
	v_and_b32_e32 v52, 0x7fffffff, v25
	v_mov_b32_e32 v53, v37
	v_cmp_gt_u64_e64 s[20:21], s[62:63], v[52:53]
	v_and_b32_sdwa v24, v25, s64 dst_sel:DWORD dst_unused:UNUSED_PAD src0_sel:BYTE_3 src1_sel:DWORD
                                        ; implicit-def: $vgpr47
	s_and_saveexec_b64 s[22:23], s[20:21]
	s_xor_b64 s[90:91], exec, s[22:23]
	s_cbranch_execz .LBB2_284
; %bb.275:                              ;   in Loop: Header=BB2_127 Depth=2
	v_mov_b32_e32 v47, 0
	v_cmp_ne_u32_e64 s[20:21], 0, v25
	s_and_saveexec_b64 s[92:93], s[20:21]
	s_cbranch_execz .LBB2_283
; %bb.276:                              ;   in Loop: Header=BB2_127 Depth=2
	v_bfe_u32 v25, v25, 23, 8
	v_cmp_gt_u32_e64 s[22:23], s65, v25
	v_sub_u32_e32 v3, 0x71, v25
	v_cmp_eq_u32_e64 s[20:21], 0, v25
	v_cndmask_b32_e64 v3, 0, v3, s[22:23]
	v_mov_b32_e32 v34, 0x70
	v_or_b32_e32 v30, 0x800000, v45
	v_cndmask_b32_e64 v3, v3, v34, s[20:21]
	v_cndmask_b32_e64 v45, v30, v45, s[20:21]
	v_add_u32_e32 v30, 21, v3
	v_lshlrev_b64 v[52:53], v30, -1
	v_add_u32_e32 v30, 20, v3
	v_bfi_b32 v52, v52, 0, v45
	v_lshlrev_b64 v[34:35], v30, 1
	v_lshrrev_b64 v[45:46], v3, v[45:46]
	v_bfi_b32 v53, v53, 0, 0
	v_cmp_eq_u64_e64 s[22:23], v[52:53], v[34:35]
	v_mov_b32_e32 v47, v46
	v_mov_b32_e32 v46, v45
	s_and_saveexec_b64 s[94:95], s[22:23]
; %bb.277:                              ;   in Loop: Header=BB2_127 Depth=2
	v_bfe_u32 v30, v45, 21, 1
	v_add_co_u32_e64 v30, s[22:23], v45, v30
	v_add_co_u32_e64 v46, s[22:23], -1, v30
; %bb.278:                              ;   in Loop: Header=BB2_127 Depth=2
	s_or_b64 exec, exec, s[94:95]
	v_add_u32_e32 v25, 0xffffff81, v25
	v_mov_b32_e32 v30, 0xffffff82
	v_cndmask_b32_e64 v25, v25, v30, s[20:21]
	v_lshrrev_b32_e32 v30, 23, v45
	v_add3_u32 v30, v3, v25, v30
	v_add_u32_e32 v25, 14, v30
	v_and_b32_e32 v3, 0x1fffff, v46
	v_add_u32_e32 v45, v3, v45
	v_mov_b32_e32 v46, v37
	v_cmp_ne_u32_e64 s[20:21], 0, v25
                                        ; implicit-def: $vgpr3
	s_and_saveexec_b64 s[22:23], s[20:21]
	s_xor_b64 s[22:23], exec, s[22:23]
; %bb.279:                              ;   in Loop: Header=BB2_127 Depth=2
	v_cmp_lt_u64_e64 s[20:21], s[72:73], v[45:46]
	v_add_u32_e32 v3, 15, v30
	v_cndmask_b32_e64 v3, v25, v3, s[20:21]
	v_cndmask_b32_e64 v25, 0, 1, s[20:21]
	v_lshrrev_b64 v[45:46], v25, v[45:46]
; %bb.280:                              ;   in Loop: Header=BB2_127 Depth=2
	s_andn2_saveexec_b64 s[20:21], s[22:23]
; %bb.281:                              ;   in Loop: Header=BB2_127 Depth=2
	v_bfe_u32 v3, v45, 23, 1
; %bb.282:                              ;   in Loop: Header=BB2_127 Depth=2
	s_or_b64 exec, exec, s[20:21]
	v_lshrrev_b64 v[34:35], 21, v[45:46]
	v_cmp_gt_i32_e64 s[20:21], 32, v3
	v_cndmask_b32_e64 v35, 0, v35, s[20:21]
	v_cndmask_b32_e64 v34, 3, v34, s[20:21]
	v_cmp_eq_u32_e64 s[20:21], 0, v3
	v_min_i32_e32 v3, 31, v3
	v_cmp_eq_u64_e64 s[22:23], 0, v[34:35]
	v_lshlrev_b32_e32 v3, 2, v3
	v_and_b32_e32 v3, 0xfc, v3
	v_and_or_b32 v3, v34, 3, v3
	s_and_b64 s[20:21], s[20:21], s[22:23]
	v_cndmask_b32_e64 v3, v3, 0, s[20:21]
	v_or_b32_e32 v47, v3, v24
.LBB2_283:                              ;   in Loop: Header=BB2_127 Depth=2
	s_or_b64 exec, exec, s[92:93]
                                        ; implicit-def: $vgpr24
.LBB2_284:                              ;   in Loop: Header=BB2_127 Depth=2
	s_andn2_saveexec_b64 s[20:21], s[90:91]
; %bb.285:                              ;   in Loop: Header=BB2_127 Depth=2
	v_or_b32_e32 v47, 0x7b, v24
; %bb.286:                              ;   in Loop: Header=BB2_127 Depth=2
	s_or_b64 exec, exec, s[20:21]
                                        ; implicit-def: $vgpr25
                                        ; implicit-def: $vgpr45_vgpr46
.LBB2_287:                              ;   in Loop: Header=BB2_127 Depth=2
	s_andn2_saveexec_b64 s[22:23], s[24:25]
	s_cbranch_execz .LBB2_293
; %bb.288:                              ;   in Loop: Header=BB2_127 Depth=2
	v_cmp_ne_u64_e64 s[20:21], 0, v[45:46]
                                        ; implicit-def: $vgpr47
	s_and_saveexec_b64 s[24:25], s[20:21]
	s_xor_b64 s[20:21], exec, s[24:25]
; %bb.289:                              ;   in Loop: Header=BB2_127 Depth=2
	v_or_b32_sdwa v47, v25, s55 dst_sel:DWORD dst_unused:UNUSED_PAD src0_sel:BYTE_3 src1_sel:DWORD
                                        ; implicit-def: $vgpr25
; %bb.290:                              ;   in Loop: Header=BB2_127 Depth=2
	s_andn2_saveexec_b64 s[24:25], s[20:21]
; %bb.291:                              ;   in Loop: Header=BB2_127 Depth=2
	v_cmp_lt_i32_e64 s[20:21], -1, v25
	v_bfrev_b32_e32 v3, 0.5
	v_cndmask_b32_e64 v47, v3, v19, s[20:21]
; %bb.292:                              ;   in Loop: Header=BB2_127 Depth=2
	s_or_b64 exec, exec, s[24:25]
.LBB2_293:                              ;   in Loop: Header=BB2_127 Depth=2
	s_or_b64 exec, exec, s[22:23]
	v_lshrrev_b16_e32 v45, 8, v36
	v_cmp_ne_u16_e64 s[20:21], 0, v45
	v_mov_b32_e32 v24, 0
	s_and_saveexec_b64 s[22:23], s[20:21]
	s_cbranch_execz .LBB2_301
; %bb.294:                              ;   in Loop: Header=BB2_127 Depth=2
	v_cmp_ne_u16_e64 s[20:21], s64, v45
	v_bfrev_b32_e32 v24, 1
	s_and_saveexec_b64 s[24:25], s[20:21]
	s_cbranch_execz .LBB2_300
; %bb.295:                              ;   in Loop: Header=BB2_127 Depth=2
	v_and_b32_e32 v24, 0x7c, v45
	v_and_b32_e32 v3, 3, v45
	v_cmp_ne_u32_e64 s[20:21], s53, v24
                                        ; implicit-def: $vgpr24
	s_and_saveexec_b64 s[90:91], s[20:21]
	s_xor_b64 s[90:91], exec, s[90:91]
	s_cbranch_execz .LBB2_297
; %bb.296:                              ;   in Loop: Header=BB2_127 Depth=2
	v_ffbh_u32_e32 v24, v3
	v_min_u32_e32 v34, 32, v24
	v_mov_b32_e32 v46, v37
	v_subrev_u32_e32 v24, 29, v34
	v_lshlrev_b64 v[24:25], v24, v[45:46]
	v_bfe_u32 v30, v45, 2, 5
	v_and_b32_e32 v24, 3, v24
	v_cmp_eq_u32_e64 s[20:21], 0, v30
	v_sub_u32_e32 v25, 30, v34
	v_cndmask_b32_e64 v3, v3, v24, s[20:21]
	v_lshlrev_b32_e32 v24, 16, v36
	v_cndmask_b32_e64 v25, v30, v25, s[20:21]
	v_and_b32_e32 v24, 0x80000000, v24
	v_lshl_add_u32 v24, v25, 23, v24
	v_lshl_or_b32 v3, v3, 21, v24
	v_add_u32_e32 v24, 0x38000000, v3
                                        ; implicit-def: $vgpr3
.LBB2_297:                              ;   in Loop: Header=BB2_127 Depth=2
	s_andn2_saveexec_b64 s[90:91], s[90:91]
; %bb.298:                              ;   in Loop: Header=BB2_127 Depth=2
	v_cmp_lt_i16_e64 s[20:21], -1, v36
	v_cndmask_b32_e64 v24, v21, v61, s[20:21]
	v_cmp_eq_u32_e64 s[20:21], 0, v3
	v_cndmask_b32_e64 v24, v2, v24, s[20:21]
; %bb.299:                              ;   in Loop: Header=BB2_127 Depth=2
	s_or_b64 exec, exec, s[90:91]
.LBB2_300:                              ;   in Loop: Header=BB2_127 Depth=2
	s_or_b64 exec, exec, s[24:25]
.LBB2_301:                              ;   in Loop: Header=BB2_127 Depth=2
	s_or_b64 exec, exec, s[22:23]
	v_lshrrev_b16_e32 v36, 8, v44
	v_cmp_lt_i16_e64 s[20:21], s55, v36
	s_mov_b64 s[22:23], 0
	s_and_saveexec_b64 s[24:25], s[20:21]
	s_xor_b64 s[24:25], exec, s[24:25]
	s_cbranch_execz .LBB2_656
; %bb.302:                              ;   in Loop: Header=BB2_127 Depth=2
	v_cmp_eq_u16_e64 s[20:21], s64, v36
	s_mov_b64 s[22:23], -1
	s_and_saveexec_b64 s[90:91], s[20:21]
; %bb.303:                              ;   in Loop: Header=BB2_127 Depth=2
	s_xor_b64 s[22:23], exec, -1
; %bb.304:                              ;   in Loop: Header=BB2_127 Depth=2
	s_or_b64 exec, exec, s[90:91]
	s_and_b64 s[22:23], s[22:23], exec
	s_or_saveexec_b64 s[24:25], s[24:25]
	v_bfrev_b32_e32 v3, 1
	s_xor_b64 exec, exec, s[24:25]
	s_cbranch_execnz .LBB2_657
.LBB2_305:                              ;   in Loop: Header=BB2_127 Depth=2
	s_or_b64 exec, exec, s[24:25]
	s_and_saveexec_b64 s[90:91], s[22:23]
	s_cbranch_execz .LBB2_307
.LBB2_306:                              ;   in Loop: Header=BB2_127 Depth=2
	v_and_b32_e32 v3, 3, v36
	v_and_b32_e32 v30, 0x7c, v36
	v_cmp_eq_u32_e64 s[20:21], s53, v30
	v_ffbh_u32_e32 v30, v3
	v_min_u32_e32 v30, 32, v30
	v_subrev_u32_e32 v34, 29, v30
	v_lshlrev_b64 v[34:35], v34, v[36:37]
	v_bfe_u32 v25, v36, 2, 5
	v_cmp_eq_u32_e64 s[22:23], 0, v25
	v_sub_u32_e32 v30, 30, v30
	v_and_b32_e32 v34, 3, v34
	v_cndmask_b32_e64 v25, v25, v30, s[22:23]
	v_cndmask_b32_e64 v30, v3, v34, s[22:23]
	v_lshlrev_b32_e32 v34, 24, v36
	v_and_b32_e32 v34, 0x80000000, v34
	v_lshl_add_u32 v25, v25, 23, v34
	v_cmp_lt_i16_e64 s[24:25], -1, v44
	v_lshl_or_b32 v25, v30, 21, v25
	v_cmp_eq_u32_e64 s[22:23], 0, v3
	v_cndmask_b32_e64 v3, v21, v61, s[24:25]
	v_add_u32_e32 v25, 0x38000000, v25
	v_cndmask_b32_e64 v3, v2, v3, s[22:23]
	v_cndmask_b32_e64 v3, v25, v3, s[20:21]
.LBB2_307:                              ;   in Loop: Header=BB2_127 Depth=2
	s_or_b64 exec, exec, s[90:91]
	v_mul_f32_e32 v25, v24, v3
	v_and_b32_e32 v34, 0x7f800000, v25
	v_mov_b32_e32 v35, v37
	v_cmp_ne_u64_e64 s[20:21], s[60:61], v[34:35]
	v_and_b32_e32 v36, 0x7fffff, v25
                                        ; implicit-def: $vgpr59
	s_and_saveexec_b64 s[22:23], s[20:21]
	s_xor_b64 s[24:25], exec, s[22:23]
	s_cbranch_execz .LBB2_321
; %bb.308:                              ;   in Loop: Header=BB2_127 Depth=2
	v_and_b32_e32 v34, 0x7fffffff, v25
	v_mov_b32_e32 v35, v37
	v_cmp_gt_u64_e64 s[20:21], s[62:63], v[34:35]
	v_and_b32_sdwa v24, v25, s64 dst_sel:DWORD dst_unused:UNUSED_PAD src0_sel:BYTE_3 src1_sel:DWORD
                                        ; implicit-def: $vgpr59
	s_and_saveexec_b64 s[22:23], s[20:21]
	s_xor_b64 s[90:91], exec, s[22:23]
	s_cbranch_execz .LBB2_318
; %bb.309:                              ;   in Loop: Header=BB2_127 Depth=2
	v_mov_b32_e32 v59, 0
	v_cmp_ne_u32_e64 s[20:21], 0, v25
	s_and_saveexec_b64 s[92:93], s[20:21]
	s_cbranch_execz .LBB2_317
; %bb.310:                              ;   in Loop: Header=BB2_127 Depth=2
	v_bfe_u32 v25, v25, 23, 8
	v_cmp_gt_u32_e64 s[22:23], s65, v25
	v_sub_u32_e32 v3, 0x71, v25
	v_cmp_eq_u32_e64 s[20:21], 0, v25
	v_cndmask_b32_e64 v3, 0, v3, s[22:23]
	v_mov_b32_e32 v34, 0x70
	v_or_b32_e32 v30, 0x800000, v36
	v_cndmask_b32_e64 v3, v3, v34, s[20:21]
	v_cndmask_b32_e64 v36, v30, v36, s[20:21]
	v_add_u32_e32 v30, 21, v3
	v_lshlrev_b64 v[34:35], v30, -1
	v_add_u32_e32 v30, 20, v3
	v_lshlrev_b64 v[52:53], v30, 1
	v_lshrrev_b64 v[44:45], v3, v[36:37]
	v_bfi_b32 v35, v35, 0, 0
	v_bfi_b32 v34, v34, 0, v36
	v_cmp_eq_u64_e64 s[22:23], v[34:35], v[52:53]
	v_mov_b32_e32 v46, v45
	v_mov_b32_e32 v45, v44
	s_and_saveexec_b64 s[94:95], s[22:23]
; %bb.311:                              ;   in Loop: Header=BB2_127 Depth=2
	v_bfe_u32 v30, v44, 21, 1
	v_add_co_u32_e64 v30, s[22:23], v44, v30
	v_add_co_u32_e64 v45, s[22:23], -1, v30
; %bb.312:                              ;   in Loop: Header=BB2_127 Depth=2
	s_or_b64 exec, exec, s[94:95]
	v_add_u32_e32 v25, 0xffffff81, v25
	v_mov_b32_e32 v30, 0xffffff82
	v_cndmask_b32_e64 v25, v25, v30, s[20:21]
	v_lshrrev_b32_e32 v30, 23, v44
	v_add3_u32 v30, v3, v25, v30
	v_add_u32_e32 v25, 14, v30
	v_and_b32_e32 v3, 0x1fffff, v45
	v_add_u32_e32 v36, v3, v44
	v_cmp_ne_u32_e64 s[20:21], 0, v25
                                        ; implicit-def: $vgpr44_vgpr45
                                        ; implicit-def: $vgpr3
	s_and_saveexec_b64 s[22:23], s[20:21]
	s_xor_b64 s[22:23], exec, s[22:23]
; %bb.313:                              ;   in Loop: Header=BB2_127 Depth=2
	v_cmp_lt_u64_e64 s[20:21], s[72:73], v[36:37]
	v_add_u32_e32 v3, 15, v30
	v_cndmask_b32_e64 v3, v25, v3, s[20:21]
	v_cndmask_b32_e64 v25, 0, 1, s[20:21]
	v_lshrrev_b64 v[44:45], v25, v[36:37]
; %bb.314:                              ;   in Loop: Header=BB2_127 Depth=2
	s_andn2_saveexec_b64 s[20:21], s[22:23]
; %bb.315:                              ;   in Loop: Header=BB2_127 Depth=2
	v_mov_b32_e32 v45, v37
	v_bfe_u32 v3, v36, 23, 1
	v_mov_b32_e32 v44, v36
; %bb.316:                              ;   in Loop: Header=BB2_127 Depth=2
	s_or_b64 exec, exec, s[20:21]
	v_lshrrev_b64 v[34:35], 21, v[44:45]
	v_cmp_gt_i32_e64 s[20:21], 32, v3
	v_cndmask_b32_e64 v35, 0, v35, s[20:21]
	v_cndmask_b32_e64 v34, 3, v34, s[20:21]
	v_cmp_eq_u32_e64 s[20:21], 0, v3
	v_min_i32_e32 v3, 31, v3
	v_cmp_eq_u64_e64 s[22:23], 0, v[34:35]
	v_lshlrev_b32_e32 v3, 2, v3
	v_and_b32_e32 v3, 0xfc, v3
	v_and_or_b32 v3, v34, 3, v3
	s_and_b64 s[20:21], s[20:21], s[22:23]
	v_cndmask_b32_e64 v3, v3, 0, s[20:21]
	v_or_b32_e32 v59, v3, v24
.LBB2_317:                              ;   in Loop: Header=BB2_127 Depth=2
	s_or_b64 exec, exec, s[92:93]
                                        ; implicit-def: $vgpr24
.LBB2_318:                              ;   in Loop: Header=BB2_127 Depth=2
	s_andn2_saveexec_b64 s[20:21], s[90:91]
; %bb.319:                              ;   in Loop: Header=BB2_127 Depth=2
	v_or_b32_e32 v59, 0x7b, v24
; %bb.320:                              ;   in Loop: Header=BB2_127 Depth=2
	s_or_b64 exec, exec, s[20:21]
                                        ; implicit-def: $vgpr25
.LBB2_321:                              ;   in Loop: Header=BB2_127 Depth=2
	s_andn2_saveexec_b64 s[22:23], s[24:25]
	s_cbranch_execz .LBB2_327
; %bb.322:                              ;   in Loop: Header=BB2_127 Depth=2
	v_cmp_ne_u64_e64 s[20:21], 0, v[36:37]
                                        ; implicit-def: $vgpr59
	s_and_saveexec_b64 s[24:25], s[20:21]
	s_xor_b64 s[20:21], exec, s[24:25]
; %bb.323:                              ;   in Loop: Header=BB2_127 Depth=2
	v_or_b32_sdwa v59, v25, s55 dst_sel:DWORD dst_unused:UNUSED_PAD src0_sel:BYTE_3 src1_sel:DWORD
                                        ; implicit-def: $vgpr25
; %bb.324:                              ;   in Loop: Header=BB2_127 Depth=2
	s_andn2_saveexec_b64 s[24:25], s[20:21]
; %bb.325:                              ;   in Loop: Header=BB2_127 Depth=2
	v_cmp_lt_i32_e64 s[20:21], -1, v25
	v_bfrev_b32_e32 v3, 0.5
	v_cndmask_b32_e64 v59, v3, v19, s[20:21]
; %bb.326:                              ;   in Loop: Header=BB2_127 Depth=2
	s_or_b64 exec, exec, s[24:25]
.LBB2_327:                              ;   in Loop: Header=BB2_127 Depth=2
	s_or_b64 exec, exec, s[22:23]
	v_lshrrev_b32_e32 v30, 16, v15
	v_cmp_ne_u16_sdwa s[20:21], v30, v37 src0_sel:BYTE_0 src1_sel:DWORD
	v_mov_b32_e32 v24, 0
	s_and_saveexec_b64 s[22:23], s[20:21]
	s_cbranch_execz .LBB2_335
; %bb.328:                              ;   in Loop: Header=BB2_127 Depth=2
	v_cmp_ne_u16_sdwa s[20:21], v30, s64 src0_sel:BYTE_0 src1_sel:DWORD
	v_bfrev_b32_e32 v24, 1
	s_and_saveexec_b64 s[24:25], s[20:21]
	s_cbranch_execz .LBB2_334
; %bb.329:                              ;   in Loop: Header=BB2_127 Depth=2
	v_and_b32_e32 v24, 0x7c0000, v15
	v_bfe_u32 v3, v15, 16, 2
	v_cmp_ne_u32_e64 s[20:21], s66, v24
                                        ; implicit-def: $vgpr24
	s_and_saveexec_b64 s[90:91], s[20:21]
	s_xor_b64 s[90:91], exec, s[90:91]
	s_cbranch_execz .LBB2_331
; %bb.330:                              ;   in Loop: Header=BB2_127 Depth=2
	v_ffbh_u32_e32 v24, v3
	v_min_u32_e32 v35, 32, v24
	v_subrev_u32_e32 v24, 29, v35
	v_lshlrev_b64 v[24:25], v24, v[30:31]
	v_bfe_u32 v34, v15, 18, 5
	v_and_b32_e32 v24, 3, v24
	v_cmp_eq_u32_e64 s[20:21], 0, v34
	v_sub_u32_e32 v25, 30, v35
	v_cndmask_b32_e64 v3, v3, v24, s[20:21]
	v_lshlrev_b32_e32 v24, 8, v15
	v_cndmask_b32_e64 v25, v34, v25, s[20:21]
	v_and_b32_e32 v24, 0x80000000, v24
	v_lshl_add_u32 v24, v25, 23, v24
	v_lshl_or_b32 v3, v3, 21, v24
	v_add_u32_e32 v24, 0x38000000, v3
                                        ; implicit-def: $vgpr3
                                        ; implicit-def: $vgpr30
.LBB2_331:                              ;   in Loop: Header=BB2_127 Depth=2
	s_andn2_saveexec_b64 s[90:91], s[90:91]
; %bb.332:                              ;   in Loop: Header=BB2_127 Depth=2
	v_cmp_gt_i16_sdwa s[20:21], sext(v30), v20 src0_sel:BYTE_0 src1_sel:DWORD
	v_cndmask_b32_e64 v24, v21, v61, s[20:21]
	v_cmp_eq_u32_e64 s[20:21], 0, v3
	v_cndmask_b32_e64 v24, v2, v24, s[20:21]
; %bb.333:                              ;   in Loop: Header=BB2_127 Depth=2
	s_or_b64 exec, exec, s[90:91]
.LBB2_334:                              ;   in Loop: Header=BB2_127 Depth=2
	s_or_b64 exec, exec, s[24:25]
.LBB2_335:                              ;   in Loop: Header=BB2_127 Depth=2
	s_or_b64 exec, exec, s[22:23]
	v_lshrrev_b32_e32 v30, 16, v11
	v_cmp_gt_i16_sdwa s[22:23], v30, s55 src0_sel:BYTE_0 src1_sel:DWORD
	s_mov_b64 s[20:21], 0
	s_and_saveexec_b64 s[24:25], s[22:23]
	s_xor_b64 s[22:23], exec, s[24:25]
	s_cbranch_execz .LBB2_658
; %bb.336:                              ;   in Loop: Header=BB2_127 Depth=2
	v_cmp_eq_u16_sdwa s[90:91], v30, s64 src0_sel:BYTE_0 src1_sel:DWORD
	s_mov_b64 s[20:21], -1
	s_and_saveexec_b64 s[24:25], s[90:91]
; %bb.337:                              ;   in Loop: Header=BB2_127 Depth=2
	s_xor_b64 s[20:21], exec, -1
; %bb.338:                              ;   in Loop: Header=BB2_127 Depth=2
	s_or_b64 exec, exec, s[24:25]
	s_and_b64 s[20:21], s[20:21], exec
	s_or_saveexec_b64 s[22:23], s[22:23]
	v_bfrev_b32_e32 v3, 1
	s_xor_b64 exec, exec, s[22:23]
	s_cbranch_execnz .LBB2_659
.LBB2_339:                              ;   in Loop: Header=BB2_127 Depth=2
	s_or_b64 exec, exec, s[22:23]
	s_and_saveexec_b64 s[90:91], s[20:21]
	s_cbranch_execz .LBB2_341
.LBB2_340:                              ;   in Loop: Header=BB2_127 Depth=2
	v_and_b32_e32 v3, 3, v30
	v_and_b32_e32 v34, 0x7c0000, v11
	v_cmp_eq_u32_e64 s[20:21], s66, v34
	v_ffbh_u32_e32 v34, v3
	v_min_u32_e32 v36, 32, v34
	v_subrev_u32_e32 v34, 29, v36
	v_bfe_u32 v25, v11, 18, 5
	v_lshlrev_b64 v[34:35], v34, v[30:31]
	v_cmp_eq_u32_e64 s[22:23], 0, v25
	v_sub_u32_e32 v35, 30, v36
	v_cndmask_b32_e64 v25, v25, v35, s[22:23]
	v_lshlrev_b32_e32 v35, 24, v30
	v_and_b32_e32 v34, 3, v34
	v_and_b32_e32 v35, 0x80000000, v35
	v_cndmask_b32_e64 v34, v3, v34, s[22:23]
	v_lshl_add_u32 v25, v25, 23, v35
	v_cmp_gt_i16_sdwa s[24:25], sext(v30), v20 src0_sel:BYTE_0 src1_sel:DWORD
	v_lshl_or_b32 v25, v34, 21, v25
	v_cmp_eq_u32_e64 s[22:23], 0, v3
	v_cndmask_b32_e64 v3, v21, v61, s[24:25]
	v_add_u32_e32 v25, 0x38000000, v25
	v_cndmask_b32_e64 v3, v2, v3, s[22:23]
	v_cndmask_b32_e64 v3, v25, v3, s[20:21]
.LBB2_341:                              ;   in Loop: Header=BB2_127 Depth=2
	s_or_b64 exec, exec, s[90:91]
	v_mul_f32_e32 v25, v24, v3
	v_and_b32_e32 v34, 0x7f800000, v25
	v_mov_b32_e32 v35, v37
	v_cmp_ne_u64_e64 s[20:21], s[60:61], v[34:35]
	v_and_b32_e32 v36, 0x7fffff, v25
                                        ; implicit-def: $vgpr46
	s_and_saveexec_b64 s[22:23], s[20:21]
	s_xor_b64 s[24:25], exec, s[22:23]
	s_cbranch_execz .LBB2_355
; %bb.342:                              ;   in Loop: Header=BB2_127 Depth=2
	v_and_b32_e32 v34, 0x7fffffff, v25
	v_mov_b32_e32 v35, v37
	v_cmp_gt_u64_e64 s[20:21], s[62:63], v[34:35]
	v_and_b32_sdwa v24, v25, s64 dst_sel:DWORD dst_unused:UNUSED_PAD src0_sel:BYTE_3 src1_sel:DWORD
                                        ; implicit-def: $vgpr46
	s_and_saveexec_b64 s[22:23], s[20:21]
	s_xor_b64 s[90:91], exec, s[22:23]
	s_cbranch_execz .LBB2_352
; %bb.343:                              ;   in Loop: Header=BB2_127 Depth=2
	v_mov_b32_e32 v46, 0
	v_cmp_ne_u32_e64 s[20:21], 0, v25
	s_and_saveexec_b64 s[92:93], s[20:21]
	s_cbranch_execz .LBB2_351
; %bb.344:                              ;   in Loop: Header=BB2_127 Depth=2
	v_bfe_u32 v25, v25, 23, 8
	v_cmp_gt_u32_e64 s[22:23], s65, v25
	v_sub_u32_e32 v3, 0x71, v25
	v_cmp_eq_u32_e64 s[20:21], 0, v25
	v_cndmask_b32_e64 v3, 0, v3, s[22:23]
	v_mov_b32_e32 v34, 0x70
	v_or_b32_e32 v30, 0x800000, v36
	v_cndmask_b32_e64 v3, v3, v34, s[20:21]
	v_cndmask_b32_e64 v36, v30, v36, s[20:21]
	v_add_u32_e32 v30, 21, v3
	v_lshlrev_b64 v[34:35], v30, -1
	v_add_u32_e32 v30, 20, v3
	v_lshlrev_b64 v[52:53], v30, 1
	v_lshrrev_b64 v[44:45], v3, v[36:37]
	v_bfi_b32 v35, v35, 0, 0
	v_bfi_b32 v34, v34, 0, v36
	v_cmp_eq_u64_e64 s[22:23], v[34:35], v[52:53]
	v_mov_b32_e32 v46, v45
	v_mov_b32_e32 v45, v44
	s_and_saveexec_b64 s[94:95], s[22:23]
; %bb.345:                              ;   in Loop: Header=BB2_127 Depth=2
	v_bfe_u32 v30, v44, 21, 1
	v_add_co_u32_e64 v30, s[22:23], v44, v30
	v_add_co_u32_e64 v45, s[22:23], -1, v30
; %bb.346:                              ;   in Loop: Header=BB2_127 Depth=2
	s_or_b64 exec, exec, s[94:95]
	v_add_u32_e32 v25, 0xffffff81, v25
	v_mov_b32_e32 v30, 0xffffff82
	v_cndmask_b32_e64 v25, v25, v30, s[20:21]
	v_lshrrev_b32_e32 v30, 23, v44
	v_add3_u32 v30, v3, v25, v30
	v_add_u32_e32 v25, 14, v30
	v_and_b32_e32 v3, 0x1fffff, v45
	v_add_u32_e32 v36, v3, v44
	v_cmp_ne_u32_e64 s[20:21], 0, v25
                                        ; implicit-def: $vgpr44_vgpr45
                                        ; implicit-def: $vgpr3
	s_and_saveexec_b64 s[22:23], s[20:21]
	s_xor_b64 s[22:23], exec, s[22:23]
; %bb.347:                              ;   in Loop: Header=BB2_127 Depth=2
	v_cmp_lt_u64_e64 s[20:21], s[72:73], v[36:37]
	v_add_u32_e32 v3, 15, v30
	v_cndmask_b32_e64 v3, v25, v3, s[20:21]
	v_cndmask_b32_e64 v25, 0, 1, s[20:21]
	v_lshrrev_b64 v[44:45], v25, v[36:37]
; %bb.348:                              ;   in Loop: Header=BB2_127 Depth=2
	s_andn2_saveexec_b64 s[20:21], s[22:23]
; %bb.349:                              ;   in Loop: Header=BB2_127 Depth=2
	v_mov_b32_e32 v45, v37
	v_bfe_u32 v3, v36, 23, 1
	v_mov_b32_e32 v44, v36
; %bb.350:                              ;   in Loop: Header=BB2_127 Depth=2
	s_or_b64 exec, exec, s[20:21]
	v_lshrrev_b64 v[34:35], 21, v[44:45]
	v_cmp_gt_i32_e64 s[20:21], 32, v3
	v_cndmask_b32_e64 v35, 0, v35, s[20:21]
	v_cndmask_b32_e64 v34, 3, v34, s[20:21]
	v_cmp_eq_u32_e64 s[20:21], 0, v3
	v_min_i32_e32 v3, 31, v3
	v_cmp_eq_u64_e64 s[22:23], 0, v[34:35]
	v_lshlrev_b32_e32 v3, 2, v3
	v_and_b32_e32 v3, 0xfc, v3
	v_and_or_b32 v3, v34, 3, v3
	s_and_b64 s[20:21], s[20:21], s[22:23]
	v_cndmask_b32_e64 v3, v3, 0, s[20:21]
	v_or_b32_e32 v46, v3, v24
.LBB2_351:                              ;   in Loop: Header=BB2_127 Depth=2
	s_or_b64 exec, exec, s[92:93]
                                        ; implicit-def: $vgpr24
.LBB2_352:                              ;   in Loop: Header=BB2_127 Depth=2
	s_andn2_saveexec_b64 s[20:21], s[90:91]
; %bb.353:                              ;   in Loop: Header=BB2_127 Depth=2
	v_or_b32_e32 v46, 0x7b, v24
; %bb.354:                              ;   in Loop: Header=BB2_127 Depth=2
	s_or_b64 exec, exec, s[20:21]
                                        ; implicit-def: $vgpr25
.LBB2_355:                              ;   in Loop: Header=BB2_127 Depth=2
	s_andn2_saveexec_b64 s[22:23], s[24:25]
	s_cbranch_execz .LBB2_361
; %bb.356:                              ;   in Loop: Header=BB2_127 Depth=2
	v_cmp_ne_u64_e64 s[20:21], 0, v[36:37]
                                        ; implicit-def: $vgpr46
	s_and_saveexec_b64 s[24:25], s[20:21]
	s_xor_b64 s[20:21], exec, s[24:25]
; %bb.357:                              ;   in Loop: Header=BB2_127 Depth=2
	v_or_b32_sdwa v46, v25, s55 dst_sel:DWORD dst_unused:UNUSED_PAD src0_sel:BYTE_3 src1_sel:DWORD
                                        ; implicit-def: $vgpr25
; %bb.358:                              ;   in Loop: Header=BB2_127 Depth=2
	s_andn2_saveexec_b64 s[24:25], s[20:21]
; %bb.359:                              ;   in Loop: Header=BB2_127 Depth=2
	v_cmp_lt_i32_e64 s[20:21], -1, v25
	v_bfrev_b32_e32 v3, 0.5
	v_cndmask_b32_e64 v46, v3, v19, s[20:21]
; %bb.360:                              ;   in Loop: Header=BB2_127 Depth=2
	s_or_b64 exec, exec, s[24:25]
.LBB2_361:                              ;   in Loop: Header=BB2_127 Depth=2
	s_or_b64 exec, exec, s[22:23]
	v_cmp_lt_u64_e64 s[20:21], s[58:59], v[14:15]
	v_mov_b32_e32 v24, 0
	s_and_saveexec_b64 s[22:23], s[20:21]
	s_cbranch_execz .LBB2_369
; %bb.362:                              ;   in Loop: Header=BB2_127 Depth=2
	v_lshrrev_b32_e32 v30, 24, v15
	v_cmp_ne_u32_e64 s[20:21], s64, v30
	v_bfrev_b32_e32 v24, 1
	s_and_saveexec_b64 s[24:25], s[20:21]
	s_cbranch_execz .LBB2_368
; %bb.363:                              ;   in Loop: Header=BB2_127 Depth=2
	v_and_b32_e32 v24, 0x7c000000, v15
	v_bfe_u32 v3, v15, 24, 2
	v_cmp_ne_u32_e64 s[20:21], s67, v24
                                        ; implicit-def: $vgpr24
	s_and_saveexec_b64 s[90:91], s[20:21]
	s_xor_b64 s[90:91], exec, s[90:91]
	s_cbranch_execz .LBB2_365
; %bb.364:                              ;   in Loop: Header=BB2_127 Depth=2
	v_ffbh_u32_e32 v24, v3
	v_min_u32_e32 v35, 32, v24
	v_subrev_u32_e32 v24, 29, v35
	v_lshlrev_b64 v[24:25], v24, v[30:31]
	v_bfe_u32 v34, v15, 26, 5
	v_sub_u32_e32 v25, 30, v35
	v_and_b32_e32 v24, 3, v24
	v_cmp_eq_u32_e64 s[20:21], 0, v34
	v_cndmask_b32_e64 v25, v34, v25, s[20:21]
	v_cndmask_b32_e64 v3, v3, v24, s[20:21]
	v_and_b32_e32 v24, 0x80000000, v15
	v_lshl_add_u32 v24, v25, 23, v24
	v_lshl_or_b32 v3, v3, 21, v24
	v_add_u32_e32 v24, 0x38000000, v3
                                        ; implicit-def: $vgpr3
.LBB2_365:                              ;   in Loop: Header=BB2_127 Depth=2
	s_andn2_saveexec_b64 s[90:91], s[90:91]
; %bb.366:                              ;   in Loop: Header=BB2_127 Depth=2
	v_cmp_lt_i64_e64 s[20:21], -1, v[14:15]
	v_cndmask_b32_e64 v14, v21, v61, s[20:21]
	v_cmp_eq_u32_e64 s[20:21], 0, v3
	v_cndmask_b32_e64 v24, v2, v14, s[20:21]
; %bb.367:                              ;   in Loop: Header=BB2_127 Depth=2
	s_or_b64 exec, exec, s[90:91]
.LBB2_368:                              ;   in Loop: Header=BB2_127 Depth=2
	s_or_b64 exec, exec, s[24:25]
.LBB2_369:                              ;   in Loop: Header=BB2_127 Depth=2
	s_or_b64 exec, exec, s[22:23]
	v_bfe_u32 v25, v11, 24, 2
	v_and_b32_e32 v14, 0x7c000000, v11
	v_cmp_eq_u32_e64 s[20:21], s67, v14
	v_ffbh_u32_e32 v14, v25
	v_min_u32_e32 v34, 32, v14
	v_lshrrev_b32_e32 v3, 24, v11
	v_subrev_u32_e32 v14, 29, v34
	v_bfe_u32 v30, v11, 26, 5
	v_lshlrev_b64 v[14:15], v14, v[3:4]
	v_cmp_eq_u32_e64 s[22:23], 0, v30
	v_sub_u32_e32 v15, 30, v34
	v_and_b32_e32 v14, 3, v14
	v_cndmask_b32_e64 v15, v30, v15, s[22:23]
	v_and_b32_e32 v30, 0x80000000, v11
	v_cmp_lt_i64_e64 s[24:25], -1, v[10:11]
	v_cndmask_b32_e64 v14, v25, v14, s[22:23]
	v_lshl_add_u32 v15, v15, 23, v30
	v_lshl_or_b32 v14, v14, 21, v15
	v_cmp_eq_u32_e64 s[22:23], 0, v25
	v_cndmask_b32_e64 v15, v21, v61, s[24:25]
	v_add_u32_e32 v14, 0x38000000, v14
	v_cndmask_b32_e64 v15, v2, v15, s[22:23]
	v_cndmask_b32_e64 v14, v14, v15, s[20:21]
	v_cmp_ne_u32_e64 s[20:21], s64, v3
	v_cndmask_b32_e64 v3, v0, v14, s[20:21]
	v_cmp_lt_u64_e64 s[20:21], s[58:59], v[10:11]
	v_mov_b32_e32 v15, v37
	v_cndmask_b32_e64 v3, 0, v3, s[20:21]
	v_mul_f32_e32 v10, v3, v24
	v_and_b32_e32 v14, 0x7f800000, v10
	v_cmp_ne_u64_e64 s[20:21], s[60:61], v[14:15]
	v_and_b32_e32 v36, 0x7fffff, v10
                                        ; implicit-def: $vgpr30
	s_and_saveexec_b64 s[22:23], s[20:21]
	s_xor_b64 s[24:25], exec, s[22:23]
	s_cbranch_execz .LBB2_383
; %bb.370:                              ;   in Loop: Header=BB2_127 Depth=2
	v_and_b32_e32 v14, 0x7fffffff, v10
	v_mov_b32_e32 v15, v37
	v_cmp_gt_u64_e64 s[20:21], s[62:63], v[14:15]
	v_and_b32_sdwa v24, v10, s64 dst_sel:DWORD dst_unused:UNUSED_PAD src0_sel:BYTE_3 src1_sel:DWORD
                                        ; implicit-def: $vgpr30
	s_and_saveexec_b64 s[22:23], s[20:21]
	s_xor_b64 s[90:91], exec, s[22:23]
	s_cbranch_execz .LBB2_380
; %bb.371:                              ;   in Loop: Header=BB2_127 Depth=2
	v_mov_b32_e32 v30, 0
	v_cmp_ne_u32_e64 s[20:21], 0, v10
	s_and_saveexec_b64 s[92:93], s[20:21]
	s_cbranch_execz .LBB2_379
; %bb.372:                              ;   in Loop: Header=BB2_127 Depth=2
	v_bfe_u32 v25, v10, 23, 8
	v_cmp_gt_u32_e64 s[22:23], s65, v25
	v_sub_u32_e32 v3, 0x71, v25
	v_cmp_eq_u32_e64 s[20:21], 0, v25
	v_cndmask_b32_e64 v3, 0, v3, s[22:23]
	v_mov_b32_e32 v11, 0x70
	v_or_b32_e32 v10, 0x800000, v36
	v_cndmask_b32_e64 v3, v3, v11, s[20:21]
	v_cndmask_b32_e64 v36, v10, v36, s[20:21]
	v_add_u32_e32 v10, 21, v3
	v_lshlrev_b64 v[10:11], v10, -1
	v_add_u32_e32 v14, 20, v3
	v_lshlrev_b64 v[14:15], v14, 1
	v_bfi_b32 v11, v11, 0, 0
	v_bfi_b32 v10, v10, 0, v36
	v_cmp_eq_u64_e64 s[22:23], v[10:11], v[14:15]
	v_lshrrev_b64 v[10:11], v3, v[36:37]
	v_mov_b32_e32 v15, v11
	v_mov_b32_e32 v14, v10
	s_and_saveexec_b64 s[94:95], s[22:23]
; %bb.373:                              ;   in Loop: Header=BB2_127 Depth=2
	v_bfe_u32 v11, v10, 21, 1
	v_add_co_u32_e64 v11, s[22:23], v10, v11
	v_add_co_u32_e64 v14, s[22:23], -1, v11
; %bb.374:                              ;   in Loop: Header=BB2_127 Depth=2
	s_or_b64 exec, exec, s[94:95]
	v_add_u32_e32 v11, 0xffffff81, v25
	v_mov_b32_e32 v15, 0xffffff82
	v_cndmask_b32_e64 v11, v11, v15, s[20:21]
	v_lshrrev_b32_e32 v15, 23, v10
	v_add3_u32 v25, v3, v11, v15
	v_add_u32_e32 v15, 14, v25
	v_and_b32_e32 v3, 0x1fffff, v14
	v_add_u32_e32 v36, v3, v10
	v_cmp_ne_u32_e64 s[20:21], 0, v15
                                        ; implicit-def: $vgpr10_vgpr11
                                        ; implicit-def: $vgpr3
	s_and_saveexec_b64 s[22:23], s[20:21]
	s_xor_b64 s[22:23], exec, s[22:23]
; %bb.375:                              ;   in Loop: Header=BB2_127 Depth=2
	v_cmp_lt_u64_e64 s[20:21], s[72:73], v[36:37]
	v_add_u32_e32 v3, 15, v25
	v_cndmask_b32_e64 v10, 0, 1, s[20:21]
	v_cndmask_b32_e64 v3, v15, v3, s[20:21]
	v_lshrrev_b64 v[10:11], v10, v[36:37]
; %bb.376:                              ;   in Loop: Header=BB2_127 Depth=2
	s_andn2_saveexec_b64 s[20:21], s[22:23]
; %bb.377:                              ;   in Loop: Header=BB2_127 Depth=2
	v_mov_b32_e32 v10, v36
	v_bfe_u32 v3, v36, 23, 1
	v_mov_b32_e32 v11, v37
; %bb.378:                              ;   in Loop: Header=BB2_127 Depth=2
	s_or_b64 exec, exec, s[20:21]
	v_lshrrev_b64 v[10:11], 21, v[10:11]
	v_cmp_gt_i32_e64 s[20:21], 32, v3
	v_cndmask_b32_e64 v11, 0, v11, s[20:21]
	v_cndmask_b32_e64 v10, 3, v10, s[20:21]
	v_cmp_eq_u32_e64 s[20:21], 0, v3
	v_min_i32_e32 v3, 31, v3
	v_cmp_eq_u64_e64 s[22:23], 0, v[10:11]
	v_lshlrev_b32_e32 v3, 2, v3
	v_and_b32_e32 v3, 0xfc, v3
	v_and_or_b32 v3, v10, 3, v3
	s_and_b64 s[20:21], s[20:21], s[22:23]
	v_cndmask_b32_e64 v3, v3, 0, s[20:21]
	v_or_b32_e32 v30, v3, v24
.LBB2_379:                              ;   in Loop: Header=BB2_127 Depth=2
	s_or_b64 exec, exec, s[92:93]
                                        ; implicit-def: $vgpr24
.LBB2_380:                              ;   in Loop: Header=BB2_127 Depth=2
	s_andn2_saveexec_b64 s[20:21], s[90:91]
; %bb.381:                              ;   in Loop: Header=BB2_127 Depth=2
	v_or_b32_e32 v30, 0x7b, v24
; %bb.382:                              ;   in Loop: Header=BB2_127 Depth=2
	s_or_b64 exec, exec, s[20:21]
                                        ; implicit-def: $vgpr10
.LBB2_383:                              ;   in Loop: Header=BB2_127 Depth=2
	s_andn2_saveexec_b64 s[22:23], s[24:25]
	s_cbranch_execz .LBB2_389
; %bb.384:                              ;   in Loop: Header=BB2_127 Depth=2
	v_cmp_ne_u64_e64 s[20:21], 0, v[36:37]
                                        ; implicit-def: $vgpr30
	s_and_saveexec_b64 s[24:25], s[20:21]
	s_xor_b64 s[20:21], exec, s[24:25]
; %bb.385:                              ;   in Loop: Header=BB2_127 Depth=2
	v_or_b32_sdwa v30, v10, s55 dst_sel:DWORD dst_unused:UNUSED_PAD src0_sel:BYTE_3 src1_sel:DWORD
                                        ; implicit-def: $vgpr10
; %bb.386:                              ;   in Loop: Header=BB2_127 Depth=2
	s_andn2_saveexec_b64 s[24:25], s[20:21]
; %bb.387:                              ;   in Loop: Header=BB2_127 Depth=2
	v_cmp_lt_i32_e64 s[20:21], -1, v10
	v_bfrev_b32_e32 v3, 0.5
	v_cndmask_b32_e64 v30, v3, v19, s[20:21]
; %bb.388:                              ;   in Loop: Header=BB2_127 Depth=2
	s_or_b64 exec, exec, s[24:25]
.LBB2_389:                              ;   in Loop: Header=BB2_127 Depth=2
	s_or_b64 exec, exec, s[22:23]
	v_cmp_ne_u16_sdwa s[20:21], v16, v37 src0_sel:BYTE_0 src1_sel:DWORD
	v_mov_b32_e32 v10, 0
	s_and_saveexec_b64 s[22:23], s[20:21]
	s_cbranch_execz .LBB2_397
; %bb.390:                              ;   in Loop: Header=BB2_127 Depth=2
	v_cmp_ne_u16_sdwa s[20:21], sext(v16), s52 src0_sel:BYTE_0 src1_sel:DWORD
	v_bfrev_b32_e32 v10, 1
	s_and_saveexec_b64 s[24:25], s[20:21]
	s_cbranch_execz .LBB2_396
; %bb.391:                              ;   in Loop: Header=BB2_127 Depth=2
	v_and_b32_e32 v10, 0x7c, v16
	v_and_b32_e32 v3, 3, v16
	v_cmp_ne_u32_e64 s[20:21], s53, v10
                                        ; implicit-def: $vgpr10
	s_and_saveexec_b64 s[90:91], s[20:21]
	s_xor_b64 s[90:91], exec, s[90:91]
	s_cbranch_execz .LBB2_393
; %bb.392:                              ;   in Loop: Header=BB2_127 Depth=2
	v_ffbh_u32_e32 v10, v3
	v_min_u32_e32 v15, 32, v10
	v_subrev_u32_e32 v10, 29, v15
	v_lshlrev_b64 v[10:11], v10, v[16:17]
	v_bfe_u32 v14, v16, 2, 5
	v_and_b32_e32 v10, 3, v10
	v_cmp_eq_u32_e64 s[20:21], 0, v14
	v_sub_u32_e32 v11, 30, v15
	v_cndmask_b32_e64 v3, v3, v10, s[20:21]
	v_lshlrev_b32_e32 v10, 24, v16
	v_cndmask_b32_e64 v11, v14, v11, s[20:21]
	v_and_b32_e32 v10, 0x80000000, v10
	v_lshl_add_u32 v10, v11, 23, v10
	v_lshl_or_b32 v3, v3, 21, v10
	v_add_u32_e32 v10, 0x38000000, v3
                                        ; implicit-def: $vgpr3
.LBB2_393:                              ;   in Loop: Header=BB2_127 Depth=2
	s_andn2_saveexec_b64 s[90:91], s[90:91]
; %bb.394:                              ;   in Loop: Header=BB2_127 Depth=2
	v_cmp_gt_i16_sdwa s[20:21], sext(v16), v20 src0_sel:BYTE_0 src1_sel:DWORD
	v_cndmask_b32_e64 v10, v21, v61, s[20:21]
	v_cmp_eq_u32_e64 s[20:21], 0, v3
	v_cndmask_b32_e64 v10, v2, v10, s[20:21]
; %bb.395:                              ;   in Loop: Header=BB2_127 Depth=2
	s_or_b64 exec, exec, s[90:91]
.LBB2_396:                              ;   in Loop: Header=BB2_127 Depth=2
	s_or_b64 exec, exec, s[24:25]
.LBB2_397:                              ;   in Loop: Header=BB2_127 Depth=2
	s_or_b64 exec, exec, s[22:23]
	v_cmp_gt_i16_sdwa s[22:23], v12, s55 src0_sel:BYTE_0 src1_sel:DWORD
	s_mov_b64 s[20:21], 0
	s_and_saveexec_b64 s[24:25], s[22:23]
	s_xor_b64 s[22:23], exec, s[24:25]
	s_cbranch_execz .LBB2_660
; %bb.398:                              ;   in Loop: Header=BB2_127 Depth=2
	v_cmp_eq_u16_sdwa s[90:91], v12, s64 src0_sel:BYTE_0 src1_sel:DWORD
	s_mov_b64 s[20:21], -1
	s_and_saveexec_b64 s[24:25], s[90:91]
; %bb.399:                              ;   in Loop: Header=BB2_127 Depth=2
	s_xor_b64 s[20:21], exec, -1
; %bb.400:                              ;   in Loop: Header=BB2_127 Depth=2
	s_or_b64 exec, exec, s[24:25]
	s_and_b64 s[20:21], s[20:21], exec
	s_or_saveexec_b64 s[22:23], s[22:23]
	v_bfrev_b32_e32 v3, 1
	s_xor_b64 exec, exec, s[22:23]
	s_cbranch_execnz .LBB2_661
.LBB2_401:                              ;   in Loop: Header=BB2_127 Depth=2
	s_or_b64 exec, exec, s[22:23]
	s_and_saveexec_b64 s[90:91], s[20:21]
	s_cbranch_execz .LBB2_403
.LBB2_402:                              ;   in Loop: Header=BB2_127 Depth=2
	v_and_b32_e32 v3, 3, v12
	v_and_b32_e32 v14, 0x7c, v12
	v_cmp_eq_u32_e64 s[20:21], s53, v14
	v_ffbh_u32_e32 v14, v3
	v_min_u32_e32 v24, 32, v14
	v_subrev_u32_e32 v14, 29, v24
	v_bfe_u32 v11, v12, 2, 5
	v_lshlrev_b64 v[14:15], v14, v[12:13]
	v_cmp_eq_u32_e64 s[22:23], 0, v11
	v_sub_u32_e32 v15, 30, v24
	v_cndmask_b32_e64 v11, v11, v15, s[22:23]
	v_lshlrev_b32_e32 v15, 24, v12
	v_and_b32_e32 v14, 3, v14
	v_and_b32_e32 v15, 0x80000000, v15
	v_cndmask_b32_e64 v14, v3, v14, s[22:23]
	v_lshl_add_u32 v11, v11, 23, v15
	v_cmp_gt_i16_sdwa s[24:25], sext(v12), v20 src0_sel:BYTE_0 src1_sel:DWORD
	v_lshl_or_b32 v11, v14, 21, v11
	v_cmp_eq_u32_e64 s[22:23], 0, v3
	v_cndmask_b32_e64 v3, v21, v61, s[24:25]
	v_add_u32_e32 v11, 0x38000000, v11
	v_cndmask_b32_e64 v3, v2, v3, s[22:23]
	v_cndmask_b32_e64 v3, v11, v3, s[20:21]
.LBB2_403:                              ;   in Loop: Header=BB2_127 Depth=2
	s_or_b64 exec, exec, s[90:91]
	v_mul_f32_e32 v10, v10, v3
	v_and_b32_e32 v14, 0x7f800000, v10
	v_mov_b32_e32 v15, v37
	v_cmp_ne_u64_e64 s[20:21], s[60:61], v[14:15]
	v_and_b32_e32 v36, 0x7fffff, v10
                                        ; implicit-def: $vgpr52
	s_and_saveexec_b64 s[22:23], s[20:21]
	s_xor_b64 s[24:25], exec, s[22:23]
	s_cbranch_execz .LBB2_417
; %bb.404:                              ;   in Loop: Header=BB2_127 Depth=2
	v_and_b32_e32 v14, 0x7fffffff, v10
	v_mov_b32_e32 v15, v37
	v_cmp_gt_u64_e64 s[20:21], s[62:63], v[14:15]
	v_and_b32_sdwa v24, v10, s64 dst_sel:DWORD dst_unused:UNUSED_PAD src0_sel:BYTE_3 src1_sel:DWORD
                                        ; implicit-def: $vgpr52
	s_and_saveexec_b64 s[22:23], s[20:21]
	s_xor_b64 s[90:91], exec, s[22:23]
	s_cbranch_execz .LBB2_414
; %bb.405:                              ;   in Loop: Header=BB2_127 Depth=2
	v_mov_b32_e32 v52, 0
	v_cmp_ne_u32_e64 s[20:21], 0, v10
	s_and_saveexec_b64 s[92:93], s[20:21]
	s_cbranch_execz .LBB2_413
; %bb.406:                              ;   in Loop: Header=BB2_127 Depth=2
	v_bfe_u32 v25, v10, 23, 8
	v_cmp_gt_u32_e64 s[22:23], s65, v25
	v_sub_u32_e32 v3, 0x71, v25
	v_cmp_eq_u32_e64 s[20:21], 0, v25
	v_cndmask_b32_e64 v3, 0, v3, s[22:23]
	v_mov_b32_e32 v11, 0x70
	v_or_b32_e32 v10, 0x800000, v36
	v_cndmask_b32_e64 v3, v3, v11, s[20:21]
	v_cndmask_b32_e64 v36, v10, v36, s[20:21]
	v_add_u32_e32 v10, 21, v3
	v_lshlrev_b64 v[10:11], v10, -1
	v_add_u32_e32 v14, 20, v3
	v_lshlrev_b64 v[14:15], v14, 1
	v_bfi_b32 v11, v11, 0, 0
	v_bfi_b32 v10, v10, 0, v36
	v_cmp_eq_u64_e64 s[22:23], v[10:11], v[14:15]
	v_lshrrev_b64 v[10:11], v3, v[36:37]
	v_mov_b32_e32 v15, v11
	v_mov_b32_e32 v14, v10
	s_and_saveexec_b64 s[94:95], s[22:23]
; %bb.407:                              ;   in Loop: Header=BB2_127 Depth=2
	v_bfe_u32 v11, v10, 21, 1
	v_add_co_u32_e64 v11, s[22:23], v10, v11
	v_add_co_u32_e64 v14, s[22:23], -1, v11
; %bb.408:                              ;   in Loop: Header=BB2_127 Depth=2
	s_or_b64 exec, exec, s[94:95]
	v_add_u32_e32 v11, 0xffffff81, v25
	v_mov_b32_e32 v15, 0xffffff82
	v_cndmask_b32_e64 v11, v11, v15, s[20:21]
	v_lshrrev_b32_e32 v15, 23, v10
	v_add3_u32 v25, v3, v11, v15
	v_add_u32_e32 v15, 14, v25
	v_and_b32_e32 v3, 0x1fffff, v14
	v_add_u32_e32 v36, v3, v10
	v_cmp_ne_u32_e64 s[20:21], 0, v15
                                        ; implicit-def: $vgpr10_vgpr11
                                        ; implicit-def: $vgpr3
	s_and_saveexec_b64 s[22:23], s[20:21]
	s_xor_b64 s[22:23], exec, s[22:23]
; %bb.409:                              ;   in Loop: Header=BB2_127 Depth=2
	v_cmp_lt_u64_e64 s[20:21], s[72:73], v[36:37]
	v_add_u32_e32 v3, 15, v25
	v_cndmask_b32_e64 v10, 0, 1, s[20:21]
	v_cndmask_b32_e64 v3, v15, v3, s[20:21]
	v_lshrrev_b64 v[10:11], v10, v[36:37]
; %bb.410:                              ;   in Loop: Header=BB2_127 Depth=2
	s_andn2_saveexec_b64 s[20:21], s[22:23]
; %bb.411:                              ;   in Loop: Header=BB2_127 Depth=2
	v_mov_b32_e32 v10, v36
	v_bfe_u32 v3, v36, 23, 1
	v_mov_b32_e32 v11, v37
; %bb.412:                              ;   in Loop: Header=BB2_127 Depth=2
	s_or_b64 exec, exec, s[20:21]
	v_lshrrev_b64 v[10:11], 21, v[10:11]
	v_cmp_gt_i32_e64 s[20:21], 32, v3
	v_cndmask_b32_e64 v11, 0, v11, s[20:21]
	v_cndmask_b32_e64 v10, 3, v10, s[20:21]
	v_cmp_eq_u32_e64 s[20:21], 0, v3
	v_min_i32_e32 v3, 31, v3
	v_cmp_eq_u64_e64 s[22:23], 0, v[10:11]
	v_lshlrev_b32_e32 v3, 2, v3
	v_and_b32_e32 v3, 0xfc, v3
	v_and_or_b32 v3, v10, 3, v3
	s_and_b64 s[20:21], s[20:21], s[22:23]
	v_cndmask_b32_e64 v3, v3, 0, s[20:21]
	v_or_b32_e32 v52, v3, v24
.LBB2_413:                              ;   in Loop: Header=BB2_127 Depth=2
	s_or_b64 exec, exec, s[92:93]
                                        ; implicit-def: $vgpr24
.LBB2_414:                              ;   in Loop: Header=BB2_127 Depth=2
	s_andn2_saveexec_b64 s[20:21], s[90:91]
; %bb.415:                              ;   in Loop: Header=BB2_127 Depth=2
	v_or_b32_e32 v52, 0x7b, v24
; %bb.416:                              ;   in Loop: Header=BB2_127 Depth=2
	s_or_b64 exec, exec, s[20:21]
                                        ; implicit-def: $vgpr10
.LBB2_417:                              ;   in Loop: Header=BB2_127 Depth=2
	s_andn2_saveexec_b64 s[22:23], s[24:25]
	s_cbranch_execz .LBB2_423
; %bb.418:                              ;   in Loop: Header=BB2_127 Depth=2
	v_cmp_ne_u64_e64 s[20:21], 0, v[36:37]
                                        ; implicit-def: $vgpr52
	s_and_saveexec_b64 s[24:25], s[20:21]
	s_xor_b64 s[20:21], exec, s[24:25]
; %bb.419:                              ;   in Loop: Header=BB2_127 Depth=2
	v_or_b32_sdwa v52, v10, s55 dst_sel:DWORD dst_unused:UNUSED_PAD src0_sel:BYTE_3 src1_sel:DWORD
                                        ; implicit-def: $vgpr10
; %bb.420:                              ;   in Loop: Header=BB2_127 Depth=2
	s_andn2_saveexec_b64 s[24:25], s[20:21]
; %bb.421:                              ;   in Loop: Header=BB2_127 Depth=2
	v_cmp_lt_i32_e64 s[20:21], -1, v10
	v_bfrev_b32_e32 v3, 0.5
	v_cndmask_b32_e64 v52, v3, v19, s[20:21]
; %bb.422:                              ;   in Loop: Header=BB2_127 Depth=2
	s_or_b64 exec, exec, s[24:25]
.LBB2_423:                              ;   in Loop: Header=BB2_127 Depth=2
	s_or_b64 exec, exec, s[22:23]
	v_lshrrev_b16_e32 v36, 8, v16
	v_cmp_ne_u16_e64 s[20:21], 0, v36
	v_mov_b32_e32 v10, 0
	s_and_saveexec_b64 s[22:23], s[20:21]
	s_cbranch_execz .LBB2_431
; %bb.424:                              ;   in Loop: Header=BB2_127 Depth=2
	v_cmp_ne_u16_e64 s[20:21], s64, v36
	v_bfrev_b32_e32 v10, 1
	s_and_saveexec_b64 s[24:25], s[20:21]
	s_cbranch_execz .LBB2_430
; %bb.425:                              ;   in Loop: Header=BB2_127 Depth=2
	v_and_b32_e32 v10, 0x7c, v36
	v_and_b32_e32 v3, 3, v36
	v_cmp_ne_u32_e64 s[20:21], s53, v10
                                        ; implicit-def: $vgpr10
	s_and_saveexec_b64 s[90:91], s[20:21]
	s_xor_b64 s[90:91], exec, s[90:91]
	s_cbranch_execz .LBB2_427
; %bb.426:                              ;   in Loop: Header=BB2_127 Depth=2
	v_ffbh_u32_e32 v10, v3
	v_min_u32_e32 v15, 32, v10
	v_subrev_u32_e32 v10, 29, v15
	v_lshlrev_b64 v[10:11], v10, v[36:37]
	v_bfe_u32 v14, v36, 2, 5
	v_and_b32_e32 v10, 3, v10
	v_cmp_eq_u32_e64 s[20:21], 0, v14
	v_sub_u32_e32 v11, 30, v15
	v_cndmask_b32_e64 v3, v3, v10, s[20:21]
	v_lshlrev_b32_e32 v10, 16, v16
	v_cndmask_b32_e64 v11, v14, v11, s[20:21]
	v_and_b32_e32 v10, 0x80000000, v10
	v_lshl_add_u32 v10, v11, 23, v10
	v_lshl_or_b32 v3, v3, 21, v10
	v_add_u32_e32 v10, 0x38000000, v3
                                        ; implicit-def: $vgpr3
.LBB2_427:                              ;   in Loop: Header=BB2_127 Depth=2
	s_andn2_saveexec_b64 s[90:91], s[90:91]
; %bb.428:                              ;   in Loop: Header=BB2_127 Depth=2
	v_cmp_lt_i16_e64 s[20:21], -1, v16
	v_cndmask_b32_e64 v10, v21, v61, s[20:21]
	v_cmp_eq_u32_e64 s[20:21], 0, v3
	v_cndmask_b32_e64 v10, v2, v10, s[20:21]
; %bb.429:                              ;   in Loop: Header=BB2_127 Depth=2
	s_or_b64 exec, exec, s[90:91]
.LBB2_430:                              ;   in Loop: Header=BB2_127 Depth=2
	s_or_b64 exec, exec, s[24:25]
.LBB2_431:                              ;   in Loop: Header=BB2_127 Depth=2
	s_or_b64 exec, exec, s[22:23]
	v_lshrrev_b16_e32 v36, 8, v12
	v_cmp_lt_i16_e64 s[20:21], s55, v36
	s_mov_b64 s[22:23], 0
	s_and_saveexec_b64 s[24:25], s[20:21]
	s_xor_b64 s[24:25], exec, s[24:25]
	s_cbranch_execz .LBB2_662
; %bb.432:                              ;   in Loop: Header=BB2_127 Depth=2
	v_cmp_eq_u16_e64 s[20:21], s64, v36
	s_mov_b64 s[22:23], -1
	s_and_saveexec_b64 s[90:91], s[20:21]
; %bb.433:                              ;   in Loop: Header=BB2_127 Depth=2
	s_xor_b64 s[22:23], exec, -1
; %bb.434:                              ;   in Loop: Header=BB2_127 Depth=2
	s_or_b64 exec, exec, s[90:91]
	s_and_b64 s[22:23], s[22:23], exec
	s_or_saveexec_b64 s[24:25], s[24:25]
	v_bfrev_b32_e32 v3, 1
	s_xor_b64 exec, exec, s[24:25]
	s_cbranch_execnz .LBB2_663
.LBB2_435:                              ;   in Loop: Header=BB2_127 Depth=2
	s_or_b64 exec, exec, s[24:25]
	s_and_saveexec_b64 s[90:91], s[22:23]
	s_cbranch_execz .LBB2_437
.LBB2_436:                              ;   in Loop: Header=BB2_127 Depth=2
	v_and_b32_e32 v3, 3, v36
	v_and_b32_e32 v14, 0x7c, v36
	v_cmp_eq_u32_e64 s[20:21], s53, v14
	v_ffbh_u32_e32 v14, v3
	v_min_u32_e32 v24, 32, v14
	v_subrev_u32_e32 v14, 29, v24
	v_bfe_u32 v11, v36, 2, 5
	v_lshlrev_b64 v[14:15], v14, v[36:37]
	v_cmp_eq_u32_e64 s[22:23], 0, v11
	v_sub_u32_e32 v15, 30, v24
	v_cndmask_b32_e64 v11, v11, v15, s[22:23]
	v_lshlrev_b32_e32 v15, 24, v36
	v_and_b32_e32 v14, 3, v14
	v_and_b32_e32 v15, 0x80000000, v15
	v_cndmask_b32_e64 v14, v3, v14, s[22:23]
	v_lshl_add_u32 v11, v11, 23, v15
	v_cmp_lt_i16_e64 s[24:25], -1, v12
	v_lshl_or_b32 v11, v14, 21, v11
	v_cmp_eq_u32_e64 s[22:23], 0, v3
	v_cndmask_b32_e64 v3, v21, v61, s[24:25]
	v_add_u32_e32 v11, 0x38000000, v11
	v_cndmask_b32_e64 v3, v2, v3, s[22:23]
	v_cndmask_b32_e64 v3, v11, v3, s[20:21]
.LBB2_437:                              ;   in Loop: Header=BB2_127 Depth=2
	s_or_b64 exec, exec, s[90:91]
	v_mul_f32_e32 v10, v10, v3
	v_and_b32_e32 v14, 0x7f800000, v10
	v_mov_b32_e32 v15, v37
	v_cmp_ne_u64_e64 s[20:21], s[60:61], v[14:15]
	v_and_b32_e32 v36, 0x7fffff, v10
                                        ; implicit-def: $vgpr53
	s_and_saveexec_b64 s[22:23], s[20:21]
	s_xor_b64 s[24:25], exec, s[22:23]
	s_cbranch_execz .LBB2_451
; %bb.438:                              ;   in Loop: Header=BB2_127 Depth=2
	v_and_b32_e32 v14, 0x7fffffff, v10
	v_mov_b32_e32 v15, v37
	v_cmp_gt_u64_e64 s[20:21], s[62:63], v[14:15]
	v_and_b32_sdwa v24, v10, s64 dst_sel:DWORD dst_unused:UNUSED_PAD src0_sel:BYTE_3 src1_sel:DWORD
                                        ; implicit-def: $vgpr53
	s_and_saveexec_b64 s[22:23], s[20:21]
	s_xor_b64 s[90:91], exec, s[22:23]
	s_cbranch_execz .LBB2_448
; %bb.439:                              ;   in Loop: Header=BB2_127 Depth=2
	v_mov_b32_e32 v53, 0
	v_cmp_ne_u32_e64 s[20:21], 0, v10
	s_and_saveexec_b64 s[92:93], s[20:21]
	s_cbranch_execz .LBB2_447
; %bb.440:                              ;   in Loop: Header=BB2_127 Depth=2
	v_bfe_u32 v25, v10, 23, 8
	v_cmp_gt_u32_e64 s[22:23], s65, v25
	v_sub_u32_e32 v3, 0x71, v25
	v_cmp_eq_u32_e64 s[20:21], 0, v25
	v_cndmask_b32_e64 v3, 0, v3, s[22:23]
	v_mov_b32_e32 v11, 0x70
	v_or_b32_e32 v10, 0x800000, v36
	v_cndmask_b32_e64 v3, v3, v11, s[20:21]
	v_cndmask_b32_e64 v36, v10, v36, s[20:21]
	v_add_u32_e32 v10, 21, v3
	v_lshlrev_b64 v[10:11], v10, -1
	v_add_u32_e32 v14, 20, v3
	v_lshlrev_b64 v[14:15], v14, 1
	v_bfi_b32 v11, v11, 0, 0
	v_bfi_b32 v10, v10, 0, v36
	v_cmp_eq_u64_e64 s[22:23], v[10:11], v[14:15]
	v_lshrrev_b64 v[10:11], v3, v[36:37]
	v_mov_b32_e32 v15, v11
	v_mov_b32_e32 v14, v10
	s_and_saveexec_b64 s[94:95], s[22:23]
; %bb.441:                              ;   in Loop: Header=BB2_127 Depth=2
	v_bfe_u32 v11, v10, 21, 1
	v_add_co_u32_e64 v11, s[22:23], v10, v11
	v_add_co_u32_e64 v14, s[22:23], -1, v11
; %bb.442:                              ;   in Loop: Header=BB2_127 Depth=2
	s_or_b64 exec, exec, s[94:95]
	v_add_u32_e32 v11, 0xffffff81, v25
	v_mov_b32_e32 v15, 0xffffff82
	v_cndmask_b32_e64 v11, v11, v15, s[20:21]
	v_lshrrev_b32_e32 v15, 23, v10
	v_add3_u32 v25, v3, v11, v15
	v_add_u32_e32 v15, 14, v25
	v_and_b32_e32 v3, 0x1fffff, v14
	v_add_u32_e32 v36, v3, v10
	v_cmp_ne_u32_e64 s[20:21], 0, v15
                                        ; implicit-def: $vgpr10_vgpr11
                                        ; implicit-def: $vgpr3
	s_and_saveexec_b64 s[22:23], s[20:21]
	s_xor_b64 s[22:23], exec, s[22:23]
; %bb.443:                              ;   in Loop: Header=BB2_127 Depth=2
	v_cmp_lt_u64_e64 s[20:21], s[72:73], v[36:37]
	v_add_u32_e32 v3, 15, v25
	v_cndmask_b32_e64 v10, 0, 1, s[20:21]
	v_cndmask_b32_e64 v3, v15, v3, s[20:21]
	v_lshrrev_b64 v[10:11], v10, v[36:37]
; %bb.444:                              ;   in Loop: Header=BB2_127 Depth=2
	s_andn2_saveexec_b64 s[20:21], s[22:23]
; %bb.445:                              ;   in Loop: Header=BB2_127 Depth=2
	v_mov_b32_e32 v10, v36
	v_bfe_u32 v3, v36, 23, 1
	v_mov_b32_e32 v11, v37
; %bb.446:                              ;   in Loop: Header=BB2_127 Depth=2
	s_or_b64 exec, exec, s[20:21]
	v_lshrrev_b64 v[10:11], 21, v[10:11]
	v_cmp_gt_i32_e64 s[20:21], 32, v3
	v_cndmask_b32_e64 v11, 0, v11, s[20:21]
	v_cndmask_b32_e64 v10, 3, v10, s[20:21]
	v_cmp_eq_u32_e64 s[20:21], 0, v3
	v_min_i32_e32 v3, 31, v3
	v_cmp_eq_u64_e64 s[22:23], 0, v[10:11]
	v_lshlrev_b32_e32 v3, 2, v3
	v_and_b32_e32 v3, 0xfc, v3
	v_and_or_b32 v3, v10, 3, v3
	s_and_b64 s[20:21], s[20:21], s[22:23]
	v_cndmask_b32_e64 v3, v3, 0, s[20:21]
	v_or_b32_e32 v53, v3, v24
.LBB2_447:                              ;   in Loop: Header=BB2_127 Depth=2
	s_or_b64 exec, exec, s[92:93]
                                        ; implicit-def: $vgpr24
.LBB2_448:                              ;   in Loop: Header=BB2_127 Depth=2
	s_andn2_saveexec_b64 s[20:21], s[90:91]
; %bb.449:                              ;   in Loop: Header=BB2_127 Depth=2
	v_or_b32_e32 v53, 0x7b, v24
; %bb.450:                              ;   in Loop: Header=BB2_127 Depth=2
	s_or_b64 exec, exec, s[20:21]
                                        ; implicit-def: $vgpr10
.LBB2_451:                              ;   in Loop: Header=BB2_127 Depth=2
	s_andn2_saveexec_b64 s[22:23], s[24:25]
	s_cbranch_execz .LBB2_457
; %bb.452:                              ;   in Loop: Header=BB2_127 Depth=2
	v_cmp_ne_u64_e64 s[20:21], 0, v[36:37]
                                        ; implicit-def: $vgpr53
	s_and_saveexec_b64 s[24:25], s[20:21]
	s_xor_b64 s[20:21], exec, s[24:25]
; %bb.453:                              ;   in Loop: Header=BB2_127 Depth=2
	v_or_b32_sdwa v53, v10, s55 dst_sel:DWORD dst_unused:UNUSED_PAD src0_sel:BYTE_3 src1_sel:DWORD
                                        ; implicit-def: $vgpr10
; %bb.454:                              ;   in Loop: Header=BB2_127 Depth=2
	s_andn2_saveexec_b64 s[24:25], s[20:21]
; %bb.455:                              ;   in Loop: Header=BB2_127 Depth=2
	v_cmp_lt_i32_e64 s[20:21], -1, v10
	v_bfrev_b32_e32 v3, 0.5
	v_cndmask_b32_e64 v53, v3, v19, s[20:21]
; %bb.456:                              ;   in Loop: Header=BB2_127 Depth=2
	s_or_b64 exec, exec, s[24:25]
.LBB2_457:                              ;   in Loop: Header=BB2_127 Depth=2
	s_or_b64 exec, exec, s[22:23]
	v_lshrrev_b32_e32 v10, 16, v16
	v_cmp_ne_u16_sdwa s[20:21], v10, v37 src0_sel:BYTE_0 src1_sel:DWORD
	v_mov_b32_e32 v11, 0
	s_and_saveexec_b64 s[22:23], s[20:21]
	s_cbranch_execz .LBB2_465
; %bb.458:                              ;   in Loop: Header=BB2_127 Depth=2
	v_cmp_ne_u16_sdwa s[20:21], v10, s64 src0_sel:BYTE_0 src1_sel:DWORD
	v_bfrev_b32_e32 v11, 1
	s_and_saveexec_b64 s[24:25], s[20:21]
	s_cbranch_execz .LBB2_464
; %bb.459:                              ;   in Loop: Header=BB2_127 Depth=2
	v_and_b32_e32 v11, 0x7c0000, v16
	v_bfe_u32 v3, v16, 16, 2
	v_cmp_ne_u32_e64 s[20:21], s66, v11
                                        ; implicit-def: $vgpr11
	s_and_saveexec_b64 s[90:91], s[20:21]
	s_xor_b64 s[90:91], exec, s[90:91]
	s_cbranch_execz .LBB2_461
; %bb.460:                              ;   in Loop: Header=BB2_127 Depth=2
	v_ffbh_u32_e32 v11, v3
	v_min_u32_e32 v15, 32, v11
	v_subrev_u32_e32 v11, 29, v15
	v_lshlrev_b64 v[10:11], v11, v[10:11]
	v_bfe_u32 v14, v16, 18, 5
	v_and_b32_e32 v10, 3, v10
	v_cmp_eq_u32_e64 s[20:21], 0, v14
	v_sub_u32_e32 v11, 30, v15
	v_cndmask_b32_e64 v3, v3, v10, s[20:21]
	v_lshlrev_b32_e32 v10, 8, v16
	v_cndmask_b32_e64 v11, v14, v11, s[20:21]
	v_and_b32_e32 v10, 0x80000000, v10
	v_lshl_add_u32 v10, v11, 23, v10
	v_lshl_or_b32 v3, v3, 21, v10
	v_add_u32_e32 v11, 0x38000000, v3
                                        ; implicit-def: $vgpr3
                                        ; implicit-def: $vgpr10
.LBB2_461:                              ;   in Loop: Header=BB2_127 Depth=2
	s_andn2_saveexec_b64 s[90:91], s[90:91]
; %bb.462:                              ;   in Loop: Header=BB2_127 Depth=2
	v_cmp_gt_i16_sdwa s[20:21], sext(v10), v20 src0_sel:BYTE_0 src1_sel:DWORD
	v_cndmask_b32_e64 v10, v21, v61, s[20:21]
	v_cmp_eq_u32_e64 s[20:21], 0, v3
	v_cndmask_b32_e64 v11, v2, v10, s[20:21]
; %bb.463:                              ;   in Loop: Header=BB2_127 Depth=2
	s_or_b64 exec, exec, s[90:91]
.LBB2_464:                              ;   in Loop: Header=BB2_127 Depth=2
	s_or_b64 exec, exec, s[24:25]
.LBB2_465:                              ;   in Loop: Header=BB2_127 Depth=2
	s_or_b64 exec, exec, s[22:23]
	v_lshrrev_b32_e32 v10, 16, v12
	v_cmp_gt_i16_sdwa s[22:23], v10, s55 src0_sel:BYTE_0 src1_sel:DWORD
	s_mov_b64 s[20:21], 0
	s_and_saveexec_b64 s[24:25], s[22:23]
	s_xor_b64 s[22:23], exec, s[24:25]
	s_cbranch_execz .LBB2_664
; %bb.466:                              ;   in Loop: Header=BB2_127 Depth=2
	v_cmp_eq_u16_sdwa s[90:91], v10, s64 src0_sel:BYTE_0 src1_sel:DWORD
	s_mov_b64 s[20:21], -1
	s_and_saveexec_b64 s[24:25], s[90:91]
; %bb.467:                              ;   in Loop: Header=BB2_127 Depth=2
	s_xor_b64 s[20:21], exec, -1
; %bb.468:                              ;   in Loop: Header=BB2_127 Depth=2
	s_or_b64 exec, exec, s[24:25]
	s_and_b64 s[20:21], s[20:21], exec
	s_or_saveexec_b64 s[22:23], s[22:23]
	v_bfrev_b32_e32 v3, 1
	s_xor_b64 exec, exec, s[22:23]
	s_cbranch_execnz .LBB2_665
.LBB2_469:                              ;   in Loop: Header=BB2_127 Depth=2
	s_or_b64 exec, exec, s[22:23]
	s_and_saveexec_b64 s[90:91], s[20:21]
	s_cbranch_execz .LBB2_471
.LBB2_470:                              ;   in Loop: Header=BB2_127 Depth=2
	v_and_b32_e32 v3, 3, v10
	v_and_b32_e32 v14, 0x7c0000, v12
	v_cmp_eq_u32_e64 s[20:21], s66, v14
	v_ffbh_u32_e32 v14, v3
	v_min_u32_e32 v25, 32, v14
	v_subrev_u32_e32 v14, 29, v25
	v_bfe_u32 v24, v12, 18, 5
	v_lshlrev_b64 v[14:15], v14, v[10:11]
	v_cmp_eq_u32_e64 s[22:23], 0, v24
	v_sub_u32_e32 v15, 30, v25
	v_cndmask_b32_e64 v15, v24, v15, s[22:23]
	v_lshlrev_b32_e32 v24, 24, v10
	v_and_b32_e32 v14, 3, v14
	v_and_b32_e32 v24, 0x80000000, v24
	v_cndmask_b32_e64 v14, v3, v14, s[22:23]
	v_lshl_add_u32 v15, v15, 23, v24
	v_cmp_gt_i16_sdwa s[24:25], sext(v10), v20 src0_sel:BYTE_0 src1_sel:DWORD
	v_lshl_or_b32 v14, v14, 21, v15
	v_cmp_eq_u32_e64 s[22:23], 0, v3
	v_cndmask_b32_e64 v3, v21, v61, s[24:25]
	v_add_u32_e32 v14, 0x38000000, v14
	v_cndmask_b32_e64 v3, v2, v3, s[22:23]
	v_cndmask_b32_e64 v3, v14, v3, s[20:21]
.LBB2_471:                              ;   in Loop: Header=BB2_127 Depth=2
	s_or_b64 exec, exec, s[90:91]
	v_mul_f32_e32 v10, v11, v3
	v_and_b32_e32 v14, 0x7f800000, v10
	v_mov_b32_e32 v15, v37
	v_cmp_ne_u64_e64 s[20:21], s[60:61], v[14:15]
	v_and_b32_e32 v36, 0x7fffff, v10
                                        ; implicit-def: $vgpr62
	s_and_saveexec_b64 s[22:23], s[20:21]
	s_xor_b64 s[24:25], exec, s[22:23]
	s_cbranch_execz .LBB2_485
; %bb.472:                              ;   in Loop: Header=BB2_127 Depth=2
	v_and_b32_e32 v14, 0x7fffffff, v10
	v_mov_b32_e32 v15, v37
	v_cmp_gt_u64_e64 s[20:21], s[62:63], v[14:15]
	v_and_b32_sdwa v24, v10, s64 dst_sel:DWORD dst_unused:UNUSED_PAD src0_sel:BYTE_3 src1_sel:DWORD
                                        ; implicit-def: $vgpr62
	s_and_saveexec_b64 s[22:23], s[20:21]
	s_xor_b64 s[90:91], exec, s[22:23]
	s_cbranch_execz .LBB2_482
; %bb.473:                              ;   in Loop: Header=BB2_127 Depth=2
	v_mov_b32_e32 v62, 0
	v_cmp_ne_u32_e64 s[20:21], 0, v10
	s_and_saveexec_b64 s[92:93], s[20:21]
	s_cbranch_execz .LBB2_481
; %bb.474:                              ;   in Loop: Header=BB2_127 Depth=2
	v_bfe_u32 v25, v10, 23, 8
	v_cmp_gt_u32_e64 s[22:23], s65, v25
	v_sub_u32_e32 v3, 0x71, v25
	v_cmp_eq_u32_e64 s[20:21], 0, v25
	v_cndmask_b32_e64 v3, 0, v3, s[22:23]
	v_mov_b32_e32 v11, 0x70
	v_or_b32_e32 v10, 0x800000, v36
	v_cndmask_b32_e64 v3, v3, v11, s[20:21]
	v_cndmask_b32_e64 v36, v10, v36, s[20:21]
	v_add_u32_e32 v10, 21, v3
	v_lshlrev_b64 v[10:11], v10, -1
	v_add_u32_e32 v14, 20, v3
	v_lshlrev_b64 v[14:15], v14, 1
	v_bfi_b32 v11, v11, 0, 0
	v_bfi_b32 v10, v10, 0, v36
	v_cmp_eq_u64_e64 s[22:23], v[10:11], v[14:15]
	v_lshrrev_b64 v[10:11], v3, v[36:37]
	v_mov_b32_e32 v15, v11
	v_mov_b32_e32 v14, v10
	s_and_saveexec_b64 s[94:95], s[22:23]
; %bb.475:                              ;   in Loop: Header=BB2_127 Depth=2
	v_bfe_u32 v11, v10, 21, 1
	v_add_co_u32_e64 v11, s[22:23], v10, v11
	v_add_co_u32_e64 v14, s[22:23], -1, v11
; %bb.476:                              ;   in Loop: Header=BB2_127 Depth=2
	s_or_b64 exec, exec, s[94:95]
	v_add_u32_e32 v11, 0xffffff81, v25
	v_mov_b32_e32 v15, 0xffffff82
	v_cndmask_b32_e64 v11, v11, v15, s[20:21]
	v_lshrrev_b32_e32 v15, 23, v10
	v_add3_u32 v25, v3, v11, v15
	v_add_u32_e32 v15, 14, v25
	v_and_b32_e32 v3, 0x1fffff, v14
	v_add_u32_e32 v36, v3, v10
	v_cmp_ne_u32_e64 s[20:21], 0, v15
                                        ; implicit-def: $vgpr10_vgpr11
                                        ; implicit-def: $vgpr3
	s_and_saveexec_b64 s[22:23], s[20:21]
	s_xor_b64 s[22:23], exec, s[22:23]
; %bb.477:                              ;   in Loop: Header=BB2_127 Depth=2
	v_cmp_lt_u64_e64 s[20:21], s[72:73], v[36:37]
	v_add_u32_e32 v3, 15, v25
	v_cndmask_b32_e64 v10, 0, 1, s[20:21]
	v_cndmask_b32_e64 v3, v15, v3, s[20:21]
	v_lshrrev_b64 v[10:11], v10, v[36:37]
; %bb.478:                              ;   in Loop: Header=BB2_127 Depth=2
	s_andn2_saveexec_b64 s[20:21], s[22:23]
; %bb.479:                              ;   in Loop: Header=BB2_127 Depth=2
	v_mov_b32_e32 v10, v36
	v_bfe_u32 v3, v36, 23, 1
	v_mov_b32_e32 v11, v37
; %bb.480:                              ;   in Loop: Header=BB2_127 Depth=2
	s_or_b64 exec, exec, s[20:21]
	v_lshrrev_b64 v[10:11], 21, v[10:11]
	v_cmp_gt_i32_e64 s[20:21], 32, v3
	v_cndmask_b32_e64 v11, 0, v11, s[20:21]
	v_cndmask_b32_e64 v10, 3, v10, s[20:21]
	v_cmp_eq_u32_e64 s[20:21], 0, v3
	v_min_i32_e32 v3, 31, v3
	v_cmp_eq_u64_e64 s[22:23], 0, v[10:11]
	v_lshlrev_b32_e32 v3, 2, v3
	v_and_b32_e32 v3, 0xfc, v3
	v_and_or_b32 v3, v10, 3, v3
	s_and_b64 s[20:21], s[20:21], s[22:23]
	v_cndmask_b32_e64 v3, v3, 0, s[20:21]
	v_or_b32_e32 v62, v3, v24
.LBB2_481:                              ;   in Loop: Header=BB2_127 Depth=2
	s_or_b64 exec, exec, s[92:93]
                                        ; implicit-def: $vgpr24
.LBB2_482:                              ;   in Loop: Header=BB2_127 Depth=2
	s_andn2_saveexec_b64 s[20:21], s[90:91]
; %bb.483:                              ;   in Loop: Header=BB2_127 Depth=2
	v_or_b32_e32 v62, 0x7b, v24
; %bb.484:                              ;   in Loop: Header=BB2_127 Depth=2
	s_or_b64 exec, exec, s[20:21]
                                        ; implicit-def: $vgpr10
.LBB2_485:                              ;   in Loop: Header=BB2_127 Depth=2
	s_andn2_saveexec_b64 s[22:23], s[24:25]
	s_cbranch_execz .LBB2_491
; %bb.486:                              ;   in Loop: Header=BB2_127 Depth=2
	v_cmp_ne_u64_e64 s[20:21], 0, v[36:37]
                                        ; implicit-def: $vgpr62
	s_and_saveexec_b64 s[24:25], s[20:21]
	s_xor_b64 s[20:21], exec, s[24:25]
; %bb.487:                              ;   in Loop: Header=BB2_127 Depth=2
	v_or_b32_sdwa v62, v10, s55 dst_sel:DWORD dst_unused:UNUSED_PAD src0_sel:BYTE_3 src1_sel:DWORD
                                        ; implicit-def: $vgpr10
; %bb.488:                              ;   in Loop: Header=BB2_127 Depth=2
	s_andn2_saveexec_b64 s[24:25], s[20:21]
; %bb.489:                              ;   in Loop: Header=BB2_127 Depth=2
	v_cmp_lt_i32_e64 s[20:21], -1, v10
	v_bfrev_b32_e32 v3, 0.5
	v_cndmask_b32_e64 v62, v3, v19, s[20:21]
; %bb.490:                              ;   in Loop: Header=BB2_127 Depth=2
	s_or_b64 exec, exec, s[24:25]
.LBB2_491:                              ;   in Loop: Header=BB2_127 Depth=2
	s_or_b64 exec, exec, s[22:23]
	v_cmp_lt_u32_e64 s[20:21], s59, v16
	v_mov_b32_e32 v11, 0
	s_and_saveexec_b64 s[22:23], s[20:21]
	s_cbranch_execz .LBB2_499
; %bb.492:                              ;   in Loop: Header=BB2_127 Depth=2
	v_lshrrev_b32_e32 v10, 24, v16
	v_cmp_ne_u32_e64 s[20:21], s64, v10
	v_bfrev_b32_e32 v11, 1
	s_and_saveexec_b64 s[24:25], s[20:21]
	s_cbranch_execz .LBB2_498
; %bb.493:                              ;   in Loop: Header=BB2_127 Depth=2
	v_and_b32_e32 v11, 0x7c000000, v16
	v_bfe_u32 v3, v16, 24, 2
	v_cmp_ne_u32_e64 s[20:21], s67, v11
                                        ; implicit-def: $vgpr11
	s_and_saveexec_b64 s[90:91], s[20:21]
	s_xor_b64 s[90:91], exec, s[90:91]
	s_cbranch_execz .LBB2_495
; %bb.494:                              ;   in Loop: Header=BB2_127 Depth=2
	v_ffbh_u32_e32 v11, v3
	v_min_u32_e32 v15, 32, v11
	v_subrev_u32_e32 v11, 29, v15
	v_lshlrev_b64 v[10:11], v11, v[10:11]
	v_bfe_u32 v14, v16, 26, 5
	v_sub_u32_e32 v11, 30, v15
	v_and_b32_e32 v10, 3, v10
	v_cmp_eq_u32_e64 s[20:21], 0, v14
	v_cndmask_b32_e64 v11, v14, v11, s[20:21]
	v_cndmask_b32_e64 v3, v3, v10, s[20:21]
	v_and_b32_e32 v10, 0x80000000, v16
	v_lshl_add_u32 v10, v11, 23, v10
	v_lshl_or_b32 v3, v3, 21, v10
	v_add_u32_e32 v11, 0x38000000, v3
                                        ; implicit-def: $vgpr3
.LBB2_495:                              ;   in Loop: Header=BB2_127 Depth=2
	s_andn2_saveexec_b64 s[90:91], s[90:91]
; %bb.496:                              ;   in Loop: Header=BB2_127 Depth=2
	v_cmp_lt_i32_e64 s[20:21], -1, v16
	v_cndmask_b32_e64 v10, v21, v61, s[20:21]
	v_cmp_eq_u32_e64 s[20:21], 0, v3
	v_cndmask_b32_e64 v11, v2, v10, s[20:21]
; %bb.497:                              ;   in Loop: Header=BB2_127 Depth=2
	s_or_b64 exec, exec, s[90:91]
.LBB2_498:                              ;   in Loop: Header=BB2_127 Depth=2
	s_or_b64 exec, exec, s[24:25]
.LBB2_499:                              ;   in Loop: Header=BB2_127 Depth=2
	s_or_b64 exec, exec, s[22:23]
	v_bfe_u32 v10, v12, 24, 2
	v_and_b32_e32 v14, 0x7c000000, v12
	v_cmp_eq_u32_e64 s[20:21], s67, v14
	v_ffbh_u32_e32 v14, v10
	v_min_u32_e32 v25, 32, v14
	v_lshrrev_b32_e32 v3, 24, v12
	v_subrev_u32_e32 v14, 29, v25
	v_bfe_u32 v24, v12, 26, 5
	v_lshlrev_b64 v[14:15], v14, v[3:4]
	v_cmp_eq_u32_e64 s[22:23], 0, v24
	v_sub_u32_e32 v15, 30, v25
	v_and_b32_e32 v14, 3, v14
	v_cndmask_b32_e64 v15, v24, v15, s[22:23]
	v_and_b32_e32 v24, 0x80000000, v12
	v_cndmask_b32_e64 v14, v10, v14, s[22:23]
	v_lshl_add_u32 v15, v15, 23, v24
	v_cmp_lt_i32_e64 s[24:25], -1, v12
	v_lshl_or_b32 v14, v14, 21, v15
	v_cmp_eq_u32_e64 s[22:23], 0, v10
	v_cndmask_b32_e64 v10, v21, v61, s[24:25]
	v_add_u32_e32 v14, 0x38000000, v14
	v_cndmask_b32_e64 v10, v2, v10, s[22:23]
	v_cndmask_b32_e64 v10, v14, v10, s[20:21]
	v_cmp_ne_u32_e64 s[20:21], s64, v3
	v_cndmask_b32_e64 v3, v0, v10, s[20:21]
	v_cmp_lt_u32_e64 s[20:21], s59, v12
	v_cndmask_b32_e64 v3, 0, v3, s[20:21]
	v_mul_f32_e32 v10, v3, v11
	v_and_b32_e32 v14, 0x7f800000, v10
	v_mov_b32_e32 v15, v37
	v_cmp_ne_u64_e64 s[20:21], s[60:61], v[14:15]
	v_and_b32_e32 v36, 0x7fffff, v10
                                        ; implicit-def: $vgpr24
	s_and_saveexec_b64 s[22:23], s[20:21]
	s_xor_b64 s[24:25], exec, s[22:23]
	s_cbranch_execz .LBB2_513
; %bb.500:                              ;   in Loop: Header=BB2_127 Depth=2
	v_and_b32_e32 v14, 0x7fffffff, v10
	v_mov_b32_e32 v15, v37
	v_cmp_gt_u64_e64 s[20:21], s[62:63], v[14:15]
	v_and_b32_sdwa v25, v10, s64 dst_sel:DWORD dst_unused:UNUSED_PAD src0_sel:BYTE_3 src1_sel:DWORD
                                        ; implicit-def: $vgpr24
	s_and_saveexec_b64 s[22:23], s[20:21]
	s_xor_b64 s[90:91], exec, s[22:23]
	s_cbranch_execz .LBB2_510
; %bb.501:                              ;   in Loop: Header=BB2_127 Depth=2
	v_mov_b32_e32 v24, 0
	v_cmp_ne_u32_e64 s[20:21], 0, v10
	s_and_saveexec_b64 s[92:93], s[20:21]
	s_cbranch_execz .LBB2_509
; %bb.502:                              ;   in Loop: Header=BB2_127 Depth=2
	v_bfe_u32 v24, v10, 23, 8
	v_cmp_gt_u32_e64 s[22:23], s65, v24
	v_sub_u32_e32 v3, 0x71, v24
	v_cmp_eq_u32_e64 s[20:21], 0, v24
	v_cndmask_b32_e64 v3, 0, v3, s[22:23]
	v_mov_b32_e32 v11, 0x70
	v_or_b32_e32 v10, 0x800000, v36
	v_cndmask_b32_e64 v3, v3, v11, s[20:21]
	v_cndmask_b32_e64 v36, v10, v36, s[20:21]
	v_add_u32_e32 v10, 21, v3
	v_lshlrev_b64 v[10:11], v10, -1
	v_add_u32_e32 v14, 20, v3
	v_lshlrev_b64 v[14:15], v14, 1
	v_bfi_b32 v11, v11, 0, 0
	v_bfi_b32 v10, v10, 0, v36
	v_cmp_eq_u64_e64 s[22:23], v[10:11], v[14:15]
	v_lshrrev_b64 v[10:11], v3, v[36:37]
	v_mov_b32_e32 v15, v11
	v_mov_b32_e32 v14, v10
	s_and_saveexec_b64 s[94:95], s[22:23]
; %bb.503:                              ;   in Loop: Header=BB2_127 Depth=2
	v_bfe_u32 v11, v10, 21, 1
	v_add_co_u32_e64 v11, s[22:23], v10, v11
	v_add_co_u32_e64 v14, s[22:23], -1, v11
; %bb.504:                              ;   in Loop: Header=BB2_127 Depth=2
	s_or_b64 exec, exec, s[94:95]
	v_add_u32_e32 v11, 0xffffff81, v24
	v_mov_b32_e32 v15, 0xffffff82
	v_cndmask_b32_e64 v11, v11, v15, s[20:21]
	v_lshrrev_b32_e32 v15, 23, v10
	v_add3_u32 v24, v3, v11, v15
	v_add_u32_e32 v15, 14, v24
	v_and_b32_e32 v3, 0x1fffff, v14
	v_add_u32_e32 v36, v3, v10
	v_cmp_ne_u32_e64 s[20:21], 0, v15
                                        ; implicit-def: $vgpr10_vgpr11
                                        ; implicit-def: $vgpr3
	s_and_saveexec_b64 s[22:23], s[20:21]
	s_xor_b64 s[22:23], exec, s[22:23]
; %bb.505:                              ;   in Loop: Header=BB2_127 Depth=2
	v_cmp_lt_u64_e64 s[20:21], s[72:73], v[36:37]
	v_add_u32_e32 v3, 15, v24
	v_cndmask_b32_e64 v10, 0, 1, s[20:21]
	v_cndmask_b32_e64 v3, v15, v3, s[20:21]
	v_lshrrev_b64 v[10:11], v10, v[36:37]
; %bb.506:                              ;   in Loop: Header=BB2_127 Depth=2
	s_andn2_saveexec_b64 s[20:21], s[22:23]
; %bb.507:                              ;   in Loop: Header=BB2_127 Depth=2
	v_mov_b32_e32 v10, v36
	v_bfe_u32 v3, v36, 23, 1
	v_mov_b32_e32 v11, v37
; %bb.508:                              ;   in Loop: Header=BB2_127 Depth=2
	s_or_b64 exec, exec, s[20:21]
	v_lshrrev_b64 v[10:11], 21, v[10:11]
	v_cmp_gt_i32_e64 s[20:21], 32, v3
	v_cndmask_b32_e64 v11, 0, v11, s[20:21]
	v_cndmask_b32_e64 v10, 3, v10, s[20:21]
	v_cmp_eq_u32_e64 s[20:21], 0, v3
	v_min_i32_e32 v3, 31, v3
	v_cmp_eq_u64_e64 s[22:23], 0, v[10:11]
	v_lshlrev_b32_e32 v3, 2, v3
	v_and_b32_e32 v3, 0xfc, v3
	v_and_or_b32 v3, v10, 3, v3
	s_and_b64 s[20:21], s[20:21], s[22:23]
	v_cndmask_b32_e64 v3, v3, 0, s[20:21]
	v_or_b32_e32 v24, v3, v25
.LBB2_509:                              ;   in Loop: Header=BB2_127 Depth=2
	s_or_b64 exec, exec, s[92:93]
                                        ; implicit-def: $vgpr25
.LBB2_510:                              ;   in Loop: Header=BB2_127 Depth=2
	s_andn2_saveexec_b64 s[20:21], s[90:91]
; %bb.511:                              ;   in Loop: Header=BB2_127 Depth=2
	v_or_b32_e32 v24, 0x7b, v25
; %bb.512:                              ;   in Loop: Header=BB2_127 Depth=2
	s_or_b64 exec, exec, s[20:21]
                                        ; implicit-def: $vgpr10
.LBB2_513:                              ;   in Loop: Header=BB2_127 Depth=2
	s_andn2_saveexec_b64 s[22:23], s[24:25]
	s_cbranch_execz .LBB2_519
; %bb.514:                              ;   in Loop: Header=BB2_127 Depth=2
	v_cmp_ne_u64_e64 s[20:21], 0, v[36:37]
                                        ; implicit-def: $vgpr24
	s_and_saveexec_b64 s[24:25], s[20:21]
	s_xor_b64 s[20:21], exec, s[24:25]
; %bb.515:                              ;   in Loop: Header=BB2_127 Depth=2
	v_or_b32_sdwa v24, v10, s55 dst_sel:DWORD dst_unused:UNUSED_PAD src0_sel:BYTE_3 src1_sel:DWORD
                                        ; implicit-def: $vgpr10
; %bb.516:                              ;   in Loop: Header=BB2_127 Depth=2
	s_andn2_saveexec_b64 s[24:25], s[20:21]
; %bb.517:                              ;   in Loop: Header=BB2_127 Depth=2
	v_cmp_lt_i32_e64 s[20:21], -1, v10
	v_bfrev_b32_e32 v3, 0.5
	v_cndmask_b32_e64 v24, v3, v19, s[20:21]
; %bb.518:                              ;   in Loop: Header=BB2_127 Depth=2
	s_or_b64 exec, exec, s[24:25]
.LBB2_519:                              ;   in Loop: Header=BB2_127 Depth=2
	s_or_b64 exec, exec, s[22:23]
	v_mov_b32_e32 v36, v17
	v_cmp_ne_u16_sdwa s[20:21], v17, v37 src0_sel:BYTE_0 src1_sel:DWORD
	v_mov_b32_e32 v14, 0
	s_and_saveexec_b64 s[22:23], s[20:21]
	s_cbranch_execz .LBB2_527
; %bb.520:                              ;   in Loop: Header=BB2_127 Depth=2
	v_cmp_ne_u16_sdwa s[20:21], v17, s64 src0_sel:BYTE_0 src1_sel:DWORD
	v_bfrev_b32_e32 v14, 1
	s_and_saveexec_b64 s[24:25], s[20:21]
	s_cbranch_execz .LBB2_526
; %bb.521:                              ;   in Loop: Header=BB2_127 Depth=2
	v_and_b32_e32 v10, 0x7c, v17
	v_and_b32_e32 v3, 3, v17
	v_cmp_ne_u32_e64 s[20:21], s53, v10
                                        ; implicit-def: $vgpr14
	s_and_saveexec_b64 s[90:91], s[20:21]
	s_xor_b64 s[90:91], exec, s[90:91]
	s_cbranch_execz .LBB2_523
; %bb.522:                              ;   in Loop: Header=BB2_127 Depth=2
	v_ffbh_u32_e32 v10, v3
	v_min_u32_e32 v15, 32, v10
	v_subrev_u32_e32 v10, 29, v15
	v_lshlrev_b64 v[10:11], v10, v[36:37]
	v_bfe_u32 v14, v17, 2, 5
	v_and_b32_e32 v10, 3, v10
	v_cmp_eq_u32_e64 s[20:21], 0, v14
	v_sub_u32_e32 v11, 30, v15
	v_cndmask_b32_e64 v3, v3, v10, s[20:21]
	v_lshlrev_b32_e32 v10, 24, v17
	v_cndmask_b32_e64 v11, v14, v11, s[20:21]
	v_and_b32_e32 v10, 0x80000000, v10
	v_lshl_add_u32 v10, v11, 23, v10
	v_lshl_or_b32 v3, v3, 21, v10
	v_add_u32_e32 v14, 0x38000000, v3
                                        ; implicit-def: $vgpr3
.LBB2_523:                              ;   in Loop: Header=BB2_127 Depth=2
	s_andn2_saveexec_b64 s[90:91], s[90:91]
; %bb.524:                              ;   in Loop: Header=BB2_127 Depth=2
	v_cmp_gt_i16_sdwa s[20:21], sext(v17), v20 src0_sel:BYTE_0 src1_sel:DWORD
	v_cndmask_b32_e64 v10, v21, v61, s[20:21]
	v_cmp_eq_u32_e64 s[20:21], 0, v3
	v_cndmask_b32_e64 v14, v2, v10, s[20:21]
; %bb.525:                              ;   in Loop: Header=BB2_127 Depth=2
	s_or_b64 exec, exec, s[90:91]
.LBB2_526:                              ;   in Loop: Header=BB2_127 Depth=2
	s_or_b64 exec, exec, s[24:25]
.LBB2_527:                              ;   in Loop: Header=BB2_127 Depth=2
	s_or_b64 exec, exec, s[22:23]
	v_cmp_gt_i16_sdwa s[22:23], v13, s55 src0_sel:BYTE_0 src1_sel:DWORD
	s_mov_b64 s[20:21], 0
	s_and_saveexec_b64 s[24:25], s[22:23]
	s_xor_b64 s[22:23], exec, s[24:25]
	s_cbranch_execz .LBB2_531
; %bb.528:                              ;   in Loop: Header=BB2_127 Depth=2
	v_cmp_eq_u16_sdwa s[90:91], v13, s64 src0_sel:BYTE_0 src1_sel:DWORD
	s_mov_b64 s[20:21], -1
	s_and_saveexec_b64 s[24:25], s[90:91]
; %bb.529:                              ;   in Loop: Header=BB2_127 Depth=2
	s_xor_b64 s[20:21], exec, -1
; %bb.530:                              ;   in Loop: Header=BB2_127 Depth=2
	s_or_b64 exec, exec, s[24:25]
	s_and_b64 s[20:21], s[20:21], exec
.LBB2_531:                              ;   in Loop: Header=BB2_127 Depth=2
	s_or_saveexec_b64 s[22:23], s[22:23]
	v_bfrev_b32_e32 v3, 1
	s_xor_b64 exec, exec, s[22:23]
; %bb.532:                              ;   in Loop: Header=BB2_127 Depth=2
	v_cmp_ne_u16_sdwa s[24:25], v13, v37 src0_sel:BYTE_0 src1_sel:DWORD
	s_andn2_b64 s[20:21], s[20:21], exec
	s_and_b64 s[24:25], s[24:25], exec
	v_mov_b32_e32 v3, 0
	s_or_b64 s[20:21], s[20:21], s[24:25]
; %bb.533:                              ;   in Loop: Header=BB2_127 Depth=2
	s_or_b64 exec, exec, s[22:23]
	v_mov_b32_e32 v10, v13
	v_mov_b32_e32 v11, v37
	s_and_saveexec_b64 s[90:91], s[20:21]
	s_cbranch_execz .LBB2_535
; %bb.534:                              ;   in Loop: Header=BB2_127 Depth=2
	v_and_b32_e32 v3, 3, v13
	v_and_b32_e32 v25, 0x7c, v13
	v_cmp_eq_u32_e64 s[20:21], s53, v25
	v_ffbh_u32_e32 v25, v3
	v_min_u32_e32 v25, 32, v25
	v_subrev_u32_e32 v34, 29, v25
	v_lshlrev_b64 v[34:35], v34, v[10:11]
	v_bfe_u32 v15, v13, 2, 5
	v_cmp_eq_u32_e64 s[22:23], 0, v15
	v_sub_u32_e32 v11, 30, v25
	v_and_b32_e32 v25, 3, v34
	v_cndmask_b32_e64 v11, v15, v11, s[22:23]
	v_cndmask_b32_e64 v15, v3, v25, s[22:23]
	v_lshlrev_b32_e32 v25, 24, v13
	v_and_b32_e32 v25, 0x80000000, v25
	v_lshl_add_u32 v11, v11, 23, v25
	v_cmp_gt_i16_sdwa s[24:25], sext(v13), v20 src0_sel:BYTE_0 src1_sel:DWORD
	v_lshl_or_b32 v11, v15, 21, v11
	v_cmp_eq_u32_e64 s[22:23], 0, v3
	v_cndmask_b32_e64 v3, v21, v61, s[24:25]
	v_add_u32_e32 v11, 0x38000000, v11
	v_cndmask_b32_e64 v3, v2, v3, s[22:23]
	v_cndmask_b32_e64 v3, v11, v3, s[20:21]
.LBB2_535:                              ;   in Loop: Header=BB2_127 Depth=2
	s_or_b64 exec, exec, s[90:91]
	v_mul_f32_e32 v44, v14, v3
	v_and_b32_e32 v34, 0x7f800000, v44
	v_mov_b32_e32 v35, v37
	v_cmp_ne_u64_e64 s[20:21], s[60:61], v[34:35]
	v_and_b32_e32 v14, 0x7fffff, v44
	v_mov_b32_e32 v15, v37
                                        ; implicit-def: $vgpr25
	s_and_saveexec_b64 s[22:23], s[20:21]
	s_xor_b64 s[24:25], exec, s[22:23]
	s_cbranch_execz .LBB2_549
; %bb.536:                              ;   in Loop: Header=BB2_127 Depth=2
	v_and_b32_e32 v34, 0x7fffffff, v44
	v_mov_b32_e32 v35, v37
	v_cmp_gt_u64_e64 s[20:21], s[62:63], v[34:35]
	v_and_b32_sdwa v11, v44, s64 dst_sel:DWORD dst_unused:UNUSED_PAD src0_sel:BYTE_3 src1_sel:DWORD
                                        ; implicit-def: $vgpr25
	s_and_saveexec_b64 s[22:23], s[20:21]
	s_xor_b64 s[90:91], exec, s[22:23]
	s_cbranch_execz .LBB2_546
; %bb.537:                              ;   in Loop: Header=BB2_127 Depth=2
	v_mov_b32_e32 v25, 0
	v_cmp_ne_u32_e64 s[20:21], 0, v44
	s_and_saveexec_b64 s[92:93], s[20:21]
	s_cbranch_execz .LBB2_545
; %bb.538:                              ;   in Loop: Header=BB2_127 Depth=2
	v_bfe_u32 v25, v44, 23, 8
	v_cmp_gt_u32_e64 s[22:23], s65, v25
	v_sub_u32_e32 v3, 0x71, v25
	v_cmp_eq_u32_e64 s[20:21], 0, v25
	v_cndmask_b32_e64 v3, 0, v3, s[22:23]
	v_mov_b32_e32 v35, 0x70
	v_or_b32_e32 v34, 0x800000, v14
	v_cndmask_b32_e64 v3, v3, v35, s[20:21]
	v_cndmask_b32_e64 v14, v34, v14, s[20:21]
	v_add_u32_e32 v34, 21, v3
	v_lshlrev_b64 v[34:35], v34, -1
	v_add_u32_e32 v44, 20, v3
	v_bfi_b32 v34, v34, 0, v14
	v_lshlrev_b64 v[44:45], v44, 1
	v_lshrrev_b64 v[14:15], v3, v[14:15]
	v_bfi_b32 v35, v35, 0, 0
	v_cmp_eq_u64_e64 s[22:23], v[34:35], v[44:45]
	v_mov_b32_e32 v45, v15
	v_mov_b32_e32 v44, v14
	s_and_saveexec_b64 s[94:95], s[22:23]
; %bb.539:                              ;   in Loop: Header=BB2_127 Depth=2
	v_bfe_u32 v15, v14, 21, 1
	v_add_co_u32_e64 v15, s[22:23], v14, v15
	v_add_co_u32_e64 v44, s[22:23], -1, v15
; %bb.540:                              ;   in Loop: Header=BB2_127 Depth=2
	s_or_b64 exec, exec, s[94:95]
	v_add_u32_e32 v15, 0xffffff81, v25
	v_mov_b32_e32 v25, 0xffffff82
	v_cndmask_b32_e64 v15, v15, v25, s[20:21]
	v_lshrrev_b32_e32 v25, 23, v14
	v_add3_u32 v34, v3, v15, v25
	v_add_u32_e32 v25, 14, v34
	v_and_b32_e32 v3, 0x1fffff, v44
	v_add_u32_e32 v14, v3, v14
	v_mov_b32_e32 v15, v37
	v_cmp_ne_u32_e64 s[20:21], 0, v25
                                        ; implicit-def: $vgpr3
	s_and_saveexec_b64 s[22:23], s[20:21]
	s_xor_b64 s[22:23], exec, s[22:23]
; %bb.541:                              ;   in Loop: Header=BB2_127 Depth=2
	v_cmp_lt_u64_e64 s[20:21], s[72:73], v[14:15]
	v_add_u32_e32 v3, 15, v34
	v_cndmask_b32_e64 v3, v25, v3, s[20:21]
	v_cndmask_b32_e64 v25, 0, 1, s[20:21]
	v_lshrrev_b64 v[14:15], v25, v[14:15]
; %bb.542:                              ;   in Loop: Header=BB2_127 Depth=2
	s_andn2_saveexec_b64 s[20:21], s[22:23]
; %bb.543:                              ;   in Loop: Header=BB2_127 Depth=2
	v_bfe_u32 v3, v14, 23, 1
; %bb.544:                              ;   in Loop: Header=BB2_127 Depth=2
	s_or_b64 exec, exec, s[20:21]
	v_lshrrev_b64 v[14:15], 21, v[14:15]
	v_cmp_gt_i32_e64 s[20:21], 32, v3
	v_cndmask_b32_e64 v15, 0, v15, s[20:21]
	v_cndmask_b32_e64 v14, 3, v14, s[20:21]
	v_cmp_eq_u32_e64 s[20:21], 0, v3
	v_min_i32_e32 v3, 31, v3
	v_cmp_eq_u64_e64 s[22:23], 0, v[14:15]
	v_lshlrev_b32_e32 v3, 2, v3
	v_and_b32_e32 v3, 0xfc, v3
	v_and_or_b32 v3, v14, 3, v3
	s_and_b64 s[20:21], s[20:21], s[22:23]
	v_cndmask_b32_e64 v3, v3, 0, s[20:21]
	v_or_b32_e32 v25, v3, v11
.LBB2_545:                              ;   in Loop: Header=BB2_127 Depth=2
	s_or_b64 exec, exec, s[92:93]
                                        ; implicit-def: $vgpr11
.LBB2_546:                              ;   in Loop: Header=BB2_127 Depth=2
	s_andn2_saveexec_b64 s[20:21], s[90:91]
; %bb.547:                              ;   in Loop: Header=BB2_127 Depth=2
	v_or_b32_e32 v25, 0x7b, v11
; %bb.548:                              ;   in Loop: Header=BB2_127 Depth=2
	s_or_b64 exec, exec, s[20:21]
                                        ; implicit-def: $vgpr44
                                        ; implicit-def: $vgpr14_vgpr15
.LBB2_549:                              ;   in Loop: Header=BB2_127 Depth=2
	s_andn2_saveexec_b64 s[22:23], s[24:25]
	s_cbranch_execz .LBB2_555
; %bb.550:                              ;   in Loop: Header=BB2_127 Depth=2
	v_cmp_ne_u64_e64 s[20:21], 0, v[14:15]
                                        ; implicit-def: $vgpr25
	s_and_saveexec_b64 s[24:25], s[20:21]
	s_xor_b64 s[20:21], exec, s[24:25]
; %bb.551:                              ;   in Loop: Header=BB2_127 Depth=2
	v_or_b32_sdwa v25, v44, s55 dst_sel:DWORD dst_unused:UNUSED_PAD src0_sel:BYTE_3 src1_sel:DWORD
                                        ; implicit-def: $vgpr44
; %bb.552:                              ;   in Loop: Header=BB2_127 Depth=2
	s_andn2_saveexec_b64 s[24:25], s[20:21]
; %bb.553:                              ;   in Loop: Header=BB2_127 Depth=2
	v_cmp_lt_i32_e64 s[20:21], -1, v44
	v_bfrev_b32_e32 v3, 0.5
	v_cndmask_b32_e64 v25, v3, v19, s[20:21]
; %bb.554:                              ;   in Loop: Header=BB2_127 Depth=2
	s_or_b64 exec, exec, s[24:25]
.LBB2_555:                              ;   in Loop: Header=BB2_127 Depth=2
	s_or_b64 exec, exec, s[22:23]
	v_lshrrev_b16_e32 v14, 8, v36
	v_cmp_ne_u16_e64 s[20:21], 0, v14
	v_mov_b32_e32 v11, 0
	s_and_saveexec_b64 s[22:23], s[20:21]
	s_cbranch_execz .LBB2_563
; %bb.556:                              ;   in Loop: Header=BB2_127 Depth=2
	v_cmp_ne_u16_e64 s[20:21], s64, v14
	v_bfrev_b32_e32 v11, 1
	s_and_saveexec_b64 s[24:25], s[20:21]
	s_cbranch_execz .LBB2_562
; %bb.557:                              ;   in Loop: Header=BB2_127 Depth=2
	v_and_b32_e32 v11, 0x7c, v14
	v_and_b32_e32 v3, 3, v14
	v_cmp_ne_u32_e64 s[20:21], s53, v11
                                        ; implicit-def: $vgpr11
	s_and_saveexec_b64 s[90:91], s[20:21]
	s_xor_b64 s[90:91], exec, s[90:91]
	s_cbranch_execz .LBB2_559
; %bb.558:                              ;   in Loop: Header=BB2_127 Depth=2
	v_ffbh_u32_e32 v34, v3
	v_min_u32_e32 v34, 32, v34
	v_mov_b32_e32 v15, v37
	v_subrev_u32_e32 v35, 29, v34
	v_bfe_u32 v11, v14, 2, 5
	v_lshlrev_b64 v[14:15], v35, v[14:15]
	v_cmp_eq_u32_e64 s[20:21], 0, v11
	v_and_b32_e32 v14, 3, v14
	v_sub_u32_e32 v15, 30, v34
	v_cndmask_b32_e64 v3, v3, v14, s[20:21]
	v_lshlrev_b32_e32 v14, 16, v36
	v_cndmask_b32_e64 v11, v11, v15, s[20:21]
	v_and_b32_e32 v14, 0x80000000, v14
	v_lshl_add_u32 v11, v11, 23, v14
	v_lshl_or_b32 v3, v3, 21, v11
	v_add_u32_e32 v11, 0x38000000, v3
                                        ; implicit-def: $vgpr3
.LBB2_559:                              ;   in Loop: Header=BB2_127 Depth=2
	s_andn2_saveexec_b64 s[90:91], s[90:91]
; %bb.560:                              ;   in Loop: Header=BB2_127 Depth=2
	v_cmp_lt_i16_e64 s[20:21], -1, v36
	v_cndmask_b32_e64 v11, v21, v61, s[20:21]
	v_cmp_eq_u32_e64 s[20:21], 0, v3
	v_cndmask_b32_e64 v11, v2, v11, s[20:21]
; %bb.561:                              ;   in Loop: Header=BB2_127 Depth=2
	s_or_b64 exec, exec, s[90:91]
.LBB2_562:                              ;   in Loop: Header=BB2_127 Depth=2
	s_or_b64 exec, exec, s[24:25]
.LBB2_563:                              ;   in Loop: Header=BB2_127 Depth=2
	s_or_b64 exec, exec, s[22:23]
	v_lshrrev_b16_e32 v36, 8, v10
	v_cmp_lt_i16_e64 s[20:21], s55, v36
	s_mov_b64 s[22:23], 0
	s_and_saveexec_b64 s[24:25], s[20:21]
	s_xor_b64 s[24:25], exec, s[24:25]
	s_cbranch_execz .LBB2_666
; %bb.564:                              ;   in Loop: Header=BB2_127 Depth=2
	v_cmp_eq_u16_e64 s[20:21], s64, v36
	s_mov_b64 s[22:23], -1
	s_and_saveexec_b64 s[90:91], s[20:21]
; %bb.565:                              ;   in Loop: Header=BB2_127 Depth=2
	s_xor_b64 s[22:23], exec, -1
; %bb.566:                              ;   in Loop: Header=BB2_127 Depth=2
	s_or_b64 exec, exec, s[90:91]
	s_and_b64 s[22:23], s[22:23], exec
	s_or_saveexec_b64 s[24:25], s[24:25]
	v_bfrev_b32_e32 v3, 1
	s_xor_b64 exec, exec, s[24:25]
	s_cbranch_execnz .LBB2_667
.LBB2_567:                              ;   in Loop: Header=BB2_127 Depth=2
	s_or_b64 exec, exec, s[24:25]
	s_and_saveexec_b64 s[90:91], s[22:23]
	s_cbranch_execz .LBB2_569
.LBB2_568:                              ;   in Loop: Header=BB2_127 Depth=2
	v_and_b32_e32 v3, 3, v36
	v_and_b32_e32 v14, 0x7c, v36
	v_cmp_eq_u32_e64 s[20:21], s53, v14
	v_ffbh_u32_e32 v14, v3
	v_min_u32_e32 v35, 32, v14
	v_subrev_u32_e32 v14, 29, v35
	v_bfe_u32 v34, v36, 2, 5
	v_lshlrev_b64 v[14:15], v14, v[36:37]
	v_cmp_eq_u32_e64 s[22:23], 0, v34
	v_sub_u32_e32 v15, 30, v35
	v_cndmask_b32_e64 v15, v34, v15, s[22:23]
	v_lshlrev_b32_e32 v34, 24, v36
	v_and_b32_e32 v14, 3, v14
	v_and_b32_e32 v34, 0x80000000, v34
	v_cndmask_b32_e64 v14, v3, v14, s[22:23]
	v_lshl_add_u32 v15, v15, 23, v34
	v_cmp_lt_i16_e64 s[24:25], -1, v10
	v_lshl_or_b32 v14, v14, 21, v15
	v_cmp_eq_u32_e64 s[22:23], 0, v3
	v_cndmask_b32_e64 v3, v21, v61, s[24:25]
	v_add_u32_e32 v14, 0x38000000, v14
	v_cndmask_b32_e64 v3, v2, v3, s[22:23]
	v_cndmask_b32_e64 v3, v14, v3, s[20:21]
.LBB2_569:                              ;   in Loop: Header=BB2_127 Depth=2
	s_or_b64 exec, exec, s[90:91]
	v_mul_f32_e32 v10, v11, v3
	v_and_b32_e32 v14, 0x7f800000, v10
	v_mov_b32_e32 v15, v37
	v_cmp_ne_u64_e64 s[20:21], s[60:61], v[14:15]
	v_and_b32_e32 v36, 0x7fffff, v10
                                        ; implicit-def: $vgpr44
	s_and_saveexec_b64 s[22:23], s[20:21]
	s_xor_b64 s[24:25], exec, s[22:23]
	s_cbranch_execz .LBB2_583
; %bb.570:                              ;   in Loop: Header=BB2_127 Depth=2
	v_and_b32_e32 v14, 0x7fffffff, v10
	v_mov_b32_e32 v15, v37
	v_cmp_gt_u64_e64 s[20:21], s[62:63], v[14:15]
	v_and_b32_sdwa v45, v10, s64 dst_sel:DWORD dst_unused:UNUSED_PAD src0_sel:BYTE_3 src1_sel:DWORD
                                        ; implicit-def: $vgpr44
	s_and_saveexec_b64 s[22:23], s[20:21]
	s_xor_b64 s[90:91], exec, s[22:23]
	s_cbranch_execz .LBB2_580
; %bb.571:                              ;   in Loop: Header=BB2_127 Depth=2
	v_mov_b32_e32 v44, 0
	v_cmp_ne_u32_e64 s[20:21], 0, v10
	s_and_saveexec_b64 s[92:93], s[20:21]
	s_cbranch_execz .LBB2_579
; %bb.572:                              ;   in Loop: Header=BB2_127 Depth=2
	v_bfe_u32 v44, v10, 23, 8
	v_cmp_gt_u32_e64 s[22:23], s65, v44
	v_sub_u32_e32 v3, 0x71, v44
	v_cmp_eq_u32_e64 s[20:21], 0, v44
	v_cndmask_b32_e64 v3, 0, v3, s[22:23]
	v_mov_b32_e32 v11, 0x70
	v_or_b32_e32 v10, 0x800000, v36
	v_cndmask_b32_e64 v3, v3, v11, s[20:21]
	v_cndmask_b32_e64 v36, v10, v36, s[20:21]
	v_add_u32_e32 v10, 21, v3
	v_lshlrev_b64 v[10:11], v10, -1
	v_add_u32_e32 v14, 20, v3
	v_lshlrev_b64 v[14:15], v14, 1
	v_bfi_b32 v11, v11, 0, 0
	v_bfi_b32 v10, v10, 0, v36
	v_cmp_eq_u64_e64 s[22:23], v[10:11], v[14:15]
	v_lshrrev_b64 v[10:11], v3, v[36:37]
	v_mov_b32_e32 v15, v11
	v_mov_b32_e32 v14, v10
	s_and_saveexec_b64 s[94:95], s[22:23]
; %bb.573:                              ;   in Loop: Header=BB2_127 Depth=2
	v_bfe_u32 v11, v10, 21, 1
	v_add_co_u32_e64 v11, s[22:23], v10, v11
	v_add_co_u32_e64 v14, s[22:23], -1, v11
; %bb.574:                              ;   in Loop: Header=BB2_127 Depth=2
	s_or_b64 exec, exec, s[94:95]
	v_add_u32_e32 v11, 0xffffff81, v44
	v_mov_b32_e32 v15, 0xffffff82
	v_cndmask_b32_e64 v11, v11, v15, s[20:21]
	v_lshrrev_b32_e32 v15, 23, v10
	v_add3_u32 v34, v3, v11, v15
	v_add_u32_e32 v15, 14, v34
	v_and_b32_e32 v3, 0x1fffff, v14
	v_add_u32_e32 v36, v3, v10
	v_cmp_ne_u32_e64 s[20:21], 0, v15
                                        ; implicit-def: $vgpr10_vgpr11
                                        ; implicit-def: $vgpr3
	s_and_saveexec_b64 s[22:23], s[20:21]
	s_xor_b64 s[22:23], exec, s[22:23]
; %bb.575:                              ;   in Loop: Header=BB2_127 Depth=2
	v_cmp_lt_u64_e64 s[20:21], s[72:73], v[36:37]
	v_add_u32_e32 v3, 15, v34
	v_cndmask_b32_e64 v10, 0, 1, s[20:21]
	v_cndmask_b32_e64 v3, v15, v3, s[20:21]
	v_lshrrev_b64 v[10:11], v10, v[36:37]
; %bb.576:                              ;   in Loop: Header=BB2_127 Depth=2
	s_andn2_saveexec_b64 s[20:21], s[22:23]
; %bb.577:                              ;   in Loop: Header=BB2_127 Depth=2
	v_mov_b32_e32 v10, v36
	v_bfe_u32 v3, v36, 23, 1
	v_mov_b32_e32 v11, v37
; %bb.578:                              ;   in Loop: Header=BB2_127 Depth=2
	s_or_b64 exec, exec, s[20:21]
	v_lshrrev_b64 v[10:11], 21, v[10:11]
	v_cmp_gt_i32_e64 s[20:21], 32, v3
	v_cndmask_b32_e64 v11, 0, v11, s[20:21]
	v_cndmask_b32_e64 v10, 3, v10, s[20:21]
	v_cmp_eq_u32_e64 s[20:21], 0, v3
	v_min_i32_e32 v3, 31, v3
	v_cmp_eq_u64_e64 s[22:23], 0, v[10:11]
	v_lshlrev_b32_e32 v3, 2, v3
	v_and_b32_e32 v3, 0xfc, v3
	v_and_or_b32 v3, v10, 3, v3
	s_and_b64 s[20:21], s[20:21], s[22:23]
	v_cndmask_b32_e64 v3, v3, 0, s[20:21]
	v_or_b32_e32 v44, v3, v45
.LBB2_579:                              ;   in Loop: Header=BB2_127 Depth=2
	s_or_b64 exec, exec, s[92:93]
                                        ; implicit-def: $vgpr45
.LBB2_580:                              ;   in Loop: Header=BB2_127 Depth=2
	s_andn2_saveexec_b64 s[20:21], s[90:91]
; %bb.581:                              ;   in Loop: Header=BB2_127 Depth=2
	v_or_b32_e32 v44, 0x7b, v45
; %bb.582:                              ;   in Loop: Header=BB2_127 Depth=2
	s_or_b64 exec, exec, s[20:21]
                                        ; implicit-def: $vgpr10
.LBB2_583:                              ;   in Loop: Header=BB2_127 Depth=2
	s_andn2_saveexec_b64 s[22:23], s[24:25]
	s_cbranch_execz .LBB2_589
; %bb.584:                              ;   in Loop: Header=BB2_127 Depth=2
	v_cmp_ne_u64_e64 s[20:21], 0, v[36:37]
                                        ; implicit-def: $vgpr44
	s_and_saveexec_b64 s[24:25], s[20:21]
	s_xor_b64 s[20:21], exec, s[24:25]
; %bb.585:                              ;   in Loop: Header=BB2_127 Depth=2
	v_or_b32_sdwa v44, v10, s55 dst_sel:DWORD dst_unused:UNUSED_PAD src0_sel:BYTE_3 src1_sel:DWORD
                                        ; implicit-def: $vgpr10
; %bb.586:                              ;   in Loop: Header=BB2_127 Depth=2
	s_andn2_saveexec_b64 s[24:25], s[20:21]
; %bb.587:                              ;   in Loop: Header=BB2_127 Depth=2
	v_cmp_lt_i32_e64 s[20:21], -1, v10
	v_bfrev_b32_e32 v3, 0.5
	v_cndmask_b32_e64 v44, v3, v19, s[20:21]
; %bb.588:                              ;   in Loop: Header=BB2_127 Depth=2
	s_or_b64 exec, exec, s[24:25]
.LBB2_589:                              ;   in Loop: Header=BB2_127 Depth=2
	s_or_b64 exec, exec, s[22:23]
	v_lshrrev_b32_e32 v10, 16, v17
	v_cmp_ne_u16_sdwa s[20:21], v10, v37 src0_sel:BYTE_0 src1_sel:DWORD
	v_mov_b32_e32 v11, 0
	s_and_saveexec_b64 s[22:23], s[20:21]
	s_cbranch_execz .LBB2_597
; %bb.590:                              ;   in Loop: Header=BB2_127 Depth=2
	v_cmp_ne_u16_sdwa s[20:21], v10, s64 src0_sel:BYTE_0 src1_sel:DWORD
	v_bfrev_b32_e32 v11, 1
	s_and_saveexec_b64 s[24:25], s[20:21]
	s_cbranch_execz .LBB2_596
; %bb.591:                              ;   in Loop: Header=BB2_127 Depth=2
	v_and_b32_e32 v11, 0x7c0000, v17
	v_bfe_u32 v3, v17, 16, 2
	v_cmp_ne_u32_e64 s[20:21], s66, v11
                                        ; implicit-def: $vgpr11
	s_and_saveexec_b64 s[90:91], s[20:21]
	s_xor_b64 s[90:91], exec, s[90:91]
	s_cbranch_execz .LBB2_593
; %bb.592:                              ;   in Loop: Header=BB2_127 Depth=2
	v_ffbh_u32_e32 v11, v3
	v_min_u32_e32 v15, 32, v11
	v_subrev_u32_e32 v11, 29, v15
	v_lshlrev_b64 v[10:11], v11, v[10:11]
	v_bfe_u32 v14, v17, 18, 5
	v_and_b32_e32 v10, 3, v10
	v_cmp_eq_u32_e64 s[20:21], 0, v14
	v_sub_u32_e32 v11, 30, v15
	v_cndmask_b32_e64 v3, v3, v10, s[20:21]
	v_lshlrev_b32_e32 v10, 8, v17
	v_cndmask_b32_e64 v11, v14, v11, s[20:21]
	v_and_b32_e32 v10, 0x80000000, v10
	v_lshl_add_u32 v10, v11, 23, v10
	v_lshl_or_b32 v3, v3, 21, v10
	v_add_u32_e32 v11, 0x38000000, v3
                                        ; implicit-def: $vgpr3
                                        ; implicit-def: $vgpr10
.LBB2_593:                              ;   in Loop: Header=BB2_127 Depth=2
	s_andn2_saveexec_b64 s[90:91], s[90:91]
; %bb.594:                              ;   in Loop: Header=BB2_127 Depth=2
	v_cmp_gt_i16_sdwa s[20:21], sext(v10), v20 src0_sel:BYTE_0 src1_sel:DWORD
	v_cndmask_b32_e64 v10, v21, v61, s[20:21]
	v_cmp_eq_u32_e64 s[20:21], 0, v3
	v_cndmask_b32_e64 v11, v2, v10, s[20:21]
; %bb.595:                              ;   in Loop: Header=BB2_127 Depth=2
	s_or_b64 exec, exec, s[90:91]
.LBB2_596:                              ;   in Loop: Header=BB2_127 Depth=2
	s_or_b64 exec, exec, s[24:25]
.LBB2_597:                              ;   in Loop: Header=BB2_127 Depth=2
	s_or_b64 exec, exec, s[22:23]
	v_lshrrev_b32_e32 v10, 16, v13
	v_cmp_gt_i16_sdwa s[22:23], v10, s55 src0_sel:BYTE_0 src1_sel:DWORD
	s_mov_b64 s[20:21], 0
	s_and_saveexec_b64 s[24:25], s[22:23]
	s_xor_b64 s[22:23], exec, s[24:25]
	s_cbranch_execz .LBB2_668
; %bb.598:                              ;   in Loop: Header=BB2_127 Depth=2
	v_cmp_eq_u16_sdwa s[90:91], v10, s64 src0_sel:BYTE_0 src1_sel:DWORD
	s_mov_b64 s[20:21], -1
	s_and_saveexec_b64 s[24:25], s[90:91]
; %bb.599:                              ;   in Loop: Header=BB2_127 Depth=2
	s_xor_b64 s[20:21], exec, -1
; %bb.600:                              ;   in Loop: Header=BB2_127 Depth=2
	s_or_b64 exec, exec, s[24:25]
	s_and_b64 s[20:21], s[20:21], exec
	s_or_saveexec_b64 s[22:23], s[22:23]
	v_bfrev_b32_e32 v3, 1
	s_xor_b64 exec, exec, s[22:23]
	s_cbranch_execnz .LBB2_669
.LBB2_601:                              ;   in Loop: Header=BB2_127 Depth=2
	s_or_b64 exec, exec, s[22:23]
	s_and_saveexec_b64 s[90:91], s[20:21]
	s_cbranch_execz .LBB2_603
.LBB2_602:                              ;   in Loop: Header=BB2_127 Depth=2
	v_and_b32_e32 v3, 3, v10
	v_and_b32_e32 v14, 0x7c0000, v13
	v_cmp_eq_u32_e64 s[20:21], s66, v14
	v_ffbh_u32_e32 v14, v3
	v_min_u32_e32 v35, 32, v14
	v_subrev_u32_e32 v14, 29, v35
	v_bfe_u32 v34, v13, 18, 5
	v_lshlrev_b64 v[14:15], v14, v[10:11]
	v_cmp_eq_u32_e64 s[22:23], 0, v34
	v_sub_u32_e32 v15, 30, v35
	v_cndmask_b32_e64 v15, v34, v15, s[22:23]
	v_lshlrev_b32_e32 v34, 24, v10
	v_and_b32_e32 v14, 3, v14
	v_and_b32_e32 v34, 0x80000000, v34
	v_cndmask_b32_e64 v14, v3, v14, s[22:23]
	v_lshl_add_u32 v15, v15, 23, v34
	v_cmp_gt_i16_sdwa s[24:25], sext(v10), v20 src0_sel:BYTE_0 src1_sel:DWORD
	v_lshl_or_b32 v14, v14, 21, v15
	v_cmp_eq_u32_e64 s[22:23], 0, v3
	v_cndmask_b32_e64 v3, v21, v61, s[24:25]
	v_add_u32_e32 v14, 0x38000000, v14
	v_cndmask_b32_e64 v3, v2, v3, s[22:23]
	v_cndmask_b32_e64 v3, v14, v3, s[20:21]
.LBB2_603:                              ;   in Loop: Header=BB2_127 Depth=2
	s_or_b64 exec, exec, s[90:91]
	v_mul_f32_e32 v10, v11, v3
	v_and_b32_e32 v14, 0x7f800000, v10
	v_mov_b32_e32 v15, v37
	v_cmp_ne_u64_e64 s[20:21], s[60:61], v[14:15]
	v_and_b32_e32 v36, 0x7fffff, v10
                                        ; implicit-def: $vgpr14
	s_and_saveexec_b64 s[22:23], s[20:21]
	s_xor_b64 s[24:25], exec, s[22:23]
	s_cbranch_execz .LBB2_617
; %bb.604:                              ;   in Loop: Header=BB2_127 Depth=2
	v_and_b32_e32 v14, 0x7fffffff, v10
	v_mov_b32_e32 v15, v37
	v_cmp_gt_u64_e64 s[20:21], s[62:63], v[14:15]
	v_and_b32_sdwa v45, v10, s64 dst_sel:DWORD dst_unused:UNUSED_PAD src0_sel:BYTE_3 src1_sel:DWORD
                                        ; implicit-def: $vgpr14
	s_and_saveexec_b64 s[22:23], s[20:21]
	s_xor_b64 s[90:91], exec, s[22:23]
	s_cbranch_execz .LBB2_614
; %bb.605:                              ;   in Loop: Header=BB2_127 Depth=2
	v_mov_b32_e32 v14, 0
	v_cmp_ne_u32_e64 s[20:21], 0, v10
	s_and_saveexec_b64 s[92:93], s[20:21]
	s_cbranch_execz .LBB2_613
; %bb.606:                              ;   in Loop: Header=BB2_127 Depth=2
	v_bfe_u32 v3, v10, 23, 8
	v_cmp_gt_u32_e64 s[22:23], s65, v3
	v_sub_u32_e32 v10, 0x71, v3
	v_cmp_eq_u32_e64 s[20:21], 0, v3
	v_cndmask_b32_e64 v10, 0, v10, s[22:23]
	v_mov_b32_e32 v14, 0x70
	v_cndmask_b32_e64 v34, v10, v14, s[20:21]
	v_or_b32_e32 v11, 0x800000, v36
	v_add_u32_e32 v10, 21, v34
	v_cndmask_b32_e64 v36, v11, v36, s[20:21]
	v_lshlrev_b64 v[10:11], v10, -1
	v_add_u32_e32 v14, 20, v34
	v_lshlrev_b64 v[14:15], v14, 1
	v_bfi_b32 v11, v11, 0, 0
	v_bfi_b32 v10, v10, 0, v36
	v_cmp_eq_u64_e64 s[22:23], v[10:11], v[14:15]
	v_lshrrev_b64 v[10:11], v34, v[36:37]
	v_mov_b32_e32 v15, v11
	v_mov_b32_e32 v14, v10
	s_and_saveexec_b64 s[94:95], s[22:23]
; %bb.607:                              ;   in Loop: Header=BB2_127 Depth=2
	v_bfe_u32 v11, v10, 21, 1
	v_add_co_u32_e64 v11, s[22:23], v10, v11
	v_add_co_u32_e64 v14, s[22:23], -1, v11
; %bb.608:                              ;   in Loop: Header=BB2_127 Depth=2
	s_or_b64 exec, exec, s[94:95]
	v_add_u32_e32 v3, 0xffffff81, v3
	v_mov_b32_e32 v11, 0xffffff82
	v_cndmask_b32_e64 v3, v3, v11, s[20:21]
	v_lshrrev_b32_e32 v11, 23, v10
	v_add3_u32 v34, v34, v3, v11
	v_add_u32_e32 v15, 14, v34
	v_and_b32_e32 v3, 0x1fffff, v14
	v_add_u32_e32 v36, v3, v10
	v_cmp_ne_u32_e64 s[20:21], 0, v15
                                        ; implicit-def: $vgpr10_vgpr11
                                        ; implicit-def: $vgpr3
	s_and_saveexec_b64 s[22:23], s[20:21]
	s_xor_b64 s[22:23], exec, s[22:23]
; %bb.609:                              ;   in Loop: Header=BB2_127 Depth=2
	v_cmp_lt_u64_e64 s[20:21], s[72:73], v[36:37]
	v_add_u32_e32 v3, 15, v34
	v_cndmask_b32_e64 v10, 0, 1, s[20:21]
	v_cndmask_b32_e64 v3, v15, v3, s[20:21]
	v_lshrrev_b64 v[10:11], v10, v[36:37]
; %bb.610:                              ;   in Loop: Header=BB2_127 Depth=2
	s_andn2_saveexec_b64 s[20:21], s[22:23]
; %bb.611:                              ;   in Loop: Header=BB2_127 Depth=2
	v_mov_b32_e32 v10, v36
	v_bfe_u32 v3, v36, 23, 1
	v_mov_b32_e32 v11, v37
; %bb.612:                              ;   in Loop: Header=BB2_127 Depth=2
	s_or_b64 exec, exec, s[20:21]
	v_lshrrev_b64 v[10:11], 21, v[10:11]
	v_cmp_gt_i32_e64 s[20:21], 32, v3
	v_cndmask_b32_e64 v11, 0, v11, s[20:21]
	v_cndmask_b32_e64 v10, 3, v10, s[20:21]
	v_cmp_eq_u32_e64 s[20:21], 0, v3
	v_min_i32_e32 v3, 31, v3
	v_cmp_eq_u64_e64 s[22:23], 0, v[10:11]
	v_lshlrev_b32_e32 v3, 2, v3
	v_and_b32_e32 v3, 0xfc, v3
	v_and_or_b32 v3, v10, 3, v3
	s_and_b64 s[20:21], s[20:21], s[22:23]
	v_cndmask_b32_e64 v3, v3, 0, s[20:21]
	v_or_b32_e32 v14, v3, v45
.LBB2_613:                              ;   in Loop: Header=BB2_127 Depth=2
	s_or_b64 exec, exec, s[92:93]
                                        ; implicit-def: $vgpr45
.LBB2_614:                              ;   in Loop: Header=BB2_127 Depth=2
	s_andn2_saveexec_b64 s[20:21], s[90:91]
; %bb.615:                              ;   in Loop: Header=BB2_127 Depth=2
	v_or_b32_e32 v14, 0x7b, v45
; %bb.616:                              ;   in Loop: Header=BB2_127 Depth=2
	s_or_b64 exec, exec, s[20:21]
                                        ; implicit-def: $vgpr10
.LBB2_617:                              ;   in Loop: Header=BB2_127 Depth=2
	s_andn2_saveexec_b64 s[22:23], s[24:25]
	s_cbranch_execz .LBB2_623
; %bb.618:                              ;   in Loop: Header=BB2_127 Depth=2
	v_cmp_ne_u64_e64 s[20:21], 0, v[36:37]
                                        ; implicit-def: $vgpr14
	s_and_saveexec_b64 s[24:25], s[20:21]
	s_xor_b64 s[20:21], exec, s[24:25]
; %bb.619:                              ;   in Loop: Header=BB2_127 Depth=2
	v_or_b32_sdwa v14, v10, s55 dst_sel:DWORD dst_unused:UNUSED_PAD src0_sel:BYTE_3 src1_sel:DWORD
                                        ; implicit-def: $vgpr10
; %bb.620:                              ;   in Loop: Header=BB2_127 Depth=2
	s_andn2_saveexec_b64 s[24:25], s[20:21]
; %bb.621:                              ;   in Loop: Header=BB2_127 Depth=2
	v_cmp_lt_i32_e64 s[20:21], -1, v10
	v_bfrev_b32_e32 v3, 0.5
	v_cndmask_b32_e64 v14, v3, v19, s[20:21]
; %bb.622:                              ;   in Loop: Header=BB2_127 Depth=2
	s_or_b64 exec, exec, s[24:25]
.LBB2_623:                              ;   in Loop: Header=BB2_127 Depth=2
	s_or_b64 exec, exec, s[22:23]
	v_cmp_lt_u64_e64 s[20:21], s[58:59], v[16:17]
	v_mov_b32_e32 v11, 0
	s_and_saveexec_b64 s[22:23], s[20:21]
	s_cbranch_execz .LBB2_631
; %bb.624:                              ;   in Loop: Header=BB2_127 Depth=2
	v_lshrrev_b32_e32 v10, 24, v17
	v_cmp_ne_u32_e64 s[20:21], s64, v10
	v_bfrev_b32_e32 v11, 1
	s_and_saveexec_b64 s[24:25], s[20:21]
	s_cbranch_execz .LBB2_630
; %bb.625:                              ;   in Loop: Header=BB2_127 Depth=2
	v_and_b32_e32 v11, 0x7c000000, v17
	v_bfe_u32 v3, v17, 24, 2
	v_cmp_ne_u32_e64 s[20:21], s67, v11
                                        ; implicit-def: $vgpr11
	s_and_saveexec_b64 s[90:91], s[20:21]
	s_xor_b64 s[90:91], exec, s[90:91]
	s_cbranch_execz .LBB2_627
; %bb.626:                              ;   in Loop: Header=BB2_127 Depth=2
	v_ffbh_u32_e32 v11, v3
	v_min_u32_e32 v16, 32, v11
	v_subrev_u32_e32 v11, 29, v16
	v_lshlrev_b64 v[10:11], v11, v[10:11]
	v_bfe_u32 v15, v17, 26, 5
	v_sub_u32_e32 v11, 30, v16
	v_and_b32_e32 v10, 3, v10
	v_cmp_eq_u32_e64 s[20:21], 0, v15
	v_cndmask_b32_e64 v11, v15, v11, s[20:21]
	v_cndmask_b32_e64 v3, v3, v10, s[20:21]
	v_and_b32_e32 v10, 0x80000000, v17
	v_lshl_add_u32 v10, v11, 23, v10
	v_lshl_or_b32 v3, v3, 21, v10
	v_add_u32_e32 v11, 0x38000000, v3
                                        ; implicit-def: $vgpr3
                                        ; implicit-def: $vgpr16_vgpr17
.LBB2_627:                              ;   in Loop: Header=BB2_127 Depth=2
	s_andn2_saveexec_b64 s[90:91], s[90:91]
; %bb.628:                              ;   in Loop: Header=BB2_127 Depth=2
	v_cmp_lt_i64_e64 s[20:21], -1, v[16:17]
	v_cndmask_b32_e64 v10, v21, v61, s[20:21]
	v_cmp_eq_u32_e64 s[20:21], 0, v3
	v_cndmask_b32_e64 v11, v2, v10, s[20:21]
; %bb.629:                              ;   in Loop: Header=BB2_127 Depth=2
	s_or_b64 exec, exec, s[90:91]
.LBB2_630:                              ;   in Loop: Header=BB2_127 Depth=2
	s_or_b64 exec, exec, s[24:25]
.LBB2_631:                              ;   in Loop: Header=BB2_127 Depth=2
	s_or_b64 exec, exec, s[22:23]
	v_bfe_u32 v10, v13, 24, 2
	v_and_b32_e32 v15, 0x7c000000, v13
	v_cmp_eq_u32_e64 s[20:21], s67, v15
	v_ffbh_u32_e32 v15, v10
	v_min_u32_e32 v34, 32, v15
	v_lshrrev_b32_e32 v3, 24, v13
	v_subrev_u32_e32 v15, 29, v34
	v_bfe_u32 v17, v13, 26, 5
	v_lshlrev_b64 v[15:16], v15, v[3:4]
	v_cmp_eq_u32_e64 s[22:23], 0, v17
	v_sub_u32_e32 v16, 30, v34
	v_and_b32_e32 v15, 3, v15
	v_cndmask_b32_e64 v16, v17, v16, s[22:23]
	v_and_b32_e32 v17, 0x80000000, v13
	v_cmp_lt_i64_e64 s[24:25], -1, v[12:13]
	v_cndmask_b32_e64 v15, v10, v15, s[22:23]
	v_lshl_add_u32 v16, v16, 23, v17
	v_lshl_or_b32 v15, v15, 21, v16
	v_cmp_eq_u32_e64 s[22:23], 0, v10
	v_cndmask_b32_e64 v10, v21, v61, s[24:25]
	v_add_u32_e32 v15, 0x38000000, v15
	v_cndmask_b32_e64 v10, v2, v10, s[22:23]
	v_cndmask_b32_e64 v10, v15, v10, s[20:21]
	v_cmp_ne_u32_e64 s[20:21], s64, v3
	v_cndmask_b32_e64 v3, v0, v10, s[20:21]
	v_cmp_lt_u64_e64 s[20:21], s[58:59], v[12:13]
	v_mov_b32_e32 v13, v37
	v_cndmask_b32_e64 v3, 0, v3, s[20:21]
	v_mul_f32_e32 v11, v3, v11
	v_and_b32_e32 v12, 0x7f800000, v11
	v_cmp_ne_u64_e64 s[20:21], s[60:61], v[12:13]
	v_and_b32_e32 v36, 0x7fffff, v11
                                        ; implicit-def: $vgpr10
	s_and_saveexec_b64 s[22:23], s[20:21]
	s_xor_b64 s[24:25], exec, s[22:23]
	s_cbranch_execz .LBB2_645
; %bb.632:                              ;   in Loop: Header=BB2_127 Depth=2
	v_and_b32_e32 v12, 0x7fffffff, v11
	v_mov_b32_e32 v13, v37
	v_cmp_gt_u64_e64 s[20:21], s[62:63], v[12:13]
	v_and_b32_sdwa v13, v11, s64 dst_sel:DWORD dst_unused:UNUSED_PAD src0_sel:BYTE_3 src1_sel:DWORD
                                        ; implicit-def: $vgpr10
	s_and_saveexec_b64 s[22:23], s[20:21]
	s_xor_b64 s[90:91], exec, s[22:23]
	s_cbranch_execz .LBB2_642
; %bb.633:                              ;   in Loop: Header=BB2_127 Depth=2
	v_mov_b32_e32 v10, 0
	v_cmp_ne_u32_e64 s[20:21], 0, v11
	s_and_saveexec_b64 s[92:93], s[20:21]
	s_cbranch_execz .LBB2_641
; %bb.634:                              ;   in Loop: Header=BB2_127 Depth=2
	v_bfe_u32 v3, v11, 23, 8
	v_cmp_gt_u32_e64 s[22:23], s65, v3
	v_sub_u32_e32 v10, 0x71, v3
	v_cmp_eq_u32_e64 s[20:21], 0, v3
	v_cndmask_b32_e64 v10, 0, v10, s[22:23]
	v_mov_b32_e32 v12, 0x70
	v_cndmask_b32_e64 v15, v10, v12, s[20:21]
	v_or_b32_e32 v11, 0x800000, v36
	v_add_u32_e32 v10, 21, v15
	v_cndmask_b32_e64 v36, v11, v36, s[20:21]
	v_lshlrev_b64 v[10:11], v10, -1
	v_add_u32_e32 v12, 20, v15
	v_lshlrev_b64 v[16:17], v12, 1
	v_bfi_b32 v11, v11, 0, 0
	v_bfi_b32 v10, v10, 0, v36
	v_cmp_eq_u64_e64 s[22:23], v[10:11], v[16:17]
	v_lshrrev_b64 v[10:11], v15, v[36:37]
	v_mov_b32_e32 v12, v11
	v_mov_b32_e32 v11, v10
	s_and_saveexec_b64 s[94:95], s[22:23]
; %bb.635:                              ;   in Loop: Header=BB2_127 Depth=2
	v_bfe_u32 v11, v10, 21, 1
	v_add_co_u32_e64 v11, s[22:23], v10, v11
	v_add_co_u32_e64 v11, s[22:23], -1, v11
; %bb.636:                              ;   in Loop: Header=BB2_127 Depth=2
	s_or_b64 exec, exec, s[94:95]
	v_add_u32_e32 v3, 0xffffff81, v3
	v_mov_b32_e32 v12, 0xffffff82
	v_cndmask_b32_e64 v3, v3, v12, s[20:21]
	v_lshrrev_b32_e32 v12, 23, v10
	v_add3_u32 v15, v15, v3, v12
	v_add_u32_e32 v12, 14, v15
	v_and_b32_e32 v3, 0x1fffff, v11
	v_add_u32_e32 v36, v3, v10
	v_cmp_ne_u32_e64 s[20:21], 0, v12
                                        ; implicit-def: $vgpr10_vgpr11
                                        ; implicit-def: $vgpr3
	s_and_saveexec_b64 s[22:23], s[20:21]
	s_xor_b64 s[22:23], exec, s[22:23]
; %bb.637:                              ;   in Loop: Header=BB2_127 Depth=2
	v_cmp_lt_u64_e64 s[20:21], s[72:73], v[36:37]
	v_add_u32_e32 v3, 15, v15
	v_cndmask_b32_e64 v10, 0, 1, s[20:21]
	v_cndmask_b32_e64 v3, v12, v3, s[20:21]
	v_lshrrev_b64 v[10:11], v10, v[36:37]
; %bb.638:                              ;   in Loop: Header=BB2_127 Depth=2
	s_andn2_saveexec_b64 s[20:21], s[22:23]
; %bb.639:                              ;   in Loop: Header=BB2_127 Depth=2
	v_mov_b32_e32 v10, v36
	v_bfe_u32 v3, v36, 23, 1
	v_mov_b32_e32 v11, v37
; %bb.640:                              ;   in Loop: Header=BB2_127 Depth=2
	s_or_b64 exec, exec, s[20:21]
	v_lshrrev_b64 v[10:11], 21, v[10:11]
	v_cmp_gt_i32_e64 s[20:21], 32, v3
	v_cndmask_b32_e64 v11, 0, v11, s[20:21]
	v_cndmask_b32_e64 v10, 3, v10, s[20:21]
	v_cmp_eq_u32_e64 s[20:21], 0, v3
	v_min_i32_e32 v3, 31, v3
	v_cmp_eq_u64_e64 s[22:23], 0, v[10:11]
	v_lshlrev_b32_e32 v3, 2, v3
	v_and_b32_e32 v3, 0xfc, v3
	v_and_or_b32 v3, v10, 3, v3
	s_and_b64 s[20:21], s[20:21], s[22:23]
	v_cndmask_b32_e64 v3, v3, 0, s[20:21]
	v_or_b32_e32 v10, v3, v13
.LBB2_641:                              ;   in Loop: Header=BB2_127 Depth=2
	s_or_b64 exec, exec, s[92:93]
                                        ; implicit-def: $vgpr13
.LBB2_642:                              ;   in Loop: Header=BB2_127 Depth=2
	s_andn2_saveexec_b64 s[20:21], s[90:91]
; %bb.643:                              ;   in Loop: Header=BB2_127 Depth=2
	v_or_b32_e32 v10, 0x7b, v13
; %bb.644:                              ;   in Loop: Header=BB2_127 Depth=2
	s_or_b64 exec, exec, s[20:21]
                                        ; implicit-def: $vgpr11
.LBB2_645:                              ;   in Loop: Header=BB2_127 Depth=2
	s_andn2_saveexec_b64 s[22:23], s[24:25]
	s_cbranch_execz .LBB2_126
; %bb.646:                              ;   in Loop: Header=BB2_127 Depth=2
	v_cmp_ne_u64_e64 s[20:21], 0, v[36:37]
                                        ; implicit-def: $vgpr10
	s_and_saveexec_b64 s[24:25], s[20:21]
	s_xor_b64 s[20:21], exec, s[24:25]
; %bb.647:                              ;   in Loop: Header=BB2_127 Depth=2
	v_or_b32_sdwa v10, v11, s55 dst_sel:DWORD dst_unused:UNUSED_PAD src0_sel:BYTE_3 src1_sel:DWORD
                                        ; implicit-def: $vgpr11
; %bb.648:                              ;   in Loop: Header=BB2_127 Depth=2
	s_andn2_saveexec_b64 s[24:25], s[20:21]
	s_cbranch_execz .LBB2_125
; %bb.649:                              ;   in Loop: Header=BB2_127 Depth=2
	v_cmp_lt_i32_e64 s[20:21], -1, v11
	v_bfrev_b32_e32 v3, 0.5
	v_cndmask_b32_e64 v10, v3, v19, s[20:21]
	s_branch .LBB2_125
.LBB2_650:                              ;   in Loop: Header=BB2_127 Depth=2
	s_or_saveexec_b64 s[22:23], s[22:23]
	v_bfrev_b32_e32 v3, 1
	s_xor_b64 exec, exec, s[22:23]
	s_cbranch_execz .LBB2_139
.LBB2_651:                              ;   in Loop: Header=BB2_127 Depth=2
	v_cmp_ne_u16_sdwa s[24:25], v10, v37 src0_sel:BYTE_0 src1_sel:DWORD
	s_andn2_b64 s[20:21], s[20:21], exec
	s_and_b64 s[24:25], s[24:25], exec
	v_mov_b32_e32 v3, 0
	s_or_b64 s[20:21], s[20:21], s[24:25]
	s_or_b64 exec, exec, s[22:23]
	s_and_saveexec_b64 s[90:91], s[20:21]
	s_cbranch_execnz .LBB2_140
	s_branch .LBB2_141
.LBB2_652:                              ;   in Loop: Header=BB2_127 Depth=2
	s_or_saveexec_b64 s[24:25], s[24:25]
	v_bfrev_b32_e32 v3, 1
	s_xor_b64 exec, exec, s[24:25]
	s_cbranch_execz .LBB2_173
.LBB2_653:                              ;   in Loop: Header=BB2_127 Depth=2
	v_cmp_ne_u16_e64 s[20:21], 0, v36
	s_andn2_b64 s[22:23], s[22:23], exec
	s_and_b64 s[20:21], s[20:21], exec
	v_mov_b32_e32 v3, 0
	s_or_b64 s[22:23], s[22:23], s[20:21]
	s_or_b64 exec, exec, s[24:25]
	s_and_saveexec_b64 s[90:91], s[22:23]
	s_cbranch_execnz .LBB2_174
	s_branch .LBB2_175
.LBB2_654:                              ;   in Loop: Header=BB2_127 Depth=2
	s_or_saveexec_b64 s[22:23], s[22:23]
	v_bfrev_b32_e32 v3, 1
	s_xor_b64 exec, exec, s[22:23]
	s_cbranch_execz .LBB2_207
.LBB2_655:                              ;   in Loop: Header=BB2_127 Depth=2
	v_cmp_ne_u16_sdwa s[24:25], v30, v37 src0_sel:BYTE_0 src1_sel:DWORD
	s_andn2_b64 s[20:21], s[20:21], exec
	s_and_b64 s[24:25], s[24:25], exec
	v_mov_b32_e32 v3, 0
	s_or_b64 s[20:21], s[20:21], s[24:25]
	s_or_b64 exec, exec, s[22:23]
	s_and_saveexec_b64 s[90:91], s[20:21]
	s_cbranch_execnz .LBB2_208
	s_branch .LBB2_209
.LBB2_656:                              ;   in Loop: Header=BB2_127 Depth=2
	s_or_saveexec_b64 s[24:25], s[24:25]
	v_bfrev_b32_e32 v3, 1
	s_xor_b64 exec, exec, s[24:25]
	s_cbranch_execz .LBB2_305
.LBB2_657:                              ;   in Loop: Header=BB2_127 Depth=2
	v_cmp_ne_u16_e64 s[20:21], 0, v36
	s_andn2_b64 s[22:23], s[22:23], exec
	s_and_b64 s[20:21], s[20:21], exec
	v_mov_b32_e32 v3, 0
	s_or_b64 s[22:23], s[22:23], s[20:21]
	s_or_b64 exec, exec, s[24:25]
	s_and_saveexec_b64 s[90:91], s[22:23]
	s_cbranch_execnz .LBB2_306
	s_branch .LBB2_307
.LBB2_658:                              ;   in Loop: Header=BB2_127 Depth=2
	s_or_saveexec_b64 s[22:23], s[22:23]
	v_bfrev_b32_e32 v3, 1
	s_xor_b64 exec, exec, s[22:23]
	s_cbranch_execz .LBB2_339
.LBB2_659:                              ;   in Loop: Header=BB2_127 Depth=2
	v_cmp_ne_u16_sdwa s[24:25], v30, v37 src0_sel:BYTE_0 src1_sel:DWORD
	s_andn2_b64 s[20:21], s[20:21], exec
	s_and_b64 s[24:25], s[24:25], exec
	v_mov_b32_e32 v3, 0
	s_or_b64 s[20:21], s[20:21], s[24:25]
	s_or_b64 exec, exec, s[22:23]
	s_and_saveexec_b64 s[90:91], s[20:21]
	s_cbranch_execnz .LBB2_340
	s_branch .LBB2_341
.LBB2_660:                              ;   in Loop: Header=BB2_127 Depth=2
	s_or_saveexec_b64 s[22:23], s[22:23]
	v_bfrev_b32_e32 v3, 1
	s_xor_b64 exec, exec, s[22:23]
	s_cbranch_execz .LBB2_401
.LBB2_661:                              ;   in Loop: Header=BB2_127 Depth=2
	v_cmp_ne_u16_sdwa s[24:25], v12, v37 src0_sel:BYTE_0 src1_sel:DWORD
	s_andn2_b64 s[20:21], s[20:21], exec
	s_and_b64 s[24:25], s[24:25], exec
	v_mov_b32_e32 v3, 0
	s_or_b64 s[20:21], s[20:21], s[24:25]
	s_or_b64 exec, exec, s[22:23]
	s_and_saveexec_b64 s[90:91], s[20:21]
	s_cbranch_execnz .LBB2_402
	s_branch .LBB2_403
.LBB2_662:                              ;   in Loop: Header=BB2_127 Depth=2
	s_or_saveexec_b64 s[24:25], s[24:25]
	v_bfrev_b32_e32 v3, 1
	s_xor_b64 exec, exec, s[24:25]
	s_cbranch_execz .LBB2_435
.LBB2_663:                              ;   in Loop: Header=BB2_127 Depth=2
	v_cmp_ne_u16_e64 s[20:21], 0, v36
	s_andn2_b64 s[22:23], s[22:23], exec
	s_and_b64 s[20:21], s[20:21], exec
	v_mov_b32_e32 v3, 0
	s_or_b64 s[22:23], s[22:23], s[20:21]
	s_or_b64 exec, exec, s[24:25]
	s_and_saveexec_b64 s[90:91], s[22:23]
	s_cbranch_execnz .LBB2_436
	s_branch .LBB2_437
.LBB2_664:                              ;   in Loop: Header=BB2_127 Depth=2
	s_or_saveexec_b64 s[22:23], s[22:23]
	v_bfrev_b32_e32 v3, 1
	s_xor_b64 exec, exec, s[22:23]
	s_cbranch_execz .LBB2_469
.LBB2_665:                              ;   in Loop: Header=BB2_127 Depth=2
	v_cmp_ne_u16_sdwa s[24:25], v10, v37 src0_sel:BYTE_0 src1_sel:DWORD
	s_andn2_b64 s[20:21], s[20:21], exec
	s_and_b64 s[24:25], s[24:25], exec
	v_mov_b32_e32 v3, 0
	s_or_b64 s[20:21], s[20:21], s[24:25]
	s_or_b64 exec, exec, s[22:23]
	s_and_saveexec_b64 s[90:91], s[20:21]
	s_cbranch_execnz .LBB2_470
	s_branch .LBB2_471
.LBB2_666:                              ;   in Loop: Header=BB2_127 Depth=2
	s_or_saveexec_b64 s[24:25], s[24:25]
	v_bfrev_b32_e32 v3, 1
	s_xor_b64 exec, exec, s[24:25]
	s_cbranch_execz .LBB2_567
.LBB2_667:                              ;   in Loop: Header=BB2_127 Depth=2
	v_cmp_ne_u16_e64 s[20:21], 0, v36
	s_andn2_b64 s[22:23], s[22:23], exec
	s_and_b64 s[20:21], s[20:21], exec
	v_mov_b32_e32 v3, 0
	s_or_b64 s[22:23], s[22:23], s[20:21]
	s_or_b64 exec, exec, s[24:25]
	s_and_saveexec_b64 s[90:91], s[22:23]
	s_cbranch_execnz .LBB2_568
	s_branch .LBB2_569
.LBB2_668:                              ;   in Loop: Header=BB2_127 Depth=2
	s_or_saveexec_b64 s[22:23], s[22:23]
	v_bfrev_b32_e32 v3, 1
	s_xor_b64 exec, exec, s[22:23]
	s_cbranch_execz .LBB2_601
.LBB2_669:                              ;   in Loop: Header=BB2_127 Depth=2
	v_cmp_ne_u16_sdwa s[24:25], v10, v37 src0_sel:BYTE_0 src1_sel:DWORD
	s_andn2_b64 s[20:21], s[20:21], exec
	s_and_b64 s[24:25], s[24:25], exec
	v_mov_b32_e32 v3, 0
	s_or_b64 s[20:21], s[20:21], s[24:25]
	s_or_b64 exec, exec, s[22:23]
	s_and_saveexec_b64 s[90:91], s[20:21]
	s_cbranch_execnz .LBB2_602
	s_branch .LBB2_603
.LBB2_670:                              ;   in Loop: Header=BB2_49 Depth=1
	s_or_b64 exec, exec, s[88:89]
	buffer_load_dword v54, off, s[0:3], s33 offset:76 ; 4-byte Folded Reload
	buffer_load_dword v55, off, s[0:3], s33 offset:80 ; 4-byte Folded Reload
	;; [unrolled: 1-line block ×9, first 2 shown]
.LBB2_671:                              ;   in Loop: Header=BB2_49 Depth=1
	s_or_b64 exec, exec, s[78:79]
	buffer_load_dword v1, off, s[0:3], s33 offset:88 ; 4-byte Folded Reload
	v_mov_b32_e32 v13, 0
	s_mov_b64 s[78:79], 0
	s_waitcnt vmcnt(0)
	v_and_b32_e32 v1, 15, v1
	v_cndmask_b32_e32 v10, v31, v1, vcc
	v_cmp_ne_u32_e64 s[20:21], 0, v10
                                        ; implicit-def: $vgpr1
	s_mov_b64 s[24:25], exec
	buffer_load_dword v16, off, s[0:3], s33 offset:92 ; 4-byte Folded Reload
	buffer_load_dword v17, off, s[0:3], s33 offset:96 ; 4-byte Folded Reload
	s_and_b64 s[20:21], s[24:25], s[20:21]
	s_mov_b64 exec, s[20:21]
	s_cbranch_execz .LBB2_1221
; %bb.672:                              ;   in Loop: Header=BB2_49 Depth=1
	buffer_load_dword v3, off, s[0:3], s33 offset:88 ; 4-byte Folded Reload
	v_mov_b32_e32 v31, v10
	s_waitcnt vmcnt(0)
	v_and_b32_e32 v1, 0x3f0, v3
	v_cndmask_b32_e32 v1, 0, v1, vcc
	v_and_or_b32 v13, v3, s68, v1
	buffer_load_dword v3, off, s[0:3], s33 offset:172 ; 4-byte Folded Reload
	v_cmp_lt_i32_e32 vcc, 0, v56
	v_cndmask_b32_e32 v1, 0, v18, vcc
	v_sub_u32_e32 v1, v1, v56
	s_waitcnt vmcnt(0)
	v_lshl_add_u32 v1, v1, 6, v3
	v_ashrrev_i32_e32 v3, 31, v1
	v_lshrrev_b32_e32 v3, 26, v3
	v_add_u32_e32 v3, v1, v3
	v_ashrrev_i32_e32 v10, 6, v3
	v_and_b32_e32 v3, 0xffffffc0, v3
	v_sub_u32_e32 v3, v1, v3
	v_lshlrev_b32_e32 v1, 4, v3
	v_sub_u32_e32 v56, 0, v10
	v_lshl_add_u32 v1, v10, 10, v1
	v_mov_b32_e32 v10, v31
	v_sub_u32_e32 v58, v10, v1
	v_cmp_lt_i32_e32 vcc, 15, v58
	s_and_saveexec_b64 s[78:79], vcc
	s_cbranch_execz .LBB2_1220
; %bb.673:                              ;   in Loop: Header=BB2_49 Depth=1
	buffer_store_dword v3, off, s[0:3], s33 offset:180 ; 4-byte Folded Spill
	buffer_store_dword v13, off, s[0:3], s33 offset:132 ; 4-byte Folded Spill
	v_add_u32_e32 v1, v1, v13
	v_mov_b32_e32 v13, v12
	v_mov_b32_e32 v12, v11
	s_trap 2
	ds_read_b64 v[10:11], v0
	v_add_co_u32_e32 v54, vcc, v1, v12
	buffer_store_dword v12, off, s[0:3], s33 offset:160 ; 4-byte Folded Spill
	s_nop 0
	buffer_store_dword v13, off, s[0:3], s33 offset:164 ; 4-byte Folded Spill
	v_ashrrev_i32_e32 v3, 31, v1
	s_mov_b64 s[88:89], 0
	v_addc_co_u32_e32 v55, vcc, v3, v13, vcc
	s_waitcnt lgkmcnt(0)
	v_add_co_u32_e32 v40, vcc, v10, v1
	v_addc_co_u32_e32 v41, vcc, v11, v3, vcc
	buffer_load_dword v10, off, s[0:3], s33 offset:92 ; 4-byte Folded Reload
	buffer_load_dword v11, off, s[0:3], s33 offset:96 ; 4-byte Folded Reload
	s_waitcnt vmcnt(1)
	v_add_co_u32_e32 v42, vcc, v1, v10
	s_waitcnt vmcnt(0)
	v_addc_co_u32_e32 v43, vcc, v3, v11, vcc
	s_branch .LBB2_676
.LBB2_674:                              ;   in Loop: Header=BB2_676 Depth=2
	s_or_b64 exec, exec, s[22:23]
.LBB2_675:                              ;   in Loop: Header=BB2_676 Depth=2
	s_or_b64 exec, exec, s[20:21]
	v_lshl_or_b32 v3, v59, 8, v47
	v_lshlrev_b32_e32 v11, 16, v46
	v_lshlrev_b32_e32 v12, 24, v30
	v_or3_b32 v12, v3, v11, v12
	v_lshl_or_b32 v3, v50, 8, v57
	v_lshlrev_b32_e32 v11, 16, v51
	v_lshlrev_b32_e32 v1, 24, v1
	v_or3_b32 v11, v3, v11, v1
	;; [unrolled: 4-line block ×3, first 2 shown]
	v_lshlrev_b32_e32 v1, 24, v10
	v_lshlrev_b32_e32 v3, 16, v14
	v_lshl_or_b32 v10, v44, 8, v25
	v_or3_b32 v14, v10, v3, v1
	buffer_load_dword v1, off, s[0:3], s33 offset:60 ; 4-byte Folded Reload
	v_sub_u32_e32 v56, v56, v18
	global_store_dwordx4 v[42:43], v[11:14], off glc slc
	s_waitcnt vmcnt(1)
	v_add_co_u32_e32 v54, vcc, v54, v1
	v_addc_co_u32_e32 v55, vcc, 0, v55, vcc
	v_add_co_u32_e32 v40, vcc, v40, v1
	v_addc_co_u32_e32 v41, vcc, 0, v41, vcc
	;; [unrolled: 2-line block ×3, first 2 shown]
	v_sub_u32_e32 v58, v58, v1
	v_cmp_gt_i32_e32 vcc, 16, v58
	s_or_b64 s[88:89], vcc, s[88:89]
	s_andn2_b64 exec, exec, s[88:89]
	s_cbranch_execz .LBB2_1219
.LBB2_676:                              ;   Parent Loop BB2_49 Depth=1
                                        ; =>  This Inner Loop Header: Depth=2
	global_load_dwordx4 v[14:17], v[54:55], off glc slc
	global_load_dwordx4 v[10:13], v[40:41], off glc slc
	v_mov_b32_e32 v1, 0
	s_waitcnt vmcnt(1)
	v_cmp_ne_u16_sdwa s[22:23], v14, v37 src0_sel:BYTE_0 src1_sel:DWORD
	s_and_saveexec_b64 s[20:21], s[22:23]
	s_cbranch_execz .LBB2_684
; %bb.677:                              ;   in Loop: Header=BB2_676 Depth=2
	v_cmp_ne_u16_sdwa s[90:91], sext(v14), s52 src0_sel:BYTE_0 src1_sel:DWORD
	v_bfrev_b32_e32 v1, 1
	s_and_saveexec_b64 s[22:23], s[90:91]
	s_cbranch_execz .LBB2_683
; %bb.678:                              ;   in Loop: Header=BB2_676 Depth=2
	v_and_b32_e32 v1, 0x7c, v14
	v_and_b32_e32 v3, 3, v14
	v_cmp_ne_u32_e32 vcc, s53, v1
                                        ; implicit-def: $vgpr1
	s_and_saveexec_b64 s[90:91], vcc
	s_xor_b64 s[90:91], exec, s[90:91]
	s_cbranch_execz .LBB2_680
; %bb.679:                              ;   in Loop: Header=BB2_676 Depth=2
	v_ffbh_u32_e32 v24, v3
	v_min_u32_e32 v30, 32, v24
	v_subrev_u32_e32 v24, 29, v30
	v_lshlrev_b64 v[24:25], v24, v[14:15]
	v_bfe_u32 v1, v14, 2, 5
	v_and_b32_e32 v24, 3, v24
	v_cmp_eq_u32_e32 vcc, 0, v1
	v_sub_u32_e32 v25, 30, v30
	v_cndmask_b32_e32 v3, v3, v24, vcc
	v_lshlrev_b32_e32 v24, 24, v14
	v_cndmask_b32_e32 v1, v1, v25, vcc
	v_and_b32_e32 v24, 0x80000000, v24
	v_lshl_add_u32 v1, v1, 23, v24
	v_lshl_or_b32 v1, v3, 21, v1
	v_add_u32_e32 v1, 0x38000000, v1
                                        ; implicit-def: $vgpr3
.LBB2_680:                              ;   in Loop: Header=BB2_676 Depth=2
	s_andn2_saveexec_b64 s[90:91], s[90:91]
; %bb.681:                              ;   in Loop: Header=BB2_676 Depth=2
	v_cmp_gt_i16_sdwa vcc, sext(v14), v20 src0_sel:BYTE_0 src1_sel:DWORD
	v_cndmask_b32_e32 v1, v21, v61, vcc
	v_cmp_eq_u32_e32 vcc, 0, v3
	v_cndmask_b32_e32 v1, v2, v1, vcc
; %bb.682:                              ;   in Loop: Header=BB2_676 Depth=2
	s_or_b64 exec, exec, s[90:91]
.LBB2_683:                              ;   in Loop: Header=BB2_676 Depth=2
	s_or_b64 exec, exec, s[22:23]
.LBB2_684:                              ;   in Loop: Header=BB2_676 Depth=2
	s_or_b64 exec, exec, s[20:21]
	s_waitcnt vmcnt(0)
	v_cmp_gt_i16_sdwa s[22:23], v10, s55 src0_sel:BYTE_0 src1_sel:DWORD
	s_mov_b64 s[20:21], 0
	s_and_saveexec_b64 s[90:91], s[22:23]
	s_xor_b64 s[22:23], exec, s[90:91]
	s_cbranch_execz .LBB2_1199
; %bb.685:                              ;   in Loop: Header=BB2_676 Depth=2
	v_cmp_eq_u16_sdwa s[92:93], v10, s64 src0_sel:BYTE_0 src1_sel:DWORD
	s_mov_b64 s[20:21], -1
	s_and_saveexec_b64 s[90:91], s[92:93]
; %bb.686:                              ;   in Loop: Header=BB2_676 Depth=2
	s_xor_b64 s[20:21], exec, -1
; %bb.687:                              ;   in Loop: Header=BB2_676 Depth=2
	s_or_b64 exec, exec, s[90:91]
	s_and_b64 s[20:21], s[20:21], exec
	s_or_saveexec_b64 s[22:23], s[22:23]
	v_bfrev_b32_e32 v3, 1
	s_xor_b64 exec, exec, s[22:23]
	s_cbranch_execnz .LBB2_1200
.LBB2_688:                              ;   in Loop: Header=BB2_676 Depth=2
	s_or_b64 exec, exec, s[22:23]
	s_and_saveexec_b64 s[90:91], s[20:21]
	s_cbranch_execz .LBB2_690
.LBB2_689:                              ;   in Loop: Header=BB2_676 Depth=2
	v_and_b32_e32 v3, 3, v10
	v_and_b32_e32 v24, 0x7c, v10
	v_cmp_eq_u32_e32 vcc, s53, v24
	v_ffbh_u32_e32 v24, v3
	v_min_u32_e32 v34, 32, v24
	v_subrev_u32_e32 v24, 29, v34
	v_bfe_u32 v30, v10, 2, 5
	v_lshlrev_b64 v[24:25], v24, v[10:11]
	v_cmp_eq_u32_e64 s[20:21], 0, v30
	v_sub_u32_e32 v25, 30, v34
	v_cndmask_b32_e64 v25, v30, v25, s[20:21]
	v_lshlrev_b32_e32 v30, 24, v10
	v_and_b32_e32 v24, 3, v24
	v_and_b32_e32 v30, 0x80000000, v30
	v_cndmask_b32_e64 v24, v3, v24, s[20:21]
	v_lshl_add_u32 v25, v25, 23, v30
	v_cmp_gt_i16_sdwa s[22:23], sext(v10), v20 src0_sel:BYTE_0 src1_sel:DWORD
	v_lshl_or_b32 v24, v24, 21, v25
	v_cmp_eq_u32_e64 s[20:21], 0, v3
	v_cndmask_b32_e64 v3, v21, v61, s[22:23]
	v_add_u32_e32 v24, 0x38000000, v24
	v_cndmask_b32_e64 v3, v2, v3, s[20:21]
	v_cndmask_b32_e32 v3, v24, v3, vcc
.LBB2_690:                              ;   in Loop: Header=BB2_676 Depth=2
	s_or_b64 exec, exec, s[90:91]
	v_mul_f32_e32 v24, v1, v3
	v_and_b32_e32 v34, 0x7f800000, v24
	v_mov_b32_e32 v35, v37
	v_cmp_ne_u64_e32 vcc, s[60:61], v[34:35]
	v_and_b32_e32 v36, 0x7fffff, v24
                                        ; implicit-def: $vgpr57
	s_and_saveexec_b64 s[20:21], vcc
	s_xor_b64 s[22:23], exec, s[20:21]
	s_cbranch_execz .LBB2_704
; %bb.691:                              ;   in Loop: Header=BB2_676 Depth=2
	v_and_b32_e32 v34, 0x7fffffff, v24
	v_mov_b32_e32 v35, v37
	v_cmp_gt_u64_e32 vcc, s[62:63], v[34:35]
	v_and_b32_sdwa v1, v24, s64 dst_sel:DWORD dst_unused:UNUSED_PAD src0_sel:BYTE_3 src1_sel:DWORD
                                        ; implicit-def: $vgpr57
	s_and_saveexec_b64 s[20:21], vcc
	s_xor_b64 s[90:91], exec, s[20:21]
	s_cbranch_execz .LBB2_701
; %bb.692:                              ;   in Loop: Header=BB2_676 Depth=2
	v_mov_b32_e32 v57, 0
	v_cmp_ne_u32_e32 vcc, 0, v24
	s_and_saveexec_b64 s[92:93], vcc
	s_cbranch_execz .LBB2_700
; %bb.693:                              ;   in Loop: Header=BB2_676 Depth=2
	v_bfe_u32 v3, v24, 23, 8
	v_cmp_gt_u32_e64 s[20:21], s65, v3
	v_sub_u32_e32 v24, 0x71, v3
	v_cmp_eq_u32_e32 vcc, 0, v3
	v_cndmask_b32_e64 v24, 0, v24, s[20:21]
	v_mov_b32_e32 v30, 0x70
	v_or_b32_e32 v25, 0x800000, v36
	v_cndmask_b32_e32 v24, v24, v30, vcc
	v_cndmask_b32_e32 v36, v25, v36, vcc
	v_add_u32_e32 v25, 21, v24
	v_lshlrev_b64 v[34:35], v25, -1
	v_add_u32_e32 v25, 20, v24
	v_lshlrev_b64 v[50:51], v25, 1
	v_lshrrev_b64 v[44:45], v24, v[36:37]
	v_bfi_b32 v35, v35, 0, 0
	v_bfi_b32 v34, v34, 0, v36
	v_cmp_eq_u64_e64 s[20:21], v[34:35], v[50:51]
	v_mov_b32_e32 v46, v45
	v_mov_b32_e32 v45, v44
	s_and_saveexec_b64 s[94:95], s[20:21]
; %bb.694:                              ;   in Loop: Header=BB2_676 Depth=2
	v_bfe_u32 v25, v44, 21, 1
	v_add_co_u32_e64 v25, s[20:21], v44, v25
	v_add_co_u32_e64 v45, s[20:21], -1, v25
; %bb.695:                              ;   in Loop: Header=BB2_676 Depth=2
	s_or_b64 exec, exec, s[94:95]
	v_add_u32_e32 v3, 0xffffff81, v3
	v_mov_b32_e32 v25, 0xffffff82
	v_cndmask_b32_e32 v3, v3, v25, vcc
	v_lshrrev_b32_e32 v25, 23, v44
	v_add3_u32 v25, v24, v3, v25
	v_add_u32_e32 v24, 14, v25
	v_and_b32_e32 v3, 0x1fffff, v45
	v_add_u32_e32 v36, v3, v44
	v_cmp_ne_u32_e32 vcc, 0, v24
                                        ; implicit-def: $vgpr44_vgpr45
                                        ; implicit-def: $vgpr3
	s_and_saveexec_b64 s[20:21], vcc
	s_xor_b64 s[20:21], exec, s[20:21]
; %bb.696:                              ;   in Loop: Header=BB2_676 Depth=2
	v_cmp_lt_u64_e32 vcc, s[72:73], v[36:37]
	v_add_u32_e32 v3, 15, v25
	v_cndmask_b32_e32 v3, v24, v3, vcc
	v_cndmask_b32_e64 v24, 0, 1, vcc
	v_lshrrev_b64 v[44:45], v24, v[36:37]
; %bb.697:                              ;   in Loop: Header=BB2_676 Depth=2
	s_andn2_saveexec_b64 s[20:21], s[20:21]
; %bb.698:                              ;   in Loop: Header=BB2_676 Depth=2
	v_mov_b32_e32 v45, v37
	v_bfe_u32 v3, v36, 23, 1
	v_mov_b32_e32 v44, v36
; %bb.699:                              ;   in Loop: Header=BB2_676 Depth=2
	s_or_b64 exec, exec, s[20:21]
	v_lshrrev_b64 v[24:25], 21, v[44:45]
	v_cmp_gt_i32_e32 vcc, 32, v3
	v_cndmask_b32_e32 v25, 0, v25, vcc
	v_cndmask_b32_e32 v24, 3, v24, vcc
	v_cmp_eq_u32_e32 vcc, 0, v3
	v_min_i32_e32 v3, 31, v3
	v_cmp_eq_u64_e64 s[20:21], 0, v[24:25]
	v_lshlrev_b32_e32 v3, 2, v3
	v_and_b32_e32 v3, 0xfc, v3
	v_and_or_b32 v3, v24, 3, v3
	s_and_b64 s[20:21], vcc, s[20:21]
	v_cndmask_b32_e64 v3, v3, 0, s[20:21]
	v_or_b32_e32 v57, v3, v1
.LBB2_700:                              ;   in Loop: Header=BB2_676 Depth=2
	s_or_b64 exec, exec, s[92:93]
                                        ; implicit-def: $vgpr1
.LBB2_701:                              ;   in Loop: Header=BB2_676 Depth=2
	s_andn2_saveexec_b64 s[20:21], s[90:91]
; %bb.702:                              ;   in Loop: Header=BB2_676 Depth=2
	v_or_b32_e32 v57, 0x7b, v1
; %bb.703:                              ;   in Loop: Header=BB2_676 Depth=2
	s_or_b64 exec, exec, s[20:21]
                                        ; implicit-def: $vgpr24
.LBB2_704:                              ;   in Loop: Header=BB2_676 Depth=2
	s_andn2_saveexec_b64 s[20:21], s[22:23]
	s_cbranch_execz .LBB2_710
; %bb.705:                              ;   in Loop: Header=BB2_676 Depth=2
	v_cmp_ne_u64_e32 vcc, 0, v[36:37]
                                        ; implicit-def: $vgpr57
	s_and_saveexec_b64 s[22:23], vcc
	s_xor_b64 s[22:23], exec, s[22:23]
; %bb.706:                              ;   in Loop: Header=BB2_676 Depth=2
	v_or_b32_sdwa v57, v24, s55 dst_sel:DWORD dst_unused:UNUSED_PAD src0_sel:BYTE_3 src1_sel:DWORD
                                        ; implicit-def: $vgpr24
; %bb.707:                              ;   in Loop: Header=BB2_676 Depth=2
	s_andn2_saveexec_b64 s[22:23], s[22:23]
; %bb.708:                              ;   in Loop: Header=BB2_676 Depth=2
	v_cmp_lt_i32_e32 vcc, -1, v24
	v_bfrev_b32_e32 v1, 0.5
	v_cndmask_b32_e32 v57, v1, v19, vcc
; %bb.709:                              ;   in Loop: Header=BB2_676 Depth=2
	s_or_b64 exec, exec, s[22:23]
.LBB2_710:                              ;   in Loop: Header=BB2_676 Depth=2
	s_or_b64 exec, exec, s[20:21]
	v_lshrrev_b16_e32 v36, 8, v14
	v_cmp_ne_u16_e32 vcc, 0, v36
	v_mov_b32_e32 v1, 0
	s_and_saveexec_b64 s[20:21], vcc
	s_cbranch_execz .LBB2_718
; %bb.711:                              ;   in Loop: Header=BB2_676 Depth=2
	v_cmp_ne_u16_e32 vcc, s64, v36
	v_bfrev_b32_e32 v1, 1
	s_and_saveexec_b64 s[22:23], vcc
	s_cbranch_execz .LBB2_717
; %bb.712:                              ;   in Loop: Header=BB2_676 Depth=2
	v_and_b32_e32 v1, 0x7c, v36
	v_and_b32_e32 v3, 3, v36
	v_cmp_ne_u32_e32 vcc, s53, v1
                                        ; implicit-def: $vgpr1
	s_and_saveexec_b64 s[90:91], vcc
	s_xor_b64 s[90:91], exec, s[90:91]
	s_cbranch_execz .LBB2_714
; %bb.713:                              ;   in Loop: Header=BB2_676 Depth=2
	v_ffbh_u32_e32 v24, v3
	v_min_u32_e32 v30, 32, v24
	v_subrev_u32_e32 v24, 29, v30
	v_lshlrev_b64 v[24:25], v24, v[36:37]
	v_bfe_u32 v1, v36, 2, 5
	v_and_b32_e32 v24, 3, v24
	v_cmp_eq_u32_e32 vcc, 0, v1
	v_sub_u32_e32 v25, 30, v30
	v_cndmask_b32_e32 v3, v3, v24, vcc
	v_lshlrev_b32_e32 v24, 16, v14
	v_cndmask_b32_e32 v1, v1, v25, vcc
	v_and_b32_e32 v24, 0x80000000, v24
	v_lshl_add_u32 v1, v1, 23, v24
	v_lshl_or_b32 v1, v3, 21, v1
	v_add_u32_e32 v1, 0x38000000, v1
                                        ; implicit-def: $vgpr3
.LBB2_714:                              ;   in Loop: Header=BB2_676 Depth=2
	s_andn2_saveexec_b64 s[90:91], s[90:91]
; %bb.715:                              ;   in Loop: Header=BB2_676 Depth=2
	v_cmp_lt_i16_e32 vcc, -1, v14
	v_cndmask_b32_e32 v1, v21, v61, vcc
	v_cmp_eq_u32_e32 vcc, 0, v3
	v_cndmask_b32_e32 v1, v2, v1, vcc
; %bb.716:                              ;   in Loop: Header=BB2_676 Depth=2
	s_or_b64 exec, exec, s[90:91]
.LBB2_717:                              ;   in Loop: Header=BB2_676 Depth=2
	s_or_b64 exec, exec, s[22:23]
.LBB2_718:                              ;   in Loop: Header=BB2_676 Depth=2
	s_or_b64 exec, exec, s[20:21]
	v_lshrrev_b16_e32 v36, 8, v10
	v_cmp_lt_i16_e32 vcc, s55, v36
	s_mov_b64 s[20:21], 0
	s_and_saveexec_b64 s[22:23], vcc
	s_xor_b64 s[22:23], exec, s[22:23]
	s_cbranch_execz .LBB2_1201
; %bb.719:                              ;   in Loop: Header=BB2_676 Depth=2
	v_cmp_eq_u16_e32 vcc, s64, v36
	s_mov_b64 s[20:21], -1
	s_and_saveexec_b64 s[90:91], vcc
; %bb.720:                              ;   in Loop: Header=BB2_676 Depth=2
	s_xor_b64 s[20:21], exec, -1
; %bb.721:                              ;   in Loop: Header=BB2_676 Depth=2
	s_or_b64 exec, exec, s[90:91]
	s_and_b64 s[20:21], s[20:21], exec
	s_or_saveexec_b64 s[22:23], s[22:23]
	v_bfrev_b32_e32 v3, 1
	s_xor_b64 exec, exec, s[22:23]
	s_cbranch_execnz .LBB2_1202
.LBB2_722:                              ;   in Loop: Header=BB2_676 Depth=2
	s_or_b64 exec, exec, s[22:23]
	s_and_saveexec_b64 s[90:91], s[20:21]
	s_cbranch_execz .LBB2_724
.LBB2_723:                              ;   in Loop: Header=BB2_676 Depth=2
	v_and_b32_e32 v3, 3, v36
	v_and_b32_e32 v24, 0x7c, v36
	v_cmp_eq_u32_e32 vcc, s53, v24
	v_ffbh_u32_e32 v24, v3
	v_min_u32_e32 v34, 32, v24
	v_subrev_u32_e32 v24, 29, v34
	v_bfe_u32 v30, v36, 2, 5
	v_lshlrev_b64 v[24:25], v24, v[36:37]
	v_cmp_eq_u32_e64 s[20:21], 0, v30
	v_sub_u32_e32 v25, 30, v34
	v_cndmask_b32_e64 v25, v30, v25, s[20:21]
	v_lshlrev_b32_e32 v30, 24, v36
	v_and_b32_e32 v24, 3, v24
	v_and_b32_e32 v30, 0x80000000, v30
	v_cndmask_b32_e64 v24, v3, v24, s[20:21]
	v_lshl_add_u32 v25, v25, 23, v30
	v_cmp_lt_i16_e64 s[22:23], -1, v10
	v_lshl_or_b32 v24, v24, 21, v25
	v_cmp_eq_u32_e64 s[20:21], 0, v3
	v_cndmask_b32_e64 v3, v21, v61, s[22:23]
	v_add_u32_e32 v24, 0x38000000, v24
	v_cndmask_b32_e64 v3, v2, v3, s[20:21]
	v_cndmask_b32_e32 v3, v24, v3, vcc
.LBB2_724:                              ;   in Loop: Header=BB2_676 Depth=2
	s_or_b64 exec, exec, s[90:91]
	v_mul_f32_e32 v24, v1, v3
	v_and_b32_e32 v34, 0x7f800000, v24
	v_mov_b32_e32 v35, v37
	v_cmp_ne_u64_e32 vcc, s[60:61], v[34:35]
	v_and_b32_e32 v36, 0x7fffff, v24
                                        ; implicit-def: $vgpr50
	s_and_saveexec_b64 s[20:21], vcc
	s_xor_b64 s[22:23], exec, s[20:21]
	s_cbranch_execz .LBB2_738
; %bb.725:                              ;   in Loop: Header=BB2_676 Depth=2
	v_and_b32_e32 v34, 0x7fffffff, v24
	v_mov_b32_e32 v35, v37
	v_cmp_gt_u64_e32 vcc, s[62:63], v[34:35]
	v_and_b32_sdwa v1, v24, s64 dst_sel:DWORD dst_unused:UNUSED_PAD src0_sel:BYTE_3 src1_sel:DWORD
                                        ; implicit-def: $vgpr50
	s_and_saveexec_b64 s[20:21], vcc
	s_xor_b64 s[90:91], exec, s[20:21]
	s_cbranch_execz .LBB2_735
; %bb.726:                              ;   in Loop: Header=BB2_676 Depth=2
	v_mov_b32_e32 v50, 0
	v_cmp_ne_u32_e32 vcc, 0, v24
	s_and_saveexec_b64 s[92:93], vcc
	s_cbranch_execz .LBB2_734
; %bb.727:                              ;   in Loop: Header=BB2_676 Depth=2
	v_bfe_u32 v3, v24, 23, 8
	v_cmp_gt_u32_e64 s[20:21], s65, v3
	v_sub_u32_e32 v24, 0x71, v3
	v_cmp_eq_u32_e32 vcc, 0, v3
	v_cndmask_b32_e64 v24, 0, v24, s[20:21]
	v_mov_b32_e32 v30, 0x70
	v_or_b32_e32 v25, 0x800000, v36
	v_cndmask_b32_e32 v24, v24, v30, vcc
	v_cndmask_b32_e32 v36, v25, v36, vcc
	v_add_u32_e32 v25, 21, v24
	v_lshlrev_b64 v[34:35], v25, -1
	v_add_u32_e32 v25, 20, v24
	v_lshlrev_b64 v[50:51], v25, 1
	v_lshrrev_b64 v[44:45], v24, v[36:37]
	v_bfi_b32 v35, v35, 0, 0
	v_bfi_b32 v34, v34, 0, v36
	v_cmp_eq_u64_e64 s[20:21], v[34:35], v[50:51]
	v_mov_b32_e32 v46, v45
	v_mov_b32_e32 v45, v44
	s_and_saveexec_b64 s[94:95], s[20:21]
; %bb.728:                              ;   in Loop: Header=BB2_676 Depth=2
	v_bfe_u32 v25, v44, 21, 1
	v_add_co_u32_e64 v25, s[20:21], v44, v25
	v_add_co_u32_e64 v45, s[20:21], -1, v25
; %bb.729:                              ;   in Loop: Header=BB2_676 Depth=2
	s_or_b64 exec, exec, s[94:95]
	v_add_u32_e32 v3, 0xffffff81, v3
	v_mov_b32_e32 v25, 0xffffff82
	v_cndmask_b32_e32 v3, v3, v25, vcc
	v_lshrrev_b32_e32 v25, 23, v44
	v_add3_u32 v25, v24, v3, v25
	v_add_u32_e32 v24, 14, v25
	v_and_b32_e32 v3, 0x1fffff, v45
	v_add_u32_e32 v36, v3, v44
	v_cmp_ne_u32_e32 vcc, 0, v24
                                        ; implicit-def: $vgpr44_vgpr45
                                        ; implicit-def: $vgpr3
	s_and_saveexec_b64 s[20:21], vcc
	s_xor_b64 s[20:21], exec, s[20:21]
; %bb.730:                              ;   in Loop: Header=BB2_676 Depth=2
	v_cmp_lt_u64_e32 vcc, s[72:73], v[36:37]
	v_add_u32_e32 v3, 15, v25
	v_cndmask_b32_e32 v3, v24, v3, vcc
	v_cndmask_b32_e64 v24, 0, 1, vcc
	v_lshrrev_b64 v[44:45], v24, v[36:37]
; %bb.731:                              ;   in Loop: Header=BB2_676 Depth=2
	s_andn2_saveexec_b64 s[20:21], s[20:21]
; %bb.732:                              ;   in Loop: Header=BB2_676 Depth=2
	v_mov_b32_e32 v45, v37
	v_bfe_u32 v3, v36, 23, 1
	v_mov_b32_e32 v44, v36
; %bb.733:                              ;   in Loop: Header=BB2_676 Depth=2
	s_or_b64 exec, exec, s[20:21]
	v_lshrrev_b64 v[24:25], 21, v[44:45]
	v_cmp_gt_i32_e32 vcc, 32, v3
	v_cndmask_b32_e32 v25, 0, v25, vcc
	v_cndmask_b32_e32 v24, 3, v24, vcc
	v_cmp_eq_u32_e32 vcc, 0, v3
	v_min_i32_e32 v3, 31, v3
	v_cmp_eq_u64_e64 s[20:21], 0, v[24:25]
	v_lshlrev_b32_e32 v3, 2, v3
	v_and_b32_e32 v3, 0xfc, v3
	v_and_or_b32 v3, v24, 3, v3
	s_and_b64 s[20:21], vcc, s[20:21]
	v_cndmask_b32_e64 v3, v3, 0, s[20:21]
	v_or_b32_e32 v50, v3, v1
.LBB2_734:                              ;   in Loop: Header=BB2_676 Depth=2
	s_or_b64 exec, exec, s[92:93]
                                        ; implicit-def: $vgpr1
.LBB2_735:                              ;   in Loop: Header=BB2_676 Depth=2
	s_andn2_saveexec_b64 s[20:21], s[90:91]
; %bb.736:                              ;   in Loop: Header=BB2_676 Depth=2
	v_or_b32_e32 v50, 0x7b, v1
; %bb.737:                              ;   in Loop: Header=BB2_676 Depth=2
	s_or_b64 exec, exec, s[20:21]
                                        ; implicit-def: $vgpr24
.LBB2_738:                              ;   in Loop: Header=BB2_676 Depth=2
	s_andn2_saveexec_b64 s[20:21], s[22:23]
	s_cbranch_execz .LBB2_744
; %bb.739:                              ;   in Loop: Header=BB2_676 Depth=2
	v_cmp_ne_u64_e32 vcc, 0, v[36:37]
                                        ; implicit-def: $vgpr50
	s_and_saveexec_b64 s[22:23], vcc
	s_xor_b64 s[22:23], exec, s[22:23]
; %bb.740:                              ;   in Loop: Header=BB2_676 Depth=2
	v_or_b32_sdwa v50, v24, s55 dst_sel:DWORD dst_unused:UNUSED_PAD src0_sel:BYTE_3 src1_sel:DWORD
                                        ; implicit-def: $vgpr24
; %bb.741:                              ;   in Loop: Header=BB2_676 Depth=2
	s_andn2_saveexec_b64 s[22:23], s[22:23]
; %bb.742:                              ;   in Loop: Header=BB2_676 Depth=2
	v_cmp_lt_i32_e32 vcc, -1, v24
	v_bfrev_b32_e32 v1, 0.5
	v_cndmask_b32_e32 v50, v1, v19, vcc
; %bb.743:                              ;   in Loop: Header=BB2_676 Depth=2
	s_or_b64 exec, exec, s[22:23]
.LBB2_744:                              ;   in Loop: Header=BB2_676 Depth=2
	s_or_b64 exec, exec, s[20:21]
	v_lshrrev_b32_e32 v30, 16, v14
	v_cmp_ne_u16_sdwa s[22:23], v30, v37 src0_sel:BYTE_0 src1_sel:DWORD
	v_mov_b32_e32 v1, 0
	s_and_saveexec_b64 s[20:21], s[22:23]
	s_cbranch_execz .LBB2_752
; %bb.745:                              ;   in Loop: Header=BB2_676 Depth=2
	v_cmp_ne_u16_sdwa s[90:91], v30, s64 src0_sel:BYTE_0 src1_sel:DWORD
	v_bfrev_b32_e32 v1, 1
	s_and_saveexec_b64 s[22:23], s[90:91]
	s_cbranch_execz .LBB2_751
; %bb.746:                              ;   in Loop: Header=BB2_676 Depth=2
	v_and_b32_e32 v1, 0x7c0000, v14
	v_bfe_u32 v3, v14, 16, 2
	v_cmp_ne_u32_e32 vcc, s66, v1
                                        ; implicit-def: $vgpr1
	s_and_saveexec_b64 s[90:91], vcc
	s_xor_b64 s[90:91], exec, s[90:91]
	s_cbranch_execz .LBB2_748
; %bb.747:                              ;   in Loop: Header=BB2_676 Depth=2
	v_ffbh_u32_e32 v24, v3
	v_min_u32_e32 v34, 32, v24
	v_subrev_u32_e32 v24, 29, v34
	v_lshlrev_b64 v[24:25], v24, v[30:31]
	v_bfe_u32 v1, v14, 18, 5
	v_and_b32_e32 v24, 3, v24
	v_cmp_eq_u32_e32 vcc, 0, v1
	v_sub_u32_e32 v25, 30, v34
	v_cndmask_b32_e32 v3, v3, v24, vcc
	v_lshlrev_b32_e32 v24, 8, v14
	v_cndmask_b32_e32 v1, v1, v25, vcc
	v_and_b32_e32 v24, 0x80000000, v24
	v_lshl_add_u32 v1, v1, 23, v24
	v_lshl_or_b32 v1, v3, 21, v1
	v_add_u32_e32 v1, 0x38000000, v1
                                        ; implicit-def: $vgpr3
                                        ; implicit-def: $vgpr30
.LBB2_748:                              ;   in Loop: Header=BB2_676 Depth=2
	s_andn2_saveexec_b64 s[90:91], s[90:91]
; %bb.749:                              ;   in Loop: Header=BB2_676 Depth=2
	v_cmp_gt_i16_sdwa vcc, sext(v30), v20 src0_sel:BYTE_0 src1_sel:DWORD
	v_cndmask_b32_e32 v1, v21, v61, vcc
	v_cmp_eq_u32_e32 vcc, 0, v3
	v_cndmask_b32_e32 v1, v2, v1, vcc
; %bb.750:                              ;   in Loop: Header=BB2_676 Depth=2
	s_or_b64 exec, exec, s[90:91]
.LBB2_751:                              ;   in Loop: Header=BB2_676 Depth=2
	s_or_b64 exec, exec, s[22:23]
.LBB2_752:                              ;   in Loop: Header=BB2_676 Depth=2
	s_or_b64 exec, exec, s[20:21]
	v_lshrrev_b32_e32 v30, 16, v10
	v_cmp_gt_i16_sdwa s[22:23], v30, s55 src0_sel:BYTE_0 src1_sel:DWORD
	s_mov_b64 s[20:21], 0
	s_and_saveexec_b64 s[90:91], s[22:23]
	s_xor_b64 s[22:23], exec, s[90:91]
	s_cbranch_execz .LBB2_1203
; %bb.753:                              ;   in Loop: Header=BB2_676 Depth=2
	v_cmp_eq_u16_sdwa s[92:93], v30, s64 src0_sel:BYTE_0 src1_sel:DWORD
	s_mov_b64 s[20:21], -1
	s_and_saveexec_b64 s[90:91], s[92:93]
; %bb.754:                              ;   in Loop: Header=BB2_676 Depth=2
	s_xor_b64 s[20:21], exec, -1
; %bb.755:                              ;   in Loop: Header=BB2_676 Depth=2
	s_or_b64 exec, exec, s[90:91]
	s_and_b64 s[20:21], s[20:21], exec
	s_or_saveexec_b64 s[22:23], s[22:23]
	v_bfrev_b32_e32 v3, 1
	s_xor_b64 exec, exec, s[22:23]
	s_cbranch_execnz .LBB2_1204
.LBB2_756:                              ;   in Loop: Header=BB2_676 Depth=2
	s_or_b64 exec, exec, s[22:23]
	s_and_saveexec_b64 s[90:91], s[20:21]
	s_cbranch_execz .LBB2_758
.LBB2_757:                              ;   in Loop: Header=BB2_676 Depth=2
	v_and_b32_e32 v3, 3, v30
	v_and_b32_e32 v24, 0x7c0000, v10
	v_cmp_eq_u32_e32 vcc, s66, v24
	v_ffbh_u32_e32 v24, v3
	v_min_u32_e32 v35, 32, v24
	v_subrev_u32_e32 v24, 29, v35
	v_bfe_u32 v34, v10, 18, 5
	v_lshlrev_b64 v[24:25], v24, v[30:31]
	v_cmp_eq_u32_e64 s[20:21], 0, v34
	v_sub_u32_e32 v25, 30, v35
	v_cndmask_b32_e64 v25, v34, v25, s[20:21]
	v_lshlrev_b32_e32 v34, 24, v30
	v_and_b32_e32 v24, 3, v24
	v_and_b32_e32 v34, 0x80000000, v34
	v_cndmask_b32_e64 v24, v3, v24, s[20:21]
	v_lshl_add_u32 v25, v25, 23, v34
	v_cmp_gt_i16_sdwa s[22:23], sext(v30), v20 src0_sel:BYTE_0 src1_sel:DWORD
	v_lshl_or_b32 v24, v24, 21, v25
	v_cmp_eq_u32_e64 s[20:21], 0, v3
	v_cndmask_b32_e64 v3, v21, v61, s[22:23]
	v_add_u32_e32 v24, 0x38000000, v24
	v_cndmask_b32_e64 v3, v2, v3, s[20:21]
	v_cndmask_b32_e32 v3, v24, v3, vcc
.LBB2_758:                              ;   in Loop: Header=BB2_676 Depth=2
	s_or_b64 exec, exec, s[90:91]
	v_mul_f32_e32 v24, v1, v3
	v_and_b32_e32 v34, 0x7f800000, v24
	v_mov_b32_e32 v35, v37
	v_cmp_ne_u64_e32 vcc, s[60:61], v[34:35]
	v_and_b32_e32 v36, 0x7fffff, v24
                                        ; implicit-def: $vgpr51
	s_and_saveexec_b64 s[20:21], vcc
	s_xor_b64 s[22:23], exec, s[20:21]
	s_cbranch_execz .LBB2_772
; %bb.759:                              ;   in Loop: Header=BB2_676 Depth=2
	v_and_b32_e32 v34, 0x7fffffff, v24
	v_mov_b32_e32 v35, v37
	v_cmp_gt_u64_e32 vcc, s[62:63], v[34:35]
	v_and_b32_sdwa v1, v24, s64 dst_sel:DWORD dst_unused:UNUSED_PAD src0_sel:BYTE_3 src1_sel:DWORD
                                        ; implicit-def: $vgpr51
	s_and_saveexec_b64 s[20:21], vcc
	s_xor_b64 s[90:91], exec, s[20:21]
	s_cbranch_execz .LBB2_769
; %bb.760:                              ;   in Loop: Header=BB2_676 Depth=2
	v_mov_b32_e32 v51, 0
	v_cmp_ne_u32_e32 vcc, 0, v24
	s_and_saveexec_b64 s[92:93], vcc
	s_cbranch_execz .LBB2_768
; %bb.761:                              ;   in Loop: Header=BB2_676 Depth=2
	v_bfe_u32 v3, v24, 23, 8
	v_cmp_gt_u32_e64 s[20:21], s65, v3
	v_sub_u32_e32 v24, 0x71, v3
	v_cmp_eq_u32_e32 vcc, 0, v3
	v_cndmask_b32_e64 v24, 0, v24, s[20:21]
	v_mov_b32_e32 v30, 0x70
	v_or_b32_e32 v25, 0x800000, v36
	v_cndmask_b32_e32 v24, v24, v30, vcc
	v_cndmask_b32_e32 v36, v25, v36, vcc
	v_add_u32_e32 v25, 21, v24
	v_lshlrev_b64 v[34:35], v25, -1
	v_add_u32_e32 v25, 20, v24
	v_lshlrev_b64 v[51:52], v25, 1
	v_lshrrev_b64 v[44:45], v24, v[36:37]
	v_bfi_b32 v35, v35, 0, 0
	v_bfi_b32 v34, v34, 0, v36
	v_cmp_eq_u64_e64 s[20:21], v[34:35], v[51:52]
	v_mov_b32_e32 v46, v45
	v_mov_b32_e32 v45, v44
	s_and_saveexec_b64 s[94:95], s[20:21]
; %bb.762:                              ;   in Loop: Header=BB2_676 Depth=2
	v_bfe_u32 v25, v44, 21, 1
	v_add_co_u32_e64 v25, s[20:21], v44, v25
	v_add_co_u32_e64 v45, s[20:21], -1, v25
; %bb.763:                              ;   in Loop: Header=BB2_676 Depth=2
	s_or_b64 exec, exec, s[94:95]
	v_add_u32_e32 v3, 0xffffff81, v3
	v_mov_b32_e32 v25, 0xffffff82
	v_cndmask_b32_e32 v3, v3, v25, vcc
	v_lshrrev_b32_e32 v25, 23, v44
	v_add3_u32 v25, v24, v3, v25
	v_add_u32_e32 v24, 14, v25
	v_and_b32_e32 v3, 0x1fffff, v45
	v_add_u32_e32 v36, v3, v44
	v_cmp_ne_u32_e32 vcc, 0, v24
                                        ; implicit-def: $vgpr44_vgpr45
                                        ; implicit-def: $vgpr3
	s_and_saveexec_b64 s[20:21], vcc
	s_xor_b64 s[20:21], exec, s[20:21]
; %bb.764:                              ;   in Loop: Header=BB2_676 Depth=2
	v_cmp_lt_u64_e32 vcc, s[72:73], v[36:37]
	v_add_u32_e32 v3, 15, v25
	v_cndmask_b32_e32 v3, v24, v3, vcc
	v_cndmask_b32_e64 v24, 0, 1, vcc
	v_lshrrev_b64 v[44:45], v24, v[36:37]
; %bb.765:                              ;   in Loop: Header=BB2_676 Depth=2
	s_andn2_saveexec_b64 s[20:21], s[20:21]
; %bb.766:                              ;   in Loop: Header=BB2_676 Depth=2
	v_mov_b32_e32 v45, v37
	v_bfe_u32 v3, v36, 23, 1
	v_mov_b32_e32 v44, v36
; %bb.767:                              ;   in Loop: Header=BB2_676 Depth=2
	s_or_b64 exec, exec, s[20:21]
	v_lshrrev_b64 v[24:25], 21, v[44:45]
	v_cmp_gt_i32_e32 vcc, 32, v3
	v_cndmask_b32_e32 v25, 0, v25, vcc
	v_cndmask_b32_e32 v24, 3, v24, vcc
	v_cmp_eq_u32_e32 vcc, 0, v3
	v_min_i32_e32 v3, 31, v3
	v_cmp_eq_u64_e64 s[20:21], 0, v[24:25]
	v_lshlrev_b32_e32 v3, 2, v3
	v_and_b32_e32 v3, 0xfc, v3
	v_and_or_b32 v3, v24, 3, v3
	s_and_b64 s[20:21], vcc, s[20:21]
	v_cndmask_b32_e64 v3, v3, 0, s[20:21]
	v_or_b32_e32 v51, v3, v1
.LBB2_768:                              ;   in Loop: Header=BB2_676 Depth=2
	s_or_b64 exec, exec, s[92:93]
                                        ; implicit-def: $vgpr1
.LBB2_769:                              ;   in Loop: Header=BB2_676 Depth=2
	s_andn2_saveexec_b64 s[20:21], s[90:91]
; %bb.770:                              ;   in Loop: Header=BB2_676 Depth=2
	v_or_b32_e32 v51, 0x7b, v1
; %bb.771:                              ;   in Loop: Header=BB2_676 Depth=2
	s_or_b64 exec, exec, s[20:21]
                                        ; implicit-def: $vgpr24
.LBB2_772:                              ;   in Loop: Header=BB2_676 Depth=2
	s_andn2_saveexec_b64 s[20:21], s[22:23]
	s_cbranch_execz .LBB2_778
; %bb.773:                              ;   in Loop: Header=BB2_676 Depth=2
	v_cmp_ne_u64_e32 vcc, 0, v[36:37]
                                        ; implicit-def: $vgpr51
	s_and_saveexec_b64 s[22:23], vcc
	s_xor_b64 s[22:23], exec, s[22:23]
; %bb.774:                              ;   in Loop: Header=BB2_676 Depth=2
	v_or_b32_sdwa v51, v24, s55 dst_sel:DWORD dst_unused:UNUSED_PAD src0_sel:BYTE_3 src1_sel:DWORD
                                        ; implicit-def: $vgpr24
; %bb.775:                              ;   in Loop: Header=BB2_676 Depth=2
	s_andn2_saveexec_b64 s[22:23], s[22:23]
; %bb.776:                              ;   in Loop: Header=BB2_676 Depth=2
	v_cmp_lt_i32_e32 vcc, -1, v24
	v_bfrev_b32_e32 v1, 0.5
	v_cndmask_b32_e32 v51, v1, v19, vcc
; %bb.777:                              ;   in Loop: Header=BB2_676 Depth=2
	s_or_b64 exec, exec, s[22:23]
.LBB2_778:                              ;   in Loop: Header=BB2_676 Depth=2
	s_or_b64 exec, exec, s[20:21]
	v_cmp_lt_u32_e32 vcc, s59, v14
	v_mov_b32_e32 v1, 0
	s_and_saveexec_b64 s[20:21], vcc
	s_cbranch_execz .LBB2_786
; %bb.779:                              ;   in Loop: Header=BB2_676 Depth=2
	v_lshrrev_b32_e32 v30, 24, v14
	v_cmp_ne_u32_e32 vcc, s64, v30
	v_bfrev_b32_e32 v1, 1
	s_and_saveexec_b64 s[22:23], vcc
	s_cbranch_execz .LBB2_785
; %bb.780:                              ;   in Loop: Header=BB2_676 Depth=2
	v_and_b32_e32 v1, 0x7c000000, v14
	v_bfe_u32 v3, v14, 24, 2
	v_cmp_ne_u32_e32 vcc, s67, v1
                                        ; implicit-def: $vgpr1
	s_and_saveexec_b64 s[90:91], vcc
	s_xor_b64 s[90:91], exec, s[90:91]
	s_cbranch_execz .LBB2_782
; %bb.781:                              ;   in Loop: Header=BB2_676 Depth=2
	v_ffbh_u32_e32 v24, v3
	v_min_u32_e32 v34, 32, v24
	v_subrev_u32_e32 v24, 29, v34
	v_lshlrev_b64 v[24:25], v24, v[30:31]
	v_bfe_u32 v1, v14, 26, 5
	v_sub_u32_e32 v25, 30, v34
	v_and_b32_e32 v24, 3, v24
	v_cmp_eq_u32_e32 vcc, 0, v1
	v_cndmask_b32_e32 v1, v1, v25, vcc
	v_cndmask_b32_e32 v3, v3, v24, vcc
	v_and_b32_e32 v24, 0x80000000, v14
	v_lshl_add_u32 v1, v1, 23, v24
	v_lshl_or_b32 v1, v3, 21, v1
	v_add_u32_e32 v1, 0x38000000, v1
                                        ; implicit-def: $vgpr3
.LBB2_782:                              ;   in Loop: Header=BB2_676 Depth=2
	s_andn2_saveexec_b64 s[90:91], s[90:91]
; %bb.783:                              ;   in Loop: Header=BB2_676 Depth=2
	v_cmp_lt_i32_e32 vcc, -1, v14
	v_cndmask_b32_e32 v1, v21, v61, vcc
	v_cmp_eq_u32_e32 vcc, 0, v3
	v_cndmask_b32_e32 v1, v2, v1, vcc
; %bb.784:                              ;   in Loop: Header=BB2_676 Depth=2
	s_or_b64 exec, exec, s[90:91]
.LBB2_785:                              ;   in Loop: Header=BB2_676 Depth=2
	s_or_b64 exec, exec, s[22:23]
.LBB2_786:                              ;   in Loop: Header=BB2_676 Depth=2
	s_or_b64 exec, exec, s[20:21]
	v_bfe_u32 v30, v10, 24, 2
	v_and_b32_e32 v24, 0x7c000000, v10
	v_cmp_eq_u32_e32 vcc, s67, v24
	v_ffbh_u32_e32 v24, v30
	v_min_u32_e32 v35, 32, v24
	v_lshrrev_b32_e32 v3, 24, v10
	v_subrev_u32_e32 v24, 29, v35
	v_bfe_u32 v34, v10, 26, 5
	v_lshlrev_b64 v[24:25], v24, v[3:4]
	v_cmp_eq_u32_e64 s[20:21], 0, v34
	v_sub_u32_e32 v25, 30, v35
	v_and_b32_e32 v24, 3, v24
	v_cndmask_b32_e64 v25, v34, v25, s[20:21]
	v_and_b32_e32 v34, 0x80000000, v10
	v_cndmask_b32_e64 v24, v30, v24, s[20:21]
	v_lshl_add_u32 v25, v25, 23, v34
	v_cmp_lt_i32_e64 s[22:23], -1, v10
	v_lshl_or_b32 v24, v24, 21, v25
	v_cmp_eq_u32_e64 s[20:21], 0, v30
	v_cndmask_b32_e64 v25, v21, v61, s[22:23]
	v_add_u32_e32 v24, 0x38000000, v24
	v_cndmask_b32_e64 v25, v2, v25, s[20:21]
	v_cndmask_b32_e32 v24, v24, v25, vcc
	v_cmp_ne_u32_e32 vcc, s64, v3
	v_cndmask_b32_e32 v3, v0, v24, vcc
	v_cmp_lt_u32_e32 vcc, s59, v10
	v_cndmask_b32_e32 v3, 0, v3, vcc
	v_mul_f32_e32 v25, v3, v1
	v_and_b32_e32 v34, 0x7f800000, v25
	v_mov_b32_e32 v35, v37
	v_cmp_ne_u64_e32 vcc, s[60:61], v[34:35]
	v_and_b32_e32 v36, 0x7fffff, v25
                                        ; implicit-def: $vgpr1
	s_and_saveexec_b64 s[20:21], vcc
	s_xor_b64 s[22:23], exec, s[20:21]
	s_cbranch_execz .LBB2_800
; %bb.787:                              ;   in Loop: Header=BB2_676 Depth=2
	v_and_b32_e32 v34, 0x7fffffff, v25
	v_mov_b32_e32 v35, v37
	v_cmp_gt_u64_e32 vcc, s[62:63], v[34:35]
	v_and_b32_sdwa v24, v25, s64 dst_sel:DWORD dst_unused:UNUSED_PAD src0_sel:BYTE_3 src1_sel:DWORD
                                        ; implicit-def: $vgpr1
	s_and_saveexec_b64 s[20:21], vcc
	s_xor_b64 s[90:91], exec, s[20:21]
	s_cbranch_execz .LBB2_797
; %bb.788:                              ;   in Loop: Header=BB2_676 Depth=2
	v_mov_b32_e32 v1, 0
	v_cmp_ne_u32_e32 vcc, 0, v25
	s_and_saveexec_b64 s[92:93], vcc
	s_cbranch_execz .LBB2_796
; %bb.789:                              ;   in Loop: Header=BB2_676 Depth=2
	v_bfe_u32 v1, v25, 23, 8
	v_cmp_gt_u32_e64 s[20:21], s65, v1
	v_sub_u32_e32 v3, 0x71, v1
	v_cmp_eq_u32_e32 vcc, 0, v1
	v_cndmask_b32_e64 v3, 0, v3, s[20:21]
	v_mov_b32_e32 v30, 0x70
	v_or_b32_e32 v25, 0x800000, v36
	v_cndmask_b32_e32 v3, v3, v30, vcc
	v_cndmask_b32_e32 v36, v25, v36, vcc
	v_add_u32_e32 v25, 21, v3
	v_lshlrev_b64 v[34:35], v25, -1
	v_add_u32_e32 v25, 20, v3
	v_lshlrev_b64 v[52:53], v25, 1
	v_lshrrev_b64 v[44:45], v3, v[36:37]
	v_bfi_b32 v35, v35, 0, 0
	v_bfi_b32 v34, v34, 0, v36
	v_cmp_eq_u64_e64 s[20:21], v[34:35], v[52:53]
	v_mov_b32_e32 v46, v45
	v_mov_b32_e32 v45, v44
	s_and_saveexec_b64 s[94:95], s[20:21]
; %bb.790:                              ;   in Loop: Header=BB2_676 Depth=2
	v_bfe_u32 v25, v44, 21, 1
	v_add_co_u32_e64 v25, s[20:21], v44, v25
	v_add_co_u32_e64 v45, s[20:21], -1, v25
; %bb.791:                              ;   in Loop: Header=BB2_676 Depth=2
	s_or_b64 exec, exec, s[94:95]
	v_add_u32_e32 v1, 0xffffff81, v1
	v_mov_b32_e32 v25, 0xffffff82
	v_cndmask_b32_e32 v1, v1, v25, vcc
	v_lshrrev_b32_e32 v25, 23, v44
	v_add3_u32 v25, v3, v1, v25
	v_add_u32_e32 v3, 14, v25
	v_and_b32_e32 v1, 0x1fffff, v45
	v_add_u32_e32 v36, v1, v44
	v_cmp_ne_u32_e32 vcc, 0, v3
                                        ; implicit-def: $vgpr44_vgpr45
                                        ; implicit-def: $vgpr1
	s_and_saveexec_b64 s[20:21], vcc
	s_xor_b64 s[20:21], exec, s[20:21]
; %bb.792:                              ;   in Loop: Header=BB2_676 Depth=2
	v_cmp_lt_u64_e32 vcc, s[72:73], v[36:37]
	v_add_u32_e32 v1, 15, v25
	v_cndmask_b32_e32 v1, v3, v1, vcc
	v_cndmask_b32_e64 v3, 0, 1, vcc
	v_lshrrev_b64 v[44:45], v3, v[36:37]
; %bb.793:                              ;   in Loop: Header=BB2_676 Depth=2
	s_andn2_saveexec_b64 s[20:21], s[20:21]
; %bb.794:                              ;   in Loop: Header=BB2_676 Depth=2
	v_mov_b32_e32 v45, v37
	v_bfe_u32 v1, v36, 23, 1
	v_mov_b32_e32 v44, v36
; %bb.795:                              ;   in Loop: Header=BB2_676 Depth=2
	s_or_b64 exec, exec, s[20:21]
	v_lshrrev_b64 v[34:35], 21, v[44:45]
	v_cmp_gt_i32_e32 vcc, 32, v1
	v_cndmask_b32_e32 v35, 0, v35, vcc
	v_cndmask_b32_e32 v34, 3, v34, vcc
	v_cmp_eq_u32_e32 vcc, 0, v1
	v_min_i32_e32 v1, 31, v1
	v_cmp_eq_u64_e64 s[20:21], 0, v[34:35]
	v_lshlrev_b32_e32 v1, 2, v1
	v_and_b32_e32 v1, 0xfc, v1
	v_and_or_b32 v1, v34, 3, v1
	s_and_b64 s[20:21], vcc, s[20:21]
	v_cndmask_b32_e64 v1, v1, 0, s[20:21]
	v_or_b32_e32 v1, v1, v24
.LBB2_796:                              ;   in Loop: Header=BB2_676 Depth=2
	s_or_b64 exec, exec, s[92:93]
                                        ; implicit-def: $vgpr24
.LBB2_797:                              ;   in Loop: Header=BB2_676 Depth=2
	s_andn2_saveexec_b64 s[20:21], s[90:91]
; %bb.798:                              ;   in Loop: Header=BB2_676 Depth=2
	v_or_b32_e32 v1, 0x7b, v24
; %bb.799:                              ;   in Loop: Header=BB2_676 Depth=2
	s_or_b64 exec, exec, s[20:21]
                                        ; implicit-def: $vgpr25
.LBB2_800:                              ;   in Loop: Header=BB2_676 Depth=2
	s_andn2_saveexec_b64 s[20:21], s[22:23]
	s_cbranch_execz .LBB2_806
; %bb.801:                              ;   in Loop: Header=BB2_676 Depth=2
	v_cmp_ne_u64_e32 vcc, 0, v[36:37]
                                        ; implicit-def: $vgpr1
	s_and_saveexec_b64 s[22:23], vcc
	s_xor_b64 s[22:23], exec, s[22:23]
; %bb.802:                              ;   in Loop: Header=BB2_676 Depth=2
	v_or_b32_sdwa v1, v25, s55 dst_sel:DWORD dst_unused:UNUSED_PAD src0_sel:BYTE_3 src1_sel:DWORD
                                        ; implicit-def: $vgpr25
; %bb.803:                              ;   in Loop: Header=BB2_676 Depth=2
	s_andn2_saveexec_b64 s[22:23], s[22:23]
; %bb.804:                              ;   in Loop: Header=BB2_676 Depth=2
	v_cmp_lt_i32_e32 vcc, -1, v25
	v_bfrev_b32_e32 v1, 0.5
	v_cndmask_b32_e32 v1, v1, v19, vcc
; %bb.805:                              ;   in Loop: Header=BB2_676 Depth=2
	s_or_b64 exec, exec, s[22:23]
.LBB2_806:                              ;   in Loop: Header=BB2_676 Depth=2
	s_or_b64 exec, exec, s[20:21]
	v_mov_b32_e32 v36, v15
	v_cmp_ne_u16_sdwa s[22:23], v15, v37 src0_sel:BYTE_0 src1_sel:DWORD
	v_mov_b32_e32 v24, 0
	s_and_saveexec_b64 s[20:21], s[22:23]
	s_cbranch_execz .LBB2_814
; %bb.807:                              ;   in Loop: Header=BB2_676 Depth=2
	v_cmp_ne_u16_sdwa s[90:91], v15, s64 src0_sel:BYTE_0 src1_sel:DWORD
	v_bfrev_b32_e32 v24, 1
	s_and_saveexec_b64 s[22:23], s[90:91]
	s_cbranch_execz .LBB2_813
; %bb.808:                              ;   in Loop: Header=BB2_676 Depth=2
	v_and_b32_e32 v24, 0x7c, v15
	v_and_b32_e32 v3, 3, v15
	v_cmp_ne_u32_e32 vcc, s53, v24
                                        ; implicit-def: $vgpr24
	s_and_saveexec_b64 s[90:91], vcc
	s_xor_b64 s[90:91], exec, s[90:91]
	s_cbranch_execz .LBB2_810
; %bb.809:                              ;   in Loop: Header=BB2_676 Depth=2
	v_ffbh_u32_e32 v24, v3
	v_min_u32_e32 v34, 32, v24
	v_subrev_u32_e32 v24, 29, v34
	v_lshlrev_b64 v[24:25], v24, v[36:37]
	v_bfe_u32 v30, v15, 2, 5
	v_and_b32_e32 v24, 3, v24
	v_cmp_eq_u32_e32 vcc, 0, v30
	v_sub_u32_e32 v25, 30, v34
	v_cndmask_b32_e32 v3, v3, v24, vcc
	v_lshlrev_b32_e32 v24, 24, v15
	v_cndmask_b32_e32 v25, v30, v25, vcc
	v_and_b32_e32 v24, 0x80000000, v24
	v_lshl_add_u32 v24, v25, 23, v24
	v_lshl_or_b32 v3, v3, 21, v24
	v_add_u32_e32 v24, 0x38000000, v3
                                        ; implicit-def: $vgpr3
.LBB2_810:                              ;   in Loop: Header=BB2_676 Depth=2
	s_andn2_saveexec_b64 s[90:91], s[90:91]
; %bb.811:                              ;   in Loop: Header=BB2_676 Depth=2
	v_cmp_gt_i16_sdwa vcc, sext(v15), v20 src0_sel:BYTE_0 src1_sel:DWORD
	v_cndmask_b32_e32 v24, v21, v61, vcc
	v_cmp_eq_u32_e32 vcc, 0, v3
	v_cndmask_b32_e32 v24, v2, v24, vcc
; %bb.812:                              ;   in Loop: Header=BB2_676 Depth=2
	s_or_b64 exec, exec, s[90:91]
.LBB2_813:                              ;   in Loop: Header=BB2_676 Depth=2
	s_or_b64 exec, exec, s[22:23]
.LBB2_814:                              ;   in Loop: Header=BB2_676 Depth=2
	s_or_b64 exec, exec, s[20:21]
	v_cmp_gt_i16_sdwa s[22:23], v11, s55 src0_sel:BYTE_0 src1_sel:DWORD
	s_mov_b64 s[20:21], 0
	s_and_saveexec_b64 s[90:91], s[22:23]
	s_xor_b64 s[22:23], exec, s[90:91]
	s_cbranch_execz .LBB2_818
; %bb.815:                              ;   in Loop: Header=BB2_676 Depth=2
	v_cmp_eq_u16_sdwa s[92:93], v11, s64 src0_sel:BYTE_0 src1_sel:DWORD
	s_mov_b64 s[20:21], -1
	s_and_saveexec_b64 s[90:91], s[92:93]
; %bb.816:                              ;   in Loop: Header=BB2_676 Depth=2
	s_xor_b64 s[20:21], exec, -1
; %bb.817:                              ;   in Loop: Header=BB2_676 Depth=2
	s_or_b64 exec, exec, s[90:91]
	s_and_b64 s[20:21], s[20:21], exec
.LBB2_818:                              ;   in Loop: Header=BB2_676 Depth=2
	s_or_saveexec_b64 s[22:23], s[22:23]
	v_bfrev_b32_e32 v3, 1
	s_xor_b64 exec, exec, s[22:23]
; %bb.819:                              ;   in Loop: Header=BB2_676 Depth=2
	v_cmp_ne_u16_sdwa s[90:91], v11, v37 src0_sel:BYTE_0 src1_sel:DWORD
	s_andn2_b64 s[20:21], s[20:21], exec
	s_and_b64 s[90:91], s[90:91], exec
	v_mov_b32_e32 v3, 0
	s_or_b64 s[20:21], s[20:21], s[90:91]
; %bb.820:                              ;   in Loop: Header=BB2_676 Depth=2
	s_or_b64 exec, exec, s[22:23]
	v_mov_b32_e32 v44, v11
	v_mov_b32_e32 v45, v37
	s_and_saveexec_b64 s[90:91], s[20:21]
	s_cbranch_execz .LBB2_822
; %bb.821:                              ;   in Loop: Header=BB2_676 Depth=2
	v_and_b32_e32 v3, 3, v11
	v_and_b32_e32 v30, 0x7c, v11
	v_cmp_eq_u32_e32 vcc, s53, v30
	v_ffbh_u32_e32 v30, v3
	v_min_u32_e32 v30, 32, v30
	v_subrev_u32_e32 v34, 29, v30
	v_lshlrev_b64 v[34:35], v34, v[44:45]
	v_bfe_u32 v25, v11, 2, 5
	v_cmp_eq_u32_e64 s[20:21], 0, v25
	v_sub_u32_e32 v30, 30, v30
	v_and_b32_e32 v34, 3, v34
	v_cndmask_b32_e64 v25, v25, v30, s[20:21]
	v_cndmask_b32_e64 v30, v3, v34, s[20:21]
	v_lshlrev_b32_e32 v34, 24, v11
	v_and_b32_e32 v34, 0x80000000, v34
	v_lshl_add_u32 v25, v25, 23, v34
	v_cmp_gt_i16_sdwa s[22:23], sext(v11), v20 src0_sel:BYTE_0 src1_sel:DWORD
	v_lshl_or_b32 v25, v30, 21, v25
	v_cmp_eq_u32_e64 s[20:21], 0, v3
	v_cndmask_b32_e64 v3, v21, v61, s[22:23]
	v_add_u32_e32 v25, 0x38000000, v25
	v_cndmask_b32_e64 v3, v2, v3, s[20:21]
	v_cndmask_b32_e32 v3, v25, v3, vcc
.LBB2_822:                              ;   in Loop: Header=BB2_676 Depth=2
	s_or_b64 exec, exec, s[90:91]
	v_mul_f32_e32 v25, v24, v3
	v_and_b32_e32 v34, 0x7f800000, v25
	v_mov_b32_e32 v35, v37
	v_cmp_ne_u64_e32 vcc, s[60:61], v[34:35]
	v_and_b32_e32 v45, 0x7fffff, v25
	v_mov_b32_e32 v46, v37
                                        ; implicit-def: $vgpr47
	s_and_saveexec_b64 s[20:21], vcc
	s_xor_b64 s[22:23], exec, s[20:21]
	s_cbranch_execz .LBB2_836
; %bb.823:                              ;   in Loop: Header=BB2_676 Depth=2
	v_and_b32_e32 v34, 0x7fffffff, v25
	v_mov_b32_e32 v35, v37
	v_cmp_gt_u64_e32 vcc, s[62:63], v[34:35]
	v_and_b32_sdwa v24, v25, s64 dst_sel:DWORD dst_unused:UNUSED_PAD src0_sel:BYTE_3 src1_sel:DWORD
                                        ; implicit-def: $vgpr47
	s_and_saveexec_b64 s[20:21], vcc
	s_xor_b64 s[90:91], exec, s[20:21]
	s_cbranch_execz .LBB2_833
; %bb.824:                              ;   in Loop: Header=BB2_676 Depth=2
	v_mov_b32_e32 v47, 0
	v_cmp_ne_u32_e32 vcc, 0, v25
	s_and_saveexec_b64 s[92:93], vcc
	s_cbranch_execz .LBB2_832
; %bb.825:                              ;   in Loop: Header=BB2_676 Depth=2
	v_bfe_u32 v3, v25, 23, 8
	v_cmp_gt_u32_e64 s[20:21], s65, v3
	v_sub_u32_e32 v25, 0x71, v3
	v_cmp_eq_u32_e32 vcc, 0, v3
	v_cndmask_b32_e64 v25, 0, v25, s[20:21]
	v_mov_b32_e32 v34, 0x70
	v_or_b32_e32 v30, 0x800000, v45
	v_cndmask_b32_e32 v25, v25, v34, vcc
	v_cndmask_b32_e32 v45, v30, v45, vcc
	v_add_u32_e32 v30, 21, v25
	v_lshlrev_b64 v[34:35], v30, -1
	v_add_u32_e32 v30, 20, v25
	v_bfi_b32 v34, v34, 0, v45
	v_lshlrev_b64 v[52:53], v30, 1
	v_lshrrev_b64 v[45:46], v25, v[45:46]
	v_bfi_b32 v35, v35, 0, 0
	v_cmp_eq_u64_e64 s[20:21], v[34:35], v[52:53]
	v_mov_b32_e32 v47, v46
	v_mov_b32_e32 v46, v45
	s_and_saveexec_b64 s[94:95], s[20:21]
; %bb.826:                              ;   in Loop: Header=BB2_676 Depth=2
	v_bfe_u32 v30, v45, 21, 1
	v_add_co_u32_e64 v30, s[20:21], v45, v30
	v_add_co_u32_e64 v46, s[20:21], -1, v30
; %bb.827:                              ;   in Loop: Header=BB2_676 Depth=2
	s_or_b64 exec, exec, s[94:95]
	v_add_u32_e32 v3, 0xffffff81, v3
	v_mov_b32_e32 v30, 0xffffff82
	v_cndmask_b32_e32 v3, v3, v30, vcc
	v_lshrrev_b32_e32 v30, 23, v45
	v_add3_u32 v30, v25, v3, v30
	v_add_u32_e32 v25, 14, v30
	v_and_b32_e32 v3, 0x1fffff, v46
	v_add_u32_e32 v45, v3, v45
	v_mov_b32_e32 v46, v37
	v_cmp_ne_u32_e32 vcc, 0, v25
                                        ; implicit-def: $vgpr3
	s_and_saveexec_b64 s[20:21], vcc
	s_xor_b64 s[20:21], exec, s[20:21]
; %bb.828:                              ;   in Loop: Header=BB2_676 Depth=2
	v_cmp_lt_u64_e32 vcc, s[72:73], v[45:46]
	v_add_u32_e32 v3, 15, v30
	v_cndmask_b32_e32 v3, v25, v3, vcc
	v_cndmask_b32_e64 v25, 0, 1, vcc
	v_lshrrev_b64 v[45:46], v25, v[45:46]
; %bb.829:                              ;   in Loop: Header=BB2_676 Depth=2
	s_andn2_saveexec_b64 s[20:21], s[20:21]
; %bb.830:                              ;   in Loop: Header=BB2_676 Depth=2
	v_bfe_u32 v3, v45, 23, 1
; %bb.831:                              ;   in Loop: Header=BB2_676 Depth=2
	s_or_b64 exec, exec, s[20:21]
	v_lshrrev_b64 v[34:35], 21, v[45:46]
	v_cmp_gt_i32_e32 vcc, 32, v3
	v_cndmask_b32_e32 v35, 0, v35, vcc
	v_cndmask_b32_e32 v34, 3, v34, vcc
	v_cmp_eq_u32_e32 vcc, 0, v3
	v_min_i32_e32 v3, 31, v3
	v_cmp_eq_u64_e64 s[20:21], 0, v[34:35]
	v_lshlrev_b32_e32 v3, 2, v3
	v_and_b32_e32 v3, 0xfc, v3
	v_and_or_b32 v3, v34, 3, v3
	s_and_b64 s[20:21], vcc, s[20:21]
	v_cndmask_b32_e64 v3, v3, 0, s[20:21]
	v_or_b32_e32 v47, v3, v24
.LBB2_832:                              ;   in Loop: Header=BB2_676 Depth=2
	s_or_b64 exec, exec, s[92:93]
                                        ; implicit-def: $vgpr24
.LBB2_833:                              ;   in Loop: Header=BB2_676 Depth=2
	s_andn2_saveexec_b64 s[20:21], s[90:91]
; %bb.834:                              ;   in Loop: Header=BB2_676 Depth=2
	v_or_b32_e32 v47, 0x7b, v24
; %bb.835:                              ;   in Loop: Header=BB2_676 Depth=2
	s_or_b64 exec, exec, s[20:21]
                                        ; implicit-def: $vgpr25
                                        ; implicit-def: $vgpr45_vgpr46
.LBB2_836:                              ;   in Loop: Header=BB2_676 Depth=2
	s_andn2_saveexec_b64 s[20:21], s[22:23]
	s_cbranch_execz .LBB2_842
; %bb.837:                              ;   in Loop: Header=BB2_676 Depth=2
	v_cmp_ne_u64_e32 vcc, 0, v[45:46]
                                        ; implicit-def: $vgpr47
	s_and_saveexec_b64 s[22:23], vcc
	s_xor_b64 s[22:23], exec, s[22:23]
; %bb.838:                              ;   in Loop: Header=BB2_676 Depth=2
	v_or_b32_sdwa v47, v25, s55 dst_sel:DWORD dst_unused:UNUSED_PAD src0_sel:BYTE_3 src1_sel:DWORD
                                        ; implicit-def: $vgpr25
; %bb.839:                              ;   in Loop: Header=BB2_676 Depth=2
	s_andn2_saveexec_b64 s[22:23], s[22:23]
; %bb.840:                              ;   in Loop: Header=BB2_676 Depth=2
	v_cmp_lt_i32_e32 vcc, -1, v25
	v_bfrev_b32_e32 v3, 0.5
	v_cndmask_b32_e32 v47, v3, v19, vcc
; %bb.841:                              ;   in Loop: Header=BB2_676 Depth=2
	s_or_b64 exec, exec, s[22:23]
.LBB2_842:                              ;   in Loop: Header=BB2_676 Depth=2
	s_or_b64 exec, exec, s[20:21]
	v_lshrrev_b16_e32 v45, 8, v36
	v_cmp_ne_u16_e32 vcc, 0, v45
	v_mov_b32_e32 v24, 0
	s_and_saveexec_b64 s[20:21], vcc
	s_cbranch_execz .LBB2_850
; %bb.843:                              ;   in Loop: Header=BB2_676 Depth=2
	v_cmp_ne_u16_e32 vcc, s64, v45
	v_bfrev_b32_e32 v24, 1
	s_and_saveexec_b64 s[22:23], vcc
	s_cbranch_execz .LBB2_849
; %bb.844:                              ;   in Loop: Header=BB2_676 Depth=2
	v_and_b32_e32 v24, 0x7c, v45
	v_and_b32_e32 v3, 3, v45
	v_cmp_ne_u32_e32 vcc, s53, v24
                                        ; implicit-def: $vgpr24
	s_and_saveexec_b64 s[90:91], vcc
	s_xor_b64 s[90:91], exec, s[90:91]
	s_cbranch_execz .LBB2_846
; %bb.845:                              ;   in Loop: Header=BB2_676 Depth=2
	v_ffbh_u32_e32 v24, v3
	v_min_u32_e32 v34, 32, v24
	v_mov_b32_e32 v46, v37
	v_subrev_u32_e32 v24, 29, v34
	v_lshlrev_b64 v[24:25], v24, v[45:46]
	v_bfe_u32 v30, v45, 2, 5
	v_and_b32_e32 v24, 3, v24
	v_cmp_eq_u32_e32 vcc, 0, v30
	v_sub_u32_e32 v25, 30, v34
	v_cndmask_b32_e32 v3, v3, v24, vcc
	v_lshlrev_b32_e32 v24, 16, v36
	v_cndmask_b32_e32 v25, v30, v25, vcc
	v_and_b32_e32 v24, 0x80000000, v24
	v_lshl_add_u32 v24, v25, 23, v24
	v_lshl_or_b32 v3, v3, 21, v24
	v_add_u32_e32 v24, 0x38000000, v3
                                        ; implicit-def: $vgpr3
.LBB2_846:                              ;   in Loop: Header=BB2_676 Depth=2
	s_andn2_saveexec_b64 s[90:91], s[90:91]
; %bb.847:                              ;   in Loop: Header=BB2_676 Depth=2
	v_cmp_lt_i16_e32 vcc, -1, v36
	v_cndmask_b32_e32 v24, v21, v61, vcc
	v_cmp_eq_u32_e32 vcc, 0, v3
	v_cndmask_b32_e32 v24, v2, v24, vcc
; %bb.848:                              ;   in Loop: Header=BB2_676 Depth=2
	s_or_b64 exec, exec, s[90:91]
.LBB2_849:                              ;   in Loop: Header=BB2_676 Depth=2
	s_or_b64 exec, exec, s[22:23]
.LBB2_850:                              ;   in Loop: Header=BB2_676 Depth=2
	s_or_b64 exec, exec, s[20:21]
	v_lshrrev_b16_e32 v36, 8, v44
	v_cmp_lt_i16_e32 vcc, s55, v36
	s_mov_b64 s[20:21], 0
	s_and_saveexec_b64 s[22:23], vcc
	s_xor_b64 s[22:23], exec, s[22:23]
	s_cbranch_execz .LBB2_1205
; %bb.851:                              ;   in Loop: Header=BB2_676 Depth=2
	v_cmp_eq_u16_e32 vcc, s64, v36
	s_mov_b64 s[20:21], -1
	s_and_saveexec_b64 s[90:91], vcc
; %bb.852:                              ;   in Loop: Header=BB2_676 Depth=2
	s_xor_b64 s[20:21], exec, -1
; %bb.853:                              ;   in Loop: Header=BB2_676 Depth=2
	s_or_b64 exec, exec, s[90:91]
	s_and_b64 s[20:21], s[20:21], exec
	s_or_saveexec_b64 s[22:23], s[22:23]
	v_bfrev_b32_e32 v3, 1
	s_xor_b64 exec, exec, s[22:23]
	s_cbranch_execnz .LBB2_1206
.LBB2_854:                              ;   in Loop: Header=BB2_676 Depth=2
	s_or_b64 exec, exec, s[22:23]
	s_and_saveexec_b64 s[90:91], s[20:21]
	s_cbranch_execz .LBB2_856
.LBB2_855:                              ;   in Loop: Header=BB2_676 Depth=2
	v_and_b32_e32 v3, 3, v36
	v_and_b32_e32 v30, 0x7c, v36
	v_cmp_eq_u32_e32 vcc, s53, v30
	v_ffbh_u32_e32 v30, v3
	v_min_u32_e32 v30, 32, v30
	v_subrev_u32_e32 v34, 29, v30
	v_lshlrev_b64 v[34:35], v34, v[36:37]
	v_bfe_u32 v25, v36, 2, 5
	v_cmp_eq_u32_e64 s[20:21], 0, v25
	v_sub_u32_e32 v30, 30, v30
	v_and_b32_e32 v34, 3, v34
	v_cndmask_b32_e64 v25, v25, v30, s[20:21]
	v_cndmask_b32_e64 v30, v3, v34, s[20:21]
	v_lshlrev_b32_e32 v34, 24, v36
	v_and_b32_e32 v34, 0x80000000, v34
	v_lshl_add_u32 v25, v25, 23, v34
	v_cmp_lt_i16_e64 s[22:23], -1, v44
	v_lshl_or_b32 v25, v30, 21, v25
	v_cmp_eq_u32_e64 s[20:21], 0, v3
	v_cndmask_b32_e64 v3, v21, v61, s[22:23]
	v_add_u32_e32 v25, 0x38000000, v25
	v_cndmask_b32_e64 v3, v2, v3, s[20:21]
	v_cndmask_b32_e32 v3, v25, v3, vcc
.LBB2_856:                              ;   in Loop: Header=BB2_676 Depth=2
	s_or_b64 exec, exec, s[90:91]
	v_mul_f32_e32 v25, v24, v3
	v_and_b32_e32 v34, 0x7f800000, v25
	v_mov_b32_e32 v35, v37
	v_cmp_ne_u64_e32 vcc, s[60:61], v[34:35]
	v_and_b32_e32 v36, 0x7fffff, v25
                                        ; implicit-def: $vgpr59
	s_and_saveexec_b64 s[20:21], vcc
	s_xor_b64 s[22:23], exec, s[20:21]
	s_cbranch_execz .LBB2_870
; %bb.857:                              ;   in Loop: Header=BB2_676 Depth=2
	v_and_b32_e32 v34, 0x7fffffff, v25
	v_mov_b32_e32 v35, v37
	v_cmp_gt_u64_e32 vcc, s[62:63], v[34:35]
	v_and_b32_sdwa v24, v25, s64 dst_sel:DWORD dst_unused:UNUSED_PAD src0_sel:BYTE_3 src1_sel:DWORD
                                        ; implicit-def: $vgpr59
	s_and_saveexec_b64 s[20:21], vcc
	s_xor_b64 s[90:91], exec, s[20:21]
	s_cbranch_execz .LBB2_867
; %bb.858:                              ;   in Loop: Header=BB2_676 Depth=2
	v_mov_b32_e32 v59, 0
	v_cmp_ne_u32_e32 vcc, 0, v25
	s_and_saveexec_b64 s[92:93], vcc
	s_cbranch_execz .LBB2_866
; %bb.859:                              ;   in Loop: Header=BB2_676 Depth=2
	v_bfe_u32 v3, v25, 23, 8
	v_cmp_gt_u32_e64 s[20:21], s65, v3
	v_sub_u32_e32 v25, 0x71, v3
	v_cmp_eq_u32_e32 vcc, 0, v3
	v_cndmask_b32_e64 v25, 0, v25, s[20:21]
	v_mov_b32_e32 v34, 0x70
	v_or_b32_e32 v30, 0x800000, v36
	v_cndmask_b32_e32 v25, v25, v34, vcc
	v_cndmask_b32_e32 v36, v30, v36, vcc
	v_add_u32_e32 v30, 21, v25
	v_lshlrev_b64 v[34:35], v30, -1
	v_add_u32_e32 v30, 20, v25
	v_lshlrev_b64 v[52:53], v30, 1
	v_lshrrev_b64 v[44:45], v25, v[36:37]
	v_bfi_b32 v35, v35, 0, 0
	v_bfi_b32 v34, v34, 0, v36
	v_cmp_eq_u64_e64 s[20:21], v[34:35], v[52:53]
	v_mov_b32_e32 v46, v45
	v_mov_b32_e32 v45, v44
	s_and_saveexec_b64 s[94:95], s[20:21]
; %bb.860:                              ;   in Loop: Header=BB2_676 Depth=2
	v_bfe_u32 v30, v44, 21, 1
	v_add_co_u32_e64 v30, s[20:21], v44, v30
	v_add_co_u32_e64 v45, s[20:21], -1, v30
; %bb.861:                              ;   in Loop: Header=BB2_676 Depth=2
	s_or_b64 exec, exec, s[94:95]
	v_add_u32_e32 v3, 0xffffff81, v3
	v_mov_b32_e32 v30, 0xffffff82
	v_cndmask_b32_e32 v3, v3, v30, vcc
	v_lshrrev_b32_e32 v30, 23, v44
	v_add3_u32 v30, v25, v3, v30
	v_add_u32_e32 v25, 14, v30
	v_and_b32_e32 v3, 0x1fffff, v45
	v_add_u32_e32 v36, v3, v44
	v_cmp_ne_u32_e32 vcc, 0, v25
                                        ; implicit-def: $vgpr44_vgpr45
                                        ; implicit-def: $vgpr3
	s_and_saveexec_b64 s[20:21], vcc
	s_xor_b64 s[20:21], exec, s[20:21]
; %bb.862:                              ;   in Loop: Header=BB2_676 Depth=2
	v_cmp_lt_u64_e32 vcc, s[72:73], v[36:37]
	v_add_u32_e32 v3, 15, v30
	v_cndmask_b32_e32 v3, v25, v3, vcc
	v_cndmask_b32_e64 v25, 0, 1, vcc
	v_lshrrev_b64 v[44:45], v25, v[36:37]
; %bb.863:                              ;   in Loop: Header=BB2_676 Depth=2
	s_andn2_saveexec_b64 s[20:21], s[20:21]
; %bb.864:                              ;   in Loop: Header=BB2_676 Depth=2
	v_mov_b32_e32 v45, v37
	v_bfe_u32 v3, v36, 23, 1
	v_mov_b32_e32 v44, v36
; %bb.865:                              ;   in Loop: Header=BB2_676 Depth=2
	s_or_b64 exec, exec, s[20:21]
	v_lshrrev_b64 v[34:35], 21, v[44:45]
	v_cmp_gt_i32_e32 vcc, 32, v3
	v_cndmask_b32_e32 v35, 0, v35, vcc
	v_cndmask_b32_e32 v34, 3, v34, vcc
	v_cmp_eq_u32_e32 vcc, 0, v3
	v_min_i32_e32 v3, 31, v3
	v_cmp_eq_u64_e64 s[20:21], 0, v[34:35]
	v_lshlrev_b32_e32 v3, 2, v3
	v_and_b32_e32 v3, 0xfc, v3
	v_and_or_b32 v3, v34, 3, v3
	s_and_b64 s[20:21], vcc, s[20:21]
	v_cndmask_b32_e64 v3, v3, 0, s[20:21]
	v_or_b32_e32 v59, v3, v24
.LBB2_866:                              ;   in Loop: Header=BB2_676 Depth=2
	s_or_b64 exec, exec, s[92:93]
                                        ; implicit-def: $vgpr24
.LBB2_867:                              ;   in Loop: Header=BB2_676 Depth=2
	s_andn2_saveexec_b64 s[20:21], s[90:91]
; %bb.868:                              ;   in Loop: Header=BB2_676 Depth=2
	v_or_b32_e32 v59, 0x7b, v24
; %bb.869:                              ;   in Loop: Header=BB2_676 Depth=2
	s_or_b64 exec, exec, s[20:21]
                                        ; implicit-def: $vgpr25
.LBB2_870:                              ;   in Loop: Header=BB2_676 Depth=2
	s_andn2_saveexec_b64 s[20:21], s[22:23]
	s_cbranch_execz .LBB2_876
; %bb.871:                              ;   in Loop: Header=BB2_676 Depth=2
	v_cmp_ne_u64_e32 vcc, 0, v[36:37]
                                        ; implicit-def: $vgpr59
	s_and_saveexec_b64 s[22:23], vcc
	s_xor_b64 s[22:23], exec, s[22:23]
; %bb.872:                              ;   in Loop: Header=BB2_676 Depth=2
	v_or_b32_sdwa v59, v25, s55 dst_sel:DWORD dst_unused:UNUSED_PAD src0_sel:BYTE_3 src1_sel:DWORD
                                        ; implicit-def: $vgpr25
; %bb.873:                              ;   in Loop: Header=BB2_676 Depth=2
	s_andn2_saveexec_b64 s[22:23], s[22:23]
; %bb.874:                              ;   in Loop: Header=BB2_676 Depth=2
	v_cmp_lt_i32_e32 vcc, -1, v25
	v_bfrev_b32_e32 v3, 0.5
	v_cndmask_b32_e32 v59, v3, v19, vcc
; %bb.875:                              ;   in Loop: Header=BB2_676 Depth=2
	s_or_b64 exec, exec, s[22:23]
.LBB2_876:                              ;   in Loop: Header=BB2_676 Depth=2
	s_or_b64 exec, exec, s[20:21]
	v_lshrrev_b32_e32 v30, 16, v15
	v_cmp_ne_u16_sdwa s[22:23], v30, v37 src0_sel:BYTE_0 src1_sel:DWORD
	v_mov_b32_e32 v24, 0
	s_and_saveexec_b64 s[20:21], s[22:23]
	s_cbranch_execz .LBB2_884
; %bb.877:                              ;   in Loop: Header=BB2_676 Depth=2
	v_cmp_ne_u16_sdwa s[90:91], v30, s64 src0_sel:BYTE_0 src1_sel:DWORD
	v_bfrev_b32_e32 v24, 1
	s_and_saveexec_b64 s[22:23], s[90:91]
	s_cbranch_execz .LBB2_883
; %bb.878:                              ;   in Loop: Header=BB2_676 Depth=2
	v_and_b32_e32 v24, 0x7c0000, v15
	v_bfe_u32 v3, v15, 16, 2
	v_cmp_ne_u32_e32 vcc, s66, v24
                                        ; implicit-def: $vgpr24
	s_and_saveexec_b64 s[90:91], vcc
	s_xor_b64 s[90:91], exec, s[90:91]
	s_cbranch_execz .LBB2_880
; %bb.879:                              ;   in Loop: Header=BB2_676 Depth=2
	v_ffbh_u32_e32 v24, v3
	v_min_u32_e32 v35, 32, v24
	v_subrev_u32_e32 v24, 29, v35
	v_lshlrev_b64 v[24:25], v24, v[30:31]
	v_bfe_u32 v34, v15, 18, 5
	v_and_b32_e32 v24, 3, v24
	v_cmp_eq_u32_e32 vcc, 0, v34
	v_sub_u32_e32 v25, 30, v35
	v_cndmask_b32_e32 v3, v3, v24, vcc
	v_lshlrev_b32_e32 v24, 8, v15
	v_cndmask_b32_e32 v25, v34, v25, vcc
	v_and_b32_e32 v24, 0x80000000, v24
	v_lshl_add_u32 v24, v25, 23, v24
	v_lshl_or_b32 v3, v3, 21, v24
	v_add_u32_e32 v24, 0x38000000, v3
                                        ; implicit-def: $vgpr3
                                        ; implicit-def: $vgpr30
.LBB2_880:                              ;   in Loop: Header=BB2_676 Depth=2
	s_andn2_saveexec_b64 s[90:91], s[90:91]
; %bb.881:                              ;   in Loop: Header=BB2_676 Depth=2
	v_cmp_gt_i16_sdwa vcc, sext(v30), v20 src0_sel:BYTE_0 src1_sel:DWORD
	v_cndmask_b32_e32 v24, v21, v61, vcc
	v_cmp_eq_u32_e32 vcc, 0, v3
	v_cndmask_b32_e32 v24, v2, v24, vcc
; %bb.882:                              ;   in Loop: Header=BB2_676 Depth=2
	s_or_b64 exec, exec, s[90:91]
.LBB2_883:                              ;   in Loop: Header=BB2_676 Depth=2
	s_or_b64 exec, exec, s[22:23]
.LBB2_884:                              ;   in Loop: Header=BB2_676 Depth=2
	s_or_b64 exec, exec, s[20:21]
	v_lshrrev_b32_e32 v30, 16, v11
	v_cmp_gt_i16_sdwa s[22:23], v30, s55 src0_sel:BYTE_0 src1_sel:DWORD
	s_mov_b64 s[20:21], 0
	s_and_saveexec_b64 s[90:91], s[22:23]
	s_xor_b64 s[22:23], exec, s[90:91]
	s_cbranch_execz .LBB2_1207
; %bb.885:                              ;   in Loop: Header=BB2_676 Depth=2
	v_cmp_eq_u16_sdwa s[92:93], v30, s64 src0_sel:BYTE_0 src1_sel:DWORD
	s_mov_b64 s[20:21], -1
	s_and_saveexec_b64 s[90:91], s[92:93]
; %bb.886:                              ;   in Loop: Header=BB2_676 Depth=2
	s_xor_b64 s[20:21], exec, -1
; %bb.887:                              ;   in Loop: Header=BB2_676 Depth=2
	s_or_b64 exec, exec, s[90:91]
	s_and_b64 s[20:21], s[20:21], exec
	s_or_saveexec_b64 s[22:23], s[22:23]
	v_bfrev_b32_e32 v3, 1
	s_xor_b64 exec, exec, s[22:23]
	s_cbranch_execnz .LBB2_1208
.LBB2_888:                              ;   in Loop: Header=BB2_676 Depth=2
	s_or_b64 exec, exec, s[22:23]
	s_and_saveexec_b64 s[90:91], s[20:21]
	s_cbranch_execz .LBB2_890
.LBB2_889:                              ;   in Loop: Header=BB2_676 Depth=2
	v_and_b32_e32 v3, 3, v30
	v_and_b32_e32 v34, 0x7c0000, v11
	v_cmp_eq_u32_e32 vcc, s66, v34
	v_ffbh_u32_e32 v34, v3
	v_min_u32_e32 v36, 32, v34
	v_subrev_u32_e32 v34, 29, v36
	v_bfe_u32 v25, v11, 18, 5
	v_lshlrev_b64 v[34:35], v34, v[30:31]
	v_cmp_eq_u32_e64 s[20:21], 0, v25
	v_sub_u32_e32 v35, 30, v36
	v_cndmask_b32_e64 v25, v25, v35, s[20:21]
	v_lshlrev_b32_e32 v35, 24, v30
	v_and_b32_e32 v34, 3, v34
	v_and_b32_e32 v35, 0x80000000, v35
	v_cndmask_b32_e64 v34, v3, v34, s[20:21]
	v_lshl_add_u32 v25, v25, 23, v35
	v_cmp_gt_i16_sdwa s[22:23], sext(v30), v20 src0_sel:BYTE_0 src1_sel:DWORD
	v_lshl_or_b32 v25, v34, 21, v25
	v_cmp_eq_u32_e64 s[20:21], 0, v3
	v_cndmask_b32_e64 v3, v21, v61, s[22:23]
	v_add_u32_e32 v25, 0x38000000, v25
	v_cndmask_b32_e64 v3, v2, v3, s[20:21]
	v_cndmask_b32_e32 v3, v25, v3, vcc
.LBB2_890:                              ;   in Loop: Header=BB2_676 Depth=2
	s_or_b64 exec, exec, s[90:91]
	v_mul_f32_e32 v25, v24, v3
	v_and_b32_e32 v34, 0x7f800000, v25
	v_mov_b32_e32 v35, v37
	v_cmp_ne_u64_e32 vcc, s[60:61], v[34:35]
	v_and_b32_e32 v36, 0x7fffff, v25
                                        ; implicit-def: $vgpr46
	s_and_saveexec_b64 s[20:21], vcc
	s_xor_b64 s[22:23], exec, s[20:21]
	s_cbranch_execz .LBB2_904
; %bb.891:                              ;   in Loop: Header=BB2_676 Depth=2
	v_and_b32_e32 v34, 0x7fffffff, v25
	v_mov_b32_e32 v35, v37
	v_cmp_gt_u64_e32 vcc, s[62:63], v[34:35]
	v_and_b32_sdwa v24, v25, s64 dst_sel:DWORD dst_unused:UNUSED_PAD src0_sel:BYTE_3 src1_sel:DWORD
                                        ; implicit-def: $vgpr46
	s_and_saveexec_b64 s[20:21], vcc
	s_xor_b64 s[90:91], exec, s[20:21]
	s_cbranch_execz .LBB2_901
; %bb.892:                              ;   in Loop: Header=BB2_676 Depth=2
	v_mov_b32_e32 v46, 0
	v_cmp_ne_u32_e32 vcc, 0, v25
	s_and_saveexec_b64 s[92:93], vcc
	s_cbranch_execz .LBB2_900
; %bb.893:                              ;   in Loop: Header=BB2_676 Depth=2
	v_bfe_u32 v3, v25, 23, 8
	v_cmp_gt_u32_e64 s[20:21], s65, v3
	v_sub_u32_e32 v25, 0x71, v3
	v_cmp_eq_u32_e32 vcc, 0, v3
	v_cndmask_b32_e64 v25, 0, v25, s[20:21]
	v_mov_b32_e32 v34, 0x70
	v_or_b32_e32 v30, 0x800000, v36
	v_cndmask_b32_e32 v25, v25, v34, vcc
	v_cndmask_b32_e32 v36, v30, v36, vcc
	v_add_u32_e32 v30, 21, v25
	v_lshlrev_b64 v[34:35], v30, -1
	v_add_u32_e32 v30, 20, v25
	v_lshlrev_b64 v[52:53], v30, 1
	v_lshrrev_b64 v[44:45], v25, v[36:37]
	v_bfi_b32 v35, v35, 0, 0
	v_bfi_b32 v34, v34, 0, v36
	v_cmp_eq_u64_e64 s[20:21], v[34:35], v[52:53]
	v_mov_b32_e32 v46, v45
	v_mov_b32_e32 v45, v44
	s_and_saveexec_b64 s[94:95], s[20:21]
; %bb.894:                              ;   in Loop: Header=BB2_676 Depth=2
	v_bfe_u32 v30, v44, 21, 1
	v_add_co_u32_e64 v30, s[20:21], v44, v30
	v_add_co_u32_e64 v45, s[20:21], -1, v30
; %bb.895:                              ;   in Loop: Header=BB2_676 Depth=2
	s_or_b64 exec, exec, s[94:95]
	v_add_u32_e32 v3, 0xffffff81, v3
	v_mov_b32_e32 v30, 0xffffff82
	v_cndmask_b32_e32 v3, v3, v30, vcc
	v_lshrrev_b32_e32 v30, 23, v44
	v_add3_u32 v30, v25, v3, v30
	v_add_u32_e32 v25, 14, v30
	v_and_b32_e32 v3, 0x1fffff, v45
	v_add_u32_e32 v36, v3, v44
	v_cmp_ne_u32_e32 vcc, 0, v25
                                        ; implicit-def: $vgpr44_vgpr45
                                        ; implicit-def: $vgpr3
	s_and_saveexec_b64 s[20:21], vcc
	s_xor_b64 s[20:21], exec, s[20:21]
; %bb.896:                              ;   in Loop: Header=BB2_676 Depth=2
	v_cmp_lt_u64_e32 vcc, s[72:73], v[36:37]
	v_add_u32_e32 v3, 15, v30
	v_cndmask_b32_e32 v3, v25, v3, vcc
	v_cndmask_b32_e64 v25, 0, 1, vcc
	v_lshrrev_b64 v[44:45], v25, v[36:37]
; %bb.897:                              ;   in Loop: Header=BB2_676 Depth=2
	s_andn2_saveexec_b64 s[20:21], s[20:21]
; %bb.898:                              ;   in Loop: Header=BB2_676 Depth=2
	v_mov_b32_e32 v45, v37
	v_bfe_u32 v3, v36, 23, 1
	v_mov_b32_e32 v44, v36
; %bb.899:                              ;   in Loop: Header=BB2_676 Depth=2
	s_or_b64 exec, exec, s[20:21]
	v_lshrrev_b64 v[34:35], 21, v[44:45]
	v_cmp_gt_i32_e32 vcc, 32, v3
	v_cndmask_b32_e32 v35, 0, v35, vcc
	v_cndmask_b32_e32 v34, 3, v34, vcc
	v_cmp_eq_u32_e32 vcc, 0, v3
	v_min_i32_e32 v3, 31, v3
	v_cmp_eq_u64_e64 s[20:21], 0, v[34:35]
	v_lshlrev_b32_e32 v3, 2, v3
	v_and_b32_e32 v3, 0xfc, v3
	v_and_or_b32 v3, v34, 3, v3
	s_and_b64 s[20:21], vcc, s[20:21]
	v_cndmask_b32_e64 v3, v3, 0, s[20:21]
	v_or_b32_e32 v46, v3, v24
.LBB2_900:                              ;   in Loop: Header=BB2_676 Depth=2
	s_or_b64 exec, exec, s[92:93]
                                        ; implicit-def: $vgpr24
.LBB2_901:                              ;   in Loop: Header=BB2_676 Depth=2
	s_andn2_saveexec_b64 s[20:21], s[90:91]
; %bb.902:                              ;   in Loop: Header=BB2_676 Depth=2
	v_or_b32_e32 v46, 0x7b, v24
; %bb.903:                              ;   in Loop: Header=BB2_676 Depth=2
	s_or_b64 exec, exec, s[20:21]
                                        ; implicit-def: $vgpr25
.LBB2_904:                              ;   in Loop: Header=BB2_676 Depth=2
	s_andn2_saveexec_b64 s[20:21], s[22:23]
	s_cbranch_execz .LBB2_910
; %bb.905:                              ;   in Loop: Header=BB2_676 Depth=2
	v_cmp_ne_u64_e32 vcc, 0, v[36:37]
                                        ; implicit-def: $vgpr46
	s_and_saveexec_b64 s[22:23], vcc
	s_xor_b64 s[22:23], exec, s[22:23]
; %bb.906:                              ;   in Loop: Header=BB2_676 Depth=2
	v_or_b32_sdwa v46, v25, s55 dst_sel:DWORD dst_unused:UNUSED_PAD src0_sel:BYTE_3 src1_sel:DWORD
                                        ; implicit-def: $vgpr25
; %bb.907:                              ;   in Loop: Header=BB2_676 Depth=2
	s_andn2_saveexec_b64 s[22:23], s[22:23]
; %bb.908:                              ;   in Loop: Header=BB2_676 Depth=2
	v_cmp_lt_i32_e32 vcc, -1, v25
	v_bfrev_b32_e32 v3, 0.5
	v_cndmask_b32_e32 v46, v3, v19, vcc
; %bb.909:                              ;   in Loop: Header=BB2_676 Depth=2
	s_or_b64 exec, exec, s[22:23]
.LBB2_910:                              ;   in Loop: Header=BB2_676 Depth=2
	s_or_b64 exec, exec, s[20:21]
	v_cmp_lt_u64_e32 vcc, s[58:59], v[14:15]
	v_mov_b32_e32 v24, 0
	s_and_saveexec_b64 s[20:21], vcc
	s_cbranch_execz .LBB2_918
; %bb.911:                              ;   in Loop: Header=BB2_676 Depth=2
	v_lshrrev_b32_e32 v30, 24, v15
	v_cmp_ne_u32_e32 vcc, s64, v30
	v_bfrev_b32_e32 v24, 1
	s_and_saveexec_b64 s[22:23], vcc
	s_cbranch_execz .LBB2_917
; %bb.912:                              ;   in Loop: Header=BB2_676 Depth=2
	v_and_b32_e32 v24, 0x7c000000, v15
	v_bfe_u32 v3, v15, 24, 2
	v_cmp_ne_u32_e32 vcc, s67, v24
                                        ; implicit-def: $vgpr24
	s_and_saveexec_b64 s[90:91], vcc
	s_xor_b64 s[90:91], exec, s[90:91]
	s_cbranch_execz .LBB2_914
; %bb.913:                              ;   in Loop: Header=BB2_676 Depth=2
	v_ffbh_u32_e32 v24, v3
	v_min_u32_e32 v35, 32, v24
	v_subrev_u32_e32 v24, 29, v35
	v_lshlrev_b64 v[24:25], v24, v[30:31]
	v_bfe_u32 v34, v15, 26, 5
	v_sub_u32_e32 v25, 30, v35
	v_and_b32_e32 v24, 3, v24
	v_cmp_eq_u32_e32 vcc, 0, v34
	v_cndmask_b32_e32 v25, v34, v25, vcc
	v_cndmask_b32_e32 v3, v3, v24, vcc
	v_and_b32_e32 v24, 0x80000000, v15
	v_lshl_add_u32 v24, v25, 23, v24
	v_lshl_or_b32 v3, v3, 21, v24
	v_add_u32_e32 v24, 0x38000000, v3
                                        ; implicit-def: $vgpr3
.LBB2_914:                              ;   in Loop: Header=BB2_676 Depth=2
	s_andn2_saveexec_b64 s[90:91], s[90:91]
; %bb.915:                              ;   in Loop: Header=BB2_676 Depth=2
	v_cmp_lt_i64_e32 vcc, -1, v[14:15]
	v_cndmask_b32_e32 v14, v21, v61, vcc
	v_cmp_eq_u32_e32 vcc, 0, v3
	v_cndmask_b32_e32 v24, v2, v14, vcc
; %bb.916:                              ;   in Loop: Header=BB2_676 Depth=2
	s_or_b64 exec, exec, s[90:91]
.LBB2_917:                              ;   in Loop: Header=BB2_676 Depth=2
	s_or_b64 exec, exec, s[22:23]
.LBB2_918:                              ;   in Loop: Header=BB2_676 Depth=2
	s_or_b64 exec, exec, s[20:21]
	v_bfe_u32 v25, v11, 24, 2
	v_and_b32_e32 v14, 0x7c000000, v11
	v_cmp_eq_u32_e32 vcc, s67, v14
	v_ffbh_u32_e32 v14, v25
	v_min_u32_e32 v34, 32, v14
	v_lshrrev_b32_e32 v3, 24, v11
	v_subrev_u32_e32 v14, 29, v34
	v_bfe_u32 v30, v11, 26, 5
	v_lshlrev_b64 v[14:15], v14, v[3:4]
	v_cmp_eq_u32_e64 s[20:21], 0, v30
	v_sub_u32_e32 v15, 30, v34
	v_and_b32_e32 v14, 3, v14
	v_cndmask_b32_e64 v15, v30, v15, s[20:21]
	v_and_b32_e32 v30, 0x80000000, v11
	v_cmp_lt_i64_e64 s[22:23], -1, v[10:11]
	v_cndmask_b32_e64 v14, v25, v14, s[20:21]
	v_lshl_add_u32 v15, v15, 23, v30
	v_lshl_or_b32 v14, v14, 21, v15
	v_cmp_eq_u32_e64 s[20:21], 0, v25
	v_cndmask_b32_e64 v15, v21, v61, s[22:23]
	v_add_u32_e32 v14, 0x38000000, v14
	v_cndmask_b32_e64 v15, v2, v15, s[20:21]
	v_cndmask_b32_e32 v14, v14, v15, vcc
	v_cmp_ne_u32_e32 vcc, s64, v3
	v_cndmask_b32_e32 v3, v0, v14, vcc
	v_cmp_lt_u64_e32 vcc, s[58:59], v[10:11]
	v_mov_b32_e32 v15, v37
	v_cndmask_b32_e32 v3, 0, v3, vcc
	v_mul_f32_e32 v10, v3, v24
	v_and_b32_e32 v14, 0x7f800000, v10
	v_cmp_ne_u64_e32 vcc, s[60:61], v[14:15]
	v_and_b32_e32 v36, 0x7fffff, v10
                                        ; implicit-def: $vgpr30
	s_and_saveexec_b64 s[20:21], vcc
	s_xor_b64 s[22:23], exec, s[20:21]
	s_cbranch_execz .LBB2_932
; %bb.919:                              ;   in Loop: Header=BB2_676 Depth=2
	v_and_b32_e32 v14, 0x7fffffff, v10
	v_mov_b32_e32 v15, v37
	v_cmp_gt_u64_e32 vcc, s[62:63], v[14:15]
	v_and_b32_sdwa v24, v10, s64 dst_sel:DWORD dst_unused:UNUSED_PAD src0_sel:BYTE_3 src1_sel:DWORD
                                        ; implicit-def: $vgpr30
	s_and_saveexec_b64 s[20:21], vcc
	s_xor_b64 s[90:91], exec, s[20:21]
	s_cbranch_execz .LBB2_929
; %bb.920:                              ;   in Loop: Header=BB2_676 Depth=2
	v_mov_b32_e32 v30, 0
	v_cmp_ne_u32_e32 vcc, 0, v10
	s_and_saveexec_b64 s[92:93], vcc
	s_cbranch_execz .LBB2_928
; %bb.921:                              ;   in Loop: Header=BB2_676 Depth=2
	v_bfe_u32 v3, v10, 23, 8
	v_cmp_gt_u32_e64 s[20:21], s65, v3
	v_sub_u32_e32 v10, 0x71, v3
	v_cmp_eq_u32_e32 vcc, 0, v3
	v_cndmask_b32_e64 v10, 0, v10, s[20:21]
	v_mov_b32_e32 v14, 0x70
	v_cndmask_b32_e32 v25, v10, v14, vcc
	v_or_b32_e32 v11, 0x800000, v36
	v_add_u32_e32 v10, 21, v25
	v_cndmask_b32_e32 v36, v11, v36, vcc
	v_lshlrev_b64 v[10:11], v10, -1
	v_add_u32_e32 v14, 20, v25
	v_lshlrev_b64 v[14:15], v14, 1
	v_bfi_b32 v11, v11, 0, 0
	v_bfi_b32 v10, v10, 0, v36
	v_cmp_eq_u64_e64 s[20:21], v[10:11], v[14:15]
	v_lshrrev_b64 v[10:11], v25, v[36:37]
	v_mov_b32_e32 v15, v11
	v_mov_b32_e32 v14, v10
	s_and_saveexec_b64 s[94:95], s[20:21]
; %bb.922:                              ;   in Loop: Header=BB2_676 Depth=2
	v_bfe_u32 v11, v10, 21, 1
	v_add_co_u32_e64 v11, s[20:21], v10, v11
	v_add_co_u32_e64 v14, s[20:21], -1, v11
; %bb.923:                              ;   in Loop: Header=BB2_676 Depth=2
	s_or_b64 exec, exec, s[94:95]
	v_add_u32_e32 v3, 0xffffff81, v3
	v_mov_b32_e32 v11, 0xffffff82
	v_cndmask_b32_e32 v3, v3, v11, vcc
	v_lshrrev_b32_e32 v11, 23, v10
	v_add3_u32 v25, v25, v3, v11
	v_add_u32_e32 v15, 14, v25
	v_and_b32_e32 v3, 0x1fffff, v14
	v_add_u32_e32 v36, v3, v10
	v_cmp_ne_u32_e32 vcc, 0, v15
                                        ; implicit-def: $vgpr10_vgpr11
                                        ; implicit-def: $vgpr3
	s_and_saveexec_b64 s[20:21], vcc
	s_xor_b64 s[20:21], exec, s[20:21]
; %bb.924:                              ;   in Loop: Header=BB2_676 Depth=2
	v_cmp_lt_u64_e32 vcc, s[72:73], v[36:37]
	v_add_u32_e32 v3, 15, v25
	v_cndmask_b32_e64 v10, 0, 1, vcc
	v_cndmask_b32_e32 v3, v15, v3, vcc
	v_lshrrev_b64 v[10:11], v10, v[36:37]
; %bb.925:                              ;   in Loop: Header=BB2_676 Depth=2
	s_andn2_saveexec_b64 s[20:21], s[20:21]
; %bb.926:                              ;   in Loop: Header=BB2_676 Depth=2
	v_mov_b32_e32 v10, v36
	v_bfe_u32 v3, v36, 23, 1
	v_mov_b32_e32 v11, v37
; %bb.927:                              ;   in Loop: Header=BB2_676 Depth=2
	s_or_b64 exec, exec, s[20:21]
	v_lshrrev_b64 v[10:11], 21, v[10:11]
	v_cmp_gt_i32_e32 vcc, 32, v3
	v_cndmask_b32_e32 v11, 0, v11, vcc
	v_cndmask_b32_e32 v10, 3, v10, vcc
	v_cmp_eq_u32_e32 vcc, 0, v3
	v_min_i32_e32 v3, 31, v3
	v_cmp_eq_u64_e64 s[20:21], 0, v[10:11]
	v_lshlrev_b32_e32 v3, 2, v3
	v_and_b32_e32 v3, 0xfc, v3
	v_and_or_b32 v3, v10, 3, v3
	s_and_b64 s[20:21], vcc, s[20:21]
	v_cndmask_b32_e64 v3, v3, 0, s[20:21]
	v_or_b32_e32 v30, v3, v24
.LBB2_928:                              ;   in Loop: Header=BB2_676 Depth=2
	s_or_b64 exec, exec, s[92:93]
                                        ; implicit-def: $vgpr24
.LBB2_929:                              ;   in Loop: Header=BB2_676 Depth=2
	s_andn2_saveexec_b64 s[20:21], s[90:91]
; %bb.930:                              ;   in Loop: Header=BB2_676 Depth=2
	v_or_b32_e32 v30, 0x7b, v24
; %bb.931:                              ;   in Loop: Header=BB2_676 Depth=2
	s_or_b64 exec, exec, s[20:21]
                                        ; implicit-def: $vgpr10
.LBB2_932:                              ;   in Loop: Header=BB2_676 Depth=2
	s_andn2_saveexec_b64 s[20:21], s[22:23]
	s_cbranch_execz .LBB2_938
; %bb.933:                              ;   in Loop: Header=BB2_676 Depth=2
	v_cmp_ne_u64_e32 vcc, 0, v[36:37]
                                        ; implicit-def: $vgpr30
	s_and_saveexec_b64 s[22:23], vcc
	s_xor_b64 s[22:23], exec, s[22:23]
; %bb.934:                              ;   in Loop: Header=BB2_676 Depth=2
	v_or_b32_sdwa v30, v10, s55 dst_sel:DWORD dst_unused:UNUSED_PAD src0_sel:BYTE_3 src1_sel:DWORD
                                        ; implicit-def: $vgpr10
; %bb.935:                              ;   in Loop: Header=BB2_676 Depth=2
	s_andn2_saveexec_b64 s[22:23], s[22:23]
; %bb.936:                              ;   in Loop: Header=BB2_676 Depth=2
	v_cmp_lt_i32_e32 vcc, -1, v10
	v_bfrev_b32_e32 v3, 0.5
	v_cndmask_b32_e32 v30, v3, v19, vcc
; %bb.937:                              ;   in Loop: Header=BB2_676 Depth=2
	s_or_b64 exec, exec, s[22:23]
.LBB2_938:                              ;   in Loop: Header=BB2_676 Depth=2
	s_or_b64 exec, exec, s[20:21]
	v_cmp_ne_u16_sdwa s[22:23], v16, v37 src0_sel:BYTE_0 src1_sel:DWORD
	v_mov_b32_e32 v10, 0
	s_and_saveexec_b64 s[20:21], s[22:23]
	s_cbranch_execz .LBB2_946
; %bb.939:                              ;   in Loop: Header=BB2_676 Depth=2
	v_cmp_ne_u16_sdwa s[90:91], sext(v16), s52 src0_sel:BYTE_0 src1_sel:DWORD
	v_bfrev_b32_e32 v10, 1
	s_and_saveexec_b64 s[22:23], s[90:91]
	s_cbranch_execz .LBB2_945
; %bb.940:                              ;   in Loop: Header=BB2_676 Depth=2
	v_and_b32_e32 v10, 0x7c, v16
	v_and_b32_e32 v3, 3, v16
	v_cmp_ne_u32_e32 vcc, s53, v10
                                        ; implicit-def: $vgpr10
	s_and_saveexec_b64 s[90:91], vcc
	s_xor_b64 s[90:91], exec, s[90:91]
	s_cbranch_execz .LBB2_942
; %bb.941:                              ;   in Loop: Header=BB2_676 Depth=2
	v_ffbh_u32_e32 v10, v3
	v_min_u32_e32 v15, 32, v10
	v_subrev_u32_e32 v10, 29, v15
	v_lshlrev_b64 v[10:11], v10, v[16:17]
	v_bfe_u32 v14, v16, 2, 5
	v_and_b32_e32 v10, 3, v10
	v_cmp_eq_u32_e32 vcc, 0, v14
	v_sub_u32_e32 v11, 30, v15
	v_cndmask_b32_e32 v3, v3, v10, vcc
	v_lshlrev_b32_e32 v10, 24, v16
	v_cndmask_b32_e32 v11, v14, v11, vcc
	v_and_b32_e32 v10, 0x80000000, v10
	v_lshl_add_u32 v10, v11, 23, v10
	v_lshl_or_b32 v3, v3, 21, v10
	v_add_u32_e32 v10, 0x38000000, v3
                                        ; implicit-def: $vgpr3
.LBB2_942:                              ;   in Loop: Header=BB2_676 Depth=2
	s_andn2_saveexec_b64 s[90:91], s[90:91]
; %bb.943:                              ;   in Loop: Header=BB2_676 Depth=2
	v_cmp_gt_i16_sdwa vcc, sext(v16), v20 src0_sel:BYTE_0 src1_sel:DWORD
	v_cndmask_b32_e32 v10, v21, v61, vcc
	v_cmp_eq_u32_e32 vcc, 0, v3
	v_cndmask_b32_e32 v10, v2, v10, vcc
; %bb.944:                              ;   in Loop: Header=BB2_676 Depth=2
	s_or_b64 exec, exec, s[90:91]
.LBB2_945:                              ;   in Loop: Header=BB2_676 Depth=2
	s_or_b64 exec, exec, s[22:23]
.LBB2_946:                              ;   in Loop: Header=BB2_676 Depth=2
	s_or_b64 exec, exec, s[20:21]
	v_cmp_gt_i16_sdwa s[22:23], v12, s55 src0_sel:BYTE_0 src1_sel:DWORD
	s_mov_b64 s[20:21], 0
	s_and_saveexec_b64 s[90:91], s[22:23]
	s_xor_b64 s[22:23], exec, s[90:91]
	s_cbranch_execz .LBB2_1209
; %bb.947:                              ;   in Loop: Header=BB2_676 Depth=2
	v_cmp_eq_u16_sdwa s[92:93], v12, s64 src0_sel:BYTE_0 src1_sel:DWORD
	s_mov_b64 s[20:21], -1
	s_and_saveexec_b64 s[90:91], s[92:93]
; %bb.948:                              ;   in Loop: Header=BB2_676 Depth=2
	s_xor_b64 s[20:21], exec, -1
; %bb.949:                              ;   in Loop: Header=BB2_676 Depth=2
	s_or_b64 exec, exec, s[90:91]
	s_and_b64 s[20:21], s[20:21], exec
	s_or_saveexec_b64 s[22:23], s[22:23]
	v_bfrev_b32_e32 v3, 1
	s_xor_b64 exec, exec, s[22:23]
	s_cbranch_execnz .LBB2_1210
.LBB2_950:                              ;   in Loop: Header=BB2_676 Depth=2
	s_or_b64 exec, exec, s[22:23]
	s_and_saveexec_b64 s[90:91], s[20:21]
	s_cbranch_execz .LBB2_952
.LBB2_951:                              ;   in Loop: Header=BB2_676 Depth=2
	v_and_b32_e32 v3, 3, v12
	v_and_b32_e32 v14, 0x7c, v12
	v_cmp_eq_u32_e32 vcc, s53, v14
	v_ffbh_u32_e32 v14, v3
	v_min_u32_e32 v24, 32, v14
	v_subrev_u32_e32 v14, 29, v24
	v_bfe_u32 v11, v12, 2, 5
	v_lshlrev_b64 v[14:15], v14, v[12:13]
	v_cmp_eq_u32_e64 s[20:21], 0, v11
	v_sub_u32_e32 v15, 30, v24
	v_cndmask_b32_e64 v11, v11, v15, s[20:21]
	v_lshlrev_b32_e32 v15, 24, v12
	v_and_b32_e32 v14, 3, v14
	v_and_b32_e32 v15, 0x80000000, v15
	v_cndmask_b32_e64 v14, v3, v14, s[20:21]
	v_lshl_add_u32 v11, v11, 23, v15
	v_cmp_gt_i16_sdwa s[22:23], sext(v12), v20 src0_sel:BYTE_0 src1_sel:DWORD
	v_lshl_or_b32 v11, v14, 21, v11
	v_cmp_eq_u32_e64 s[20:21], 0, v3
	v_cndmask_b32_e64 v3, v21, v61, s[22:23]
	v_add_u32_e32 v11, 0x38000000, v11
	v_cndmask_b32_e64 v3, v2, v3, s[20:21]
	v_cndmask_b32_e32 v3, v11, v3, vcc
.LBB2_952:                              ;   in Loop: Header=BB2_676 Depth=2
	s_or_b64 exec, exec, s[90:91]
	v_mul_f32_e32 v10, v10, v3
	v_and_b32_e32 v14, 0x7f800000, v10
	v_mov_b32_e32 v15, v37
	v_cmp_ne_u64_e32 vcc, s[60:61], v[14:15]
	v_and_b32_e32 v36, 0x7fffff, v10
                                        ; implicit-def: $vgpr52
	s_and_saveexec_b64 s[20:21], vcc
	s_xor_b64 s[22:23], exec, s[20:21]
	s_cbranch_execz .LBB2_966
; %bb.953:                              ;   in Loop: Header=BB2_676 Depth=2
	v_and_b32_e32 v14, 0x7fffffff, v10
	v_mov_b32_e32 v15, v37
	v_cmp_gt_u64_e32 vcc, s[62:63], v[14:15]
	v_and_b32_sdwa v24, v10, s64 dst_sel:DWORD dst_unused:UNUSED_PAD src0_sel:BYTE_3 src1_sel:DWORD
                                        ; implicit-def: $vgpr52
	s_and_saveexec_b64 s[20:21], vcc
	s_xor_b64 s[90:91], exec, s[20:21]
	s_cbranch_execz .LBB2_963
; %bb.954:                              ;   in Loop: Header=BB2_676 Depth=2
	v_mov_b32_e32 v52, 0
	v_cmp_ne_u32_e32 vcc, 0, v10
	s_and_saveexec_b64 s[92:93], vcc
	s_cbranch_execz .LBB2_962
; %bb.955:                              ;   in Loop: Header=BB2_676 Depth=2
	v_bfe_u32 v3, v10, 23, 8
	v_cmp_gt_u32_e64 s[20:21], s65, v3
	v_sub_u32_e32 v10, 0x71, v3
	v_cmp_eq_u32_e32 vcc, 0, v3
	v_cndmask_b32_e64 v10, 0, v10, s[20:21]
	v_mov_b32_e32 v14, 0x70
	v_cndmask_b32_e32 v25, v10, v14, vcc
	v_or_b32_e32 v11, 0x800000, v36
	v_add_u32_e32 v10, 21, v25
	v_cndmask_b32_e32 v36, v11, v36, vcc
	v_lshlrev_b64 v[10:11], v10, -1
	v_add_u32_e32 v14, 20, v25
	v_lshlrev_b64 v[14:15], v14, 1
	v_bfi_b32 v11, v11, 0, 0
	v_bfi_b32 v10, v10, 0, v36
	v_cmp_eq_u64_e64 s[20:21], v[10:11], v[14:15]
	v_lshrrev_b64 v[10:11], v25, v[36:37]
	v_mov_b32_e32 v15, v11
	v_mov_b32_e32 v14, v10
	s_and_saveexec_b64 s[94:95], s[20:21]
; %bb.956:                              ;   in Loop: Header=BB2_676 Depth=2
	v_bfe_u32 v11, v10, 21, 1
	v_add_co_u32_e64 v11, s[20:21], v10, v11
	v_add_co_u32_e64 v14, s[20:21], -1, v11
; %bb.957:                              ;   in Loop: Header=BB2_676 Depth=2
	s_or_b64 exec, exec, s[94:95]
	v_add_u32_e32 v3, 0xffffff81, v3
	v_mov_b32_e32 v11, 0xffffff82
	v_cndmask_b32_e32 v3, v3, v11, vcc
	v_lshrrev_b32_e32 v11, 23, v10
	v_add3_u32 v25, v25, v3, v11
	v_add_u32_e32 v15, 14, v25
	v_and_b32_e32 v3, 0x1fffff, v14
	v_add_u32_e32 v36, v3, v10
	v_cmp_ne_u32_e32 vcc, 0, v15
                                        ; implicit-def: $vgpr10_vgpr11
                                        ; implicit-def: $vgpr3
	s_and_saveexec_b64 s[20:21], vcc
	s_xor_b64 s[20:21], exec, s[20:21]
; %bb.958:                              ;   in Loop: Header=BB2_676 Depth=2
	v_cmp_lt_u64_e32 vcc, s[72:73], v[36:37]
	v_add_u32_e32 v3, 15, v25
	v_cndmask_b32_e64 v10, 0, 1, vcc
	v_cndmask_b32_e32 v3, v15, v3, vcc
	v_lshrrev_b64 v[10:11], v10, v[36:37]
; %bb.959:                              ;   in Loop: Header=BB2_676 Depth=2
	s_andn2_saveexec_b64 s[20:21], s[20:21]
; %bb.960:                              ;   in Loop: Header=BB2_676 Depth=2
	v_mov_b32_e32 v10, v36
	v_bfe_u32 v3, v36, 23, 1
	v_mov_b32_e32 v11, v37
; %bb.961:                              ;   in Loop: Header=BB2_676 Depth=2
	s_or_b64 exec, exec, s[20:21]
	v_lshrrev_b64 v[10:11], 21, v[10:11]
	v_cmp_gt_i32_e32 vcc, 32, v3
	v_cndmask_b32_e32 v11, 0, v11, vcc
	v_cndmask_b32_e32 v10, 3, v10, vcc
	v_cmp_eq_u32_e32 vcc, 0, v3
	v_min_i32_e32 v3, 31, v3
	v_cmp_eq_u64_e64 s[20:21], 0, v[10:11]
	v_lshlrev_b32_e32 v3, 2, v3
	v_and_b32_e32 v3, 0xfc, v3
	v_and_or_b32 v3, v10, 3, v3
	s_and_b64 s[20:21], vcc, s[20:21]
	v_cndmask_b32_e64 v3, v3, 0, s[20:21]
	v_or_b32_e32 v52, v3, v24
.LBB2_962:                              ;   in Loop: Header=BB2_676 Depth=2
	s_or_b64 exec, exec, s[92:93]
                                        ; implicit-def: $vgpr24
.LBB2_963:                              ;   in Loop: Header=BB2_676 Depth=2
	s_andn2_saveexec_b64 s[20:21], s[90:91]
; %bb.964:                              ;   in Loop: Header=BB2_676 Depth=2
	v_or_b32_e32 v52, 0x7b, v24
; %bb.965:                              ;   in Loop: Header=BB2_676 Depth=2
	s_or_b64 exec, exec, s[20:21]
                                        ; implicit-def: $vgpr10
.LBB2_966:                              ;   in Loop: Header=BB2_676 Depth=2
	s_andn2_saveexec_b64 s[20:21], s[22:23]
	s_cbranch_execz .LBB2_972
; %bb.967:                              ;   in Loop: Header=BB2_676 Depth=2
	v_cmp_ne_u64_e32 vcc, 0, v[36:37]
                                        ; implicit-def: $vgpr52
	s_and_saveexec_b64 s[22:23], vcc
	s_xor_b64 s[22:23], exec, s[22:23]
; %bb.968:                              ;   in Loop: Header=BB2_676 Depth=2
	v_or_b32_sdwa v52, v10, s55 dst_sel:DWORD dst_unused:UNUSED_PAD src0_sel:BYTE_3 src1_sel:DWORD
                                        ; implicit-def: $vgpr10
; %bb.969:                              ;   in Loop: Header=BB2_676 Depth=2
	s_andn2_saveexec_b64 s[22:23], s[22:23]
; %bb.970:                              ;   in Loop: Header=BB2_676 Depth=2
	v_cmp_lt_i32_e32 vcc, -1, v10
	v_bfrev_b32_e32 v3, 0.5
	v_cndmask_b32_e32 v52, v3, v19, vcc
; %bb.971:                              ;   in Loop: Header=BB2_676 Depth=2
	s_or_b64 exec, exec, s[22:23]
.LBB2_972:                              ;   in Loop: Header=BB2_676 Depth=2
	s_or_b64 exec, exec, s[20:21]
	v_lshrrev_b16_e32 v36, 8, v16
	v_cmp_ne_u16_e32 vcc, 0, v36
	v_mov_b32_e32 v10, 0
	s_and_saveexec_b64 s[20:21], vcc
	s_cbranch_execz .LBB2_980
; %bb.973:                              ;   in Loop: Header=BB2_676 Depth=2
	v_cmp_ne_u16_e32 vcc, s64, v36
	v_bfrev_b32_e32 v10, 1
	s_and_saveexec_b64 s[22:23], vcc
	s_cbranch_execz .LBB2_979
; %bb.974:                              ;   in Loop: Header=BB2_676 Depth=2
	v_and_b32_e32 v10, 0x7c, v36
	v_and_b32_e32 v3, 3, v36
	v_cmp_ne_u32_e32 vcc, s53, v10
                                        ; implicit-def: $vgpr10
	s_and_saveexec_b64 s[90:91], vcc
	s_xor_b64 s[90:91], exec, s[90:91]
	s_cbranch_execz .LBB2_976
; %bb.975:                              ;   in Loop: Header=BB2_676 Depth=2
	v_ffbh_u32_e32 v10, v3
	v_min_u32_e32 v15, 32, v10
	v_subrev_u32_e32 v10, 29, v15
	v_lshlrev_b64 v[10:11], v10, v[36:37]
	v_bfe_u32 v14, v36, 2, 5
	v_and_b32_e32 v10, 3, v10
	v_cmp_eq_u32_e32 vcc, 0, v14
	v_sub_u32_e32 v11, 30, v15
	v_cndmask_b32_e32 v3, v3, v10, vcc
	v_lshlrev_b32_e32 v10, 16, v16
	v_cndmask_b32_e32 v11, v14, v11, vcc
	v_and_b32_e32 v10, 0x80000000, v10
	v_lshl_add_u32 v10, v11, 23, v10
	v_lshl_or_b32 v3, v3, 21, v10
	v_add_u32_e32 v10, 0x38000000, v3
                                        ; implicit-def: $vgpr3
.LBB2_976:                              ;   in Loop: Header=BB2_676 Depth=2
	s_andn2_saveexec_b64 s[90:91], s[90:91]
; %bb.977:                              ;   in Loop: Header=BB2_676 Depth=2
	v_cmp_lt_i16_e32 vcc, -1, v16
	v_cndmask_b32_e32 v10, v21, v61, vcc
	v_cmp_eq_u32_e32 vcc, 0, v3
	v_cndmask_b32_e32 v10, v2, v10, vcc
; %bb.978:                              ;   in Loop: Header=BB2_676 Depth=2
	s_or_b64 exec, exec, s[90:91]
.LBB2_979:                              ;   in Loop: Header=BB2_676 Depth=2
	s_or_b64 exec, exec, s[22:23]
.LBB2_980:                              ;   in Loop: Header=BB2_676 Depth=2
	s_or_b64 exec, exec, s[20:21]
	v_lshrrev_b16_e32 v36, 8, v12
	v_cmp_lt_i16_e32 vcc, s55, v36
	s_mov_b64 s[20:21], 0
	s_and_saveexec_b64 s[22:23], vcc
	s_xor_b64 s[22:23], exec, s[22:23]
	s_cbranch_execz .LBB2_1211
; %bb.981:                              ;   in Loop: Header=BB2_676 Depth=2
	v_cmp_eq_u16_e32 vcc, s64, v36
	s_mov_b64 s[20:21], -1
	s_and_saveexec_b64 s[90:91], vcc
; %bb.982:                              ;   in Loop: Header=BB2_676 Depth=2
	s_xor_b64 s[20:21], exec, -1
; %bb.983:                              ;   in Loop: Header=BB2_676 Depth=2
	s_or_b64 exec, exec, s[90:91]
	s_and_b64 s[20:21], s[20:21], exec
	s_or_saveexec_b64 s[22:23], s[22:23]
	v_bfrev_b32_e32 v3, 1
	s_xor_b64 exec, exec, s[22:23]
	s_cbranch_execnz .LBB2_1212
.LBB2_984:                              ;   in Loop: Header=BB2_676 Depth=2
	s_or_b64 exec, exec, s[22:23]
	s_and_saveexec_b64 s[90:91], s[20:21]
	s_cbranch_execz .LBB2_986
.LBB2_985:                              ;   in Loop: Header=BB2_676 Depth=2
	v_and_b32_e32 v3, 3, v36
	v_and_b32_e32 v14, 0x7c, v36
	v_cmp_eq_u32_e32 vcc, s53, v14
	v_ffbh_u32_e32 v14, v3
	v_min_u32_e32 v24, 32, v14
	v_subrev_u32_e32 v14, 29, v24
	v_bfe_u32 v11, v36, 2, 5
	v_lshlrev_b64 v[14:15], v14, v[36:37]
	v_cmp_eq_u32_e64 s[20:21], 0, v11
	v_sub_u32_e32 v15, 30, v24
	v_cndmask_b32_e64 v11, v11, v15, s[20:21]
	v_lshlrev_b32_e32 v15, 24, v36
	v_and_b32_e32 v14, 3, v14
	v_and_b32_e32 v15, 0x80000000, v15
	v_cndmask_b32_e64 v14, v3, v14, s[20:21]
	v_lshl_add_u32 v11, v11, 23, v15
	v_cmp_lt_i16_e64 s[22:23], -1, v12
	v_lshl_or_b32 v11, v14, 21, v11
	v_cmp_eq_u32_e64 s[20:21], 0, v3
	v_cndmask_b32_e64 v3, v21, v61, s[22:23]
	v_add_u32_e32 v11, 0x38000000, v11
	v_cndmask_b32_e64 v3, v2, v3, s[20:21]
	v_cndmask_b32_e32 v3, v11, v3, vcc
.LBB2_986:                              ;   in Loop: Header=BB2_676 Depth=2
	s_or_b64 exec, exec, s[90:91]
	v_mul_f32_e32 v10, v10, v3
	v_and_b32_e32 v14, 0x7f800000, v10
	v_mov_b32_e32 v15, v37
	v_cmp_ne_u64_e32 vcc, s[60:61], v[14:15]
	v_and_b32_e32 v36, 0x7fffff, v10
                                        ; implicit-def: $vgpr53
	s_and_saveexec_b64 s[20:21], vcc
	s_xor_b64 s[22:23], exec, s[20:21]
	s_cbranch_execz .LBB2_1000
; %bb.987:                              ;   in Loop: Header=BB2_676 Depth=2
	v_and_b32_e32 v14, 0x7fffffff, v10
	v_mov_b32_e32 v15, v37
	v_cmp_gt_u64_e32 vcc, s[62:63], v[14:15]
	v_and_b32_sdwa v24, v10, s64 dst_sel:DWORD dst_unused:UNUSED_PAD src0_sel:BYTE_3 src1_sel:DWORD
                                        ; implicit-def: $vgpr53
	s_and_saveexec_b64 s[20:21], vcc
	s_xor_b64 s[90:91], exec, s[20:21]
	s_cbranch_execz .LBB2_997
; %bb.988:                              ;   in Loop: Header=BB2_676 Depth=2
	v_mov_b32_e32 v53, 0
	v_cmp_ne_u32_e32 vcc, 0, v10
	s_and_saveexec_b64 s[92:93], vcc
	s_cbranch_execz .LBB2_996
; %bb.989:                              ;   in Loop: Header=BB2_676 Depth=2
	v_bfe_u32 v3, v10, 23, 8
	v_cmp_gt_u32_e64 s[20:21], s65, v3
	v_sub_u32_e32 v10, 0x71, v3
	v_cmp_eq_u32_e32 vcc, 0, v3
	v_cndmask_b32_e64 v10, 0, v10, s[20:21]
	v_mov_b32_e32 v14, 0x70
	v_cndmask_b32_e32 v25, v10, v14, vcc
	v_or_b32_e32 v11, 0x800000, v36
	v_add_u32_e32 v10, 21, v25
	v_cndmask_b32_e32 v36, v11, v36, vcc
	v_lshlrev_b64 v[10:11], v10, -1
	v_add_u32_e32 v14, 20, v25
	v_lshlrev_b64 v[14:15], v14, 1
	v_bfi_b32 v11, v11, 0, 0
	v_bfi_b32 v10, v10, 0, v36
	v_cmp_eq_u64_e64 s[20:21], v[10:11], v[14:15]
	v_lshrrev_b64 v[10:11], v25, v[36:37]
	v_mov_b32_e32 v15, v11
	v_mov_b32_e32 v14, v10
	s_and_saveexec_b64 s[94:95], s[20:21]
; %bb.990:                              ;   in Loop: Header=BB2_676 Depth=2
	v_bfe_u32 v11, v10, 21, 1
	v_add_co_u32_e64 v11, s[20:21], v10, v11
	v_add_co_u32_e64 v14, s[20:21], -1, v11
; %bb.991:                              ;   in Loop: Header=BB2_676 Depth=2
	s_or_b64 exec, exec, s[94:95]
	v_add_u32_e32 v3, 0xffffff81, v3
	v_mov_b32_e32 v11, 0xffffff82
	v_cndmask_b32_e32 v3, v3, v11, vcc
	v_lshrrev_b32_e32 v11, 23, v10
	v_add3_u32 v25, v25, v3, v11
	v_add_u32_e32 v15, 14, v25
	v_and_b32_e32 v3, 0x1fffff, v14
	v_add_u32_e32 v36, v3, v10
	v_cmp_ne_u32_e32 vcc, 0, v15
                                        ; implicit-def: $vgpr10_vgpr11
                                        ; implicit-def: $vgpr3
	s_and_saveexec_b64 s[20:21], vcc
	s_xor_b64 s[20:21], exec, s[20:21]
; %bb.992:                              ;   in Loop: Header=BB2_676 Depth=2
	v_cmp_lt_u64_e32 vcc, s[72:73], v[36:37]
	v_add_u32_e32 v3, 15, v25
	v_cndmask_b32_e64 v10, 0, 1, vcc
	v_cndmask_b32_e32 v3, v15, v3, vcc
	v_lshrrev_b64 v[10:11], v10, v[36:37]
; %bb.993:                              ;   in Loop: Header=BB2_676 Depth=2
	s_andn2_saveexec_b64 s[20:21], s[20:21]
; %bb.994:                              ;   in Loop: Header=BB2_676 Depth=2
	v_mov_b32_e32 v10, v36
	v_bfe_u32 v3, v36, 23, 1
	v_mov_b32_e32 v11, v37
; %bb.995:                              ;   in Loop: Header=BB2_676 Depth=2
	s_or_b64 exec, exec, s[20:21]
	v_lshrrev_b64 v[10:11], 21, v[10:11]
	v_cmp_gt_i32_e32 vcc, 32, v3
	v_cndmask_b32_e32 v11, 0, v11, vcc
	v_cndmask_b32_e32 v10, 3, v10, vcc
	v_cmp_eq_u32_e32 vcc, 0, v3
	v_min_i32_e32 v3, 31, v3
	v_cmp_eq_u64_e64 s[20:21], 0, v[10:11]
	v_lshlrev_b32_e32 v3, 2, v3
	v_and_b32_e32 v3, 0xfc, v3
	v_and_or_b32 v3, v10, 3, v3
	s_and_b64 s[20:21], vcc, s[20:21]
	v_cndmask_b32_e64 v3, v3, 0, s[20:21]
	v_or_b32_e32 v53, v3, v24
.LBB2_996:                              ;   in Loop: Header=BB2_676 Depth=2
	s_or_b64 exec, exec, s[92:93]
                                        ; implicit-def: $vgpr24
.LBB2_997:                              ;   in Loop: Header=BB2_676 Depth=2
	s_andn2_saveexec_b64 s[20:21], s[90:91]
; %bb.998:                              ;   in Loop: Header=BB2_676 Depth=2
	v_or_b32_e32 v53, 0x7b, v24
; %bb.999:                              ;   in Loop: Header=BB2_676 Depth=2
	s_or_b64 exec, exec, s[20:21]
                                        ; implicit-def: $vgpr10
.LBB2_1000:                             ;   in Loop: Header=BB2_676 Depth=2
	s_andn2_saveexec_b64 s[20:21], s[22:23]
	s_cbranch_execz .LBB2_1006
; %bb.1001:                             ;   in Loop: Header=BB2_676 Depth=2
	v_cmp_ne_u64_e32 vcc, 0, v[36:37]
                                        ; implicit-def: $vgpr53
	s_and_saveexec_b64 s[22:23], vcc
	s_xor_b64 s[22:23], exec, s[22:23]
; %bb.1002:                             ;   in Loop: Header=BB2_676 Depth=2
	v_or_b32_sdwa v53, v10, s55 dst_sel:DWORD dst_unused:UNUSED_PAD src0_sel:BYTE_3 src1_sel:DWORD
                                        ; implicit-def: $vgpr10
; %bb.1003:                             ;   in Loop: Header=BB2_676 Depth=2
	s_andn2_saveexec_b64 s[22:23], s[22:23]
; %bb.1004:                             ;   in Loop: Header=BB2_676 Depth=2
	v_cmp_lt_i32_e32 vcc, -1, v10
	v_bfrev_b32_e32 v3, 0.5
	v_cndmask_b32_e32 v53, v3, v19, vcc
; %bb.1005:                             ;   in Loop: Header=BB2_676 Depth=2
	s_or_b64 exec, exec, s[22:23]
.LBB2_1006:                             ;   in Loop: Header=BB2_676 Depth=2
	s_or_b64 exec, exec, s[20:21]
	v_lshrrev_b32_e32 v10, 16, v16
	v_cmp_ne_u16_sdwa s[22:23], v10, v37 src0_sel:BYTE_0 src1_sel:DWORD
	v_mov_b32_e32 v11, 0
	s_and_saveexec_b64 s[20:21], s[22:23]
	s_cbranch_execz .LBB2_1014
; %bb.1007:                             ;   in Loop: Header=BB2_676 Depth=2
	v_cmp_ne_u16_sdwa s[90:91], v10, s64 src0_sel:BYTE_0 src1_sel:DWORD
	v_bfrev_b32_e32 v11, 1
	s_and_saveexec_b64 s[22:23], s[90:91]
	s_cbranch_execz .LBB2_1013
; %bb.1008:                             ;   in Loop: Header=BB2_676 Depth=2
	v_and_b32_e32 v11, 0x7c0000, v16
	v_bfe_u32 v3, v16, 16, 2
	v_cmp_ne_u32_e32 vcc, s66, v11
                                        ; implicit-def: $vgpr11
	s_and_saveexec_b64 s[90:91], vcc
	s_xor_b64 s[90:91], exec, s[90:91]
	s_cbranch_execz .LBB2_1010
; %bb.1009:                             ;   in Loop: Header=BB2_676 Depth=2
	v_ffbh_u32_e32 v11, v3
	v_min_u32_e32 v15, 32, v11
	v_subrev_u32_e32 v11, 29, v15
	v_lshlrev_b64 v[10:11], v11, v[10:11]
	v_bfe_u32 v14, v16, 18, 5
	v_and_b32_e32 v10, 3, v10
	v_cmp_eq_u32_e32 vcc, 0, v14
	v_sub_u32_e32 v11, 30, v15
	v_cndmask_b32_e32 v3, v3, v10, vcc
	v_lshlrev_b32_e32 v10, 8, v16
	v_cndmask_b32_e32 v11, v14, v11, vcc
	v_and_b32_e32 v10, 0x80000000, v10
	v_lshl_add_u32 v10, v11, 23, v10
	v_lshl_or_b32 v3, v3, 21, v10
	v_add_u32_e32 v11, 0x38000000, v3
                                        ; implicit-def: $vgpr3
                                        ; implicit-def: $vgpr10
.LBB2_1010:                             ;   in Loop: Header=BB2_676 Depth=2
	s_andn2_saveexec_b64 s[90:91], s[90:91]
; %bb.1011:                             ;   in Loop: Header=BB2_676 Depth=2
	v_cmp_gt_i16_sdwa vcc, sext(v10), v20 src0_sel:BYTE_0 src1_sel:DWORD
	v_cndmask_b32_e32 v10, v21, v61, vcc
	v_cmp_eq_u32_e32 vcc, 0, v3
	v_cndmask_b32_e32 v11, v2, v10, vcc
; %bb.1012:                             ;   in Loop: Header=BB2_676 Depth=2
	s_or_b64 exec, exec, s[90:91]
.LBB2_1013:                             ;   in Loop: Header=BB2_676 Depth=2
	s_or_b64 exec, exec, s[22:23]
.LBB2_1014:                             ;   in Loop: Header=BB2_676 Depth=2
	s_or_b64 exec, exec, s[20:21]
	v_lshrrev_b32_e32 v10, 16, v12
	v_cmp_gt_i16_sdwa s[22:23], v10, s55 src0_sel:BYTE_0 src1_sel:DWORD
	s_mov_b64 s[20:21], 0
	s_and_saveexec_b64 s[90:91], s[22:23]
	s_xor_b64 s[22:23], exec, s[90:91]
	s_cbranch_execz .LBB2_1213
; %bb.1015:                             ;   in Loop: Header=BB2_676 Depth=2
	v_cmp_eq_u16_sdwa s[92:93], v10, s64 src0_sel:BYTE_0 src1_sel:DWORD
	s_mov_b64 s[20:21], -1
	s_and_saveexec_b64 s[90:91], s[92:93]
; %bb.1016:                             ;   in Loop: Header=BB2_676 Depth=2
	s_xor_b64 s[20:21], exec, -1
; %bb.1017:                             ;   in Loop: Header=BB2_676 Depth=2
	s_or_b64 exec, exec, s[90:91]
	s_and_b64 s[20:21], s[20:21], exec
	s_or_saveexec_b64 s[22:23], s[22:23]
	v_bfrev_b32_e32 v3, 1
	s_xor_b64 exec, exec, s[22:23]
	s_cbranch_execnz .LBB2_1214
.LBB2_1018:                             ;   in Loop: Header=BB2_676 Depth=2
	s_or_b64 exec, exec, s[22:23]
	s_and_saveexec_b64 s[90:91], s[20:21]
	s_cbranch_execz .LBB2_1020
.LBB2_1019:                             ;   in Loop: Header=BB2_676 Depth=2
	v_and_b32_e32 v3, 3, v10
	v_and_b32_e32 v14, 0x7c0000, v12
	v_cmp_eq_u32_e32 vcc, s66, v14
	v_ffbh_u32_e32 v14, v3
	v_min_u32_e32 v25, 32, v14
	v_subrev_u32_e32 v14, 29, v25
	v_bfe_u32 v24, v12, 18, 5
	v_lshlrev_b64 v[14:15], v14, v[10:11]
	v_cmp_eq_u32_e64 s[20:21], 0, v24
	v_sub_u32_e32 v15, 30, v25
	v_cndmask_b32_e64 v15, v24, v15, s[20:21]
	v_lshlrev_b32_e32 v24, 24, v10
	v_and_b32_e32 v14, 3, v14
	v_and_b32_e32 v24, 0x80000000, v24
	v_cndmask_b32_e64 v14, v3, v14, s[20:21]
	v_lshl_add_u32 v15, v15, 23, v24
	v_cmp_gt_i16_sdwa s[22:23], sext(v10), v20 src0_sel:BYTE_0 src1_sel:DWORD
	v_lshl_or_b32 v14, v14, 21, v15
	v_cmp_eq_u32_e64 s[20:21], 0, v3
	v_cndmask_b32_e64 v3, v21, v61, s[22:23]
	v_add_u32_e32 v14, 0x38000000, v14
	v_cndmask_b32_e64 v3, v2, v3, s[20:21]
	v_cndmask_b32_e32 v3, v14, v3, vcc
.LBB2_1020:                             ;   in Loop: Header=BB2_676 Depth=2
	s_or_b64 exec, exec, s[90:91]
	v_mul_f32_e32 v10, v11, v3
	v_and_b32_e32 v14, 0x7f800000, v10
	v_mov_b32_e32 v15, v37
	v_cmp_ne_u64_e32 vcc, s[60:61], v[14:15]
	v_and_b32_e32 v36, 0x7fffff, v10
                                        ; implicit-def: $vgpr62
	s_and_saveexec_b64 s[20:21], vcc
	s_xor_b64 s[22:23], exec, s[20:21]
	s_cbranch_execz .LBB2_1034
; %bb.1021:                             ;   in Loop: Header=BB2_676 Depth=2
	v_and_b32_e32 v14, 0x7fffffff, v10
	v_mov_b32_e32 v15, v37
	v_cmp_gt_u64_e32 vcc, s[62:63], v[14:15]
	v_and_b32_sdwa v24, v10, s64 dst_sel:DWORD dst_unused:UNUSED_PAD src0_sel:BYTE_3 src1_sel:DWORD
                                        ; implicit-def: $vgpr62
	s_and_saveexec_b64 s[20:21], vcc
	s_xor_b64 s[90:91], exec, s[20:21]
	s_cbranch_execz .LBB2_1031
; %bb.1022:                             ;   in Loop: Header=BB2_676 Depth=2
	v_mov_b32_e32 v62, 0
	v_cmp_ne_u32_e32 vcc, 0, v10
	s_and_saveexec_b64 s[92:93], vcc
	s_cbranch_execz .LBB2_1030
; %bb.1023:                             ;   in Loop: Header=BB2_676 Depth=2
	v_bfe_u32 v3, v10, 23, 8
	v_cmp_gt_u32_e64 s[20:21], s65, v3
	v_sub_u32_e32 v10, 0x71, v3
	v_cmp_eq_u32_e32 vcc, 0, v3
	v_cndmask_b32_e64 v10, 0, v10, s[20:21]
	v_mov_b32_e32 v14, 0x70
	v_cndmask_b32_e32 v25, v10, v14, vcc
	v_or_b32_e32 v11, 0x800000, v36
	v_add_u32_e32 v10, 21, v25
	v_cndmask_b32_e32 v36, v11, v36, vcc
	v_lshlrev_b64 v[10:11], v10, -1
	v_add_u32_e32 v14, 20, v25
	v_lshlrev_b64 v[14:15], v14, 1
	v_bfi_b32 v11, v11, 0, 0
	v_bfi_b32 v10, v10, 0, v36
	v_cmp_eq_u64_e64 s[20:21], v[10:11], v[14:15]
	v_lshrrev_b64 v[10:11], v25, v[36:37]
	v_mov_b32_e32 v15, v11
	v_mov_b32_e32 v14, v10
	s_and_saveexec_b64 s[94:95], s[20:21]
; %bb.1024:                             ;   in Loop: Header=BB2_676 Depth=2
	v_bfe_u32 v11, v10, 21, 1
	v_add_co_u32_e64 v11, s[20:21], v10, v11
	v_add_co_u32_e64 v14, s[20:21], -1, v11
; %bb.1025:                             ;   in Loop: Header=BB2_676 Depth=2
	s_or_b64 exec, exec, s[94:95]
	v_add_u32_e32 v3, 0xffffff81, v3
	v_mov_b32_e32 v11, 0xffffff82
	v_cndmask_b32_e32 v3, v3, v11, vcc
	v_lshrrev_b32_e32 v11, 23, v10
	v_add3_u32 v25, v25, v3, v11
	v_add_u32_e32 v15, 14, v25
	v_and_b32_e32 v3, 0x1fffff, v14
	v_add_u32_e32 v36, v3, v10
	v_cmp_ne_u32_e32 vcc, 0, v15
                                        ; implicit-def: $vgpr10_vgpr11
                                        ; implicit-def: $vgpr3
	s_and_saveexec_b64 s[20:21], vcc
	s_xor_b64 s[20:21], exec, s[20:21]
; %bb.1026:                             ;   in Loop: Header=BB2_676 Depth=2
	v_cmp_lt_u64_e32 vcc, s[72:73], v[36:37]
	v_add_u32_e32 v3, 15, v25
	v_cndmask_b32_e64 v10, 0, 1, vcc
	v_cndmask_b32_e32 v3, v15, v3, vcc
	v_lshrrev_b64 v[10:11], v10, v[36:37]
; %bb.1027:                             ;   in Loop: Header=BB2_676 Depth=2
	s_andn2_saveexec_b64 s[20:21], s[20:21]
; %bb.1028:                             ;   in Loop: Header=BB2_676 Depth=2
	v_mov_b32_e32 v10, v36
	v_bfe_u32 v3, v36, 23, 1
	v_mov_b32_e32 v11, v37
; %bb.1029:                             ;   in Loop: Header=BB2_676 Depth=2
	s_or_b64 exec, exec, s[20:21]
	v_lshrrev_b64 v[10:11], 21, v[10:11]
	v_cmp_gt_i32_e32 vcc, 32, v3
	v_cndmask_b32_e32 v11, 0, v11, vcc
	v_cndmask_b32_e32 v10, 3, v10, vcc
	v_cmp_eq_u32_e32 vcc, 0, v3
	v_min_i32_e32 v3, 31, v3
	v_cmp_eq_u64_e64 s[20:21], 0, v[10:11]
	v_lshlrev_b32_e32 v3, 2, v3
	v_and_b32_e32 v3, 0xfc, v3
	v_and_or_b32 v3, v10, 3, v3
	s_and_b64 s[20:21], vcc, s[20:21]
	v_cndmask_b32_e64 v3, v3, 0, s[20:21]
	v_or_b32_e32 v62, v3, v24
.LBB2_1030:                             ;   in Loop: Header=BB2_676 Depth=2
	s_or_b64 exec, exec, s[92:93]
                                        ; implicit-def: $vgpr24
.LBB2_1031:                             ;   in Loop: Header=BB2_676 Depth=2
	s_andn2_saveexec_b64 s[20:21], s[90:91]
; %bb.1032:                             ;   in Loop: Header=BB2_676 Depth=2
	v_or_b32_e32 v62, 0x7b, v24
; %bb.1033:                             ;   in Loop: Header=BB2_676 Depth=2
	s_or_b64 exec, exec, s[20:21]
                                        ; implicit-def: $vgpr10
.LBB2_1034:                             ;   in Loop: Header=BB2_676 Depth=2
	s_andn2_saveexec_b64 s[20:21], s[22:23]
	s_cbranch_execz .LBB2_1040
; %bb.1035:                             ;   in Loop: Header=BB2_676 Depth=2
	v_cmp_ne_u64_e32 vcc, 0, v[36:37]
                                        ; implicit-def: $vgpr62
	s_and_saveexec_b64 s[22:23], vcc
	s_xor_b64 s[22:23], exec, s[22:23]
; %bb.1036:                             ;   in Loop: Header=BB2_676 Depth=2
	v_or_b32_sdwa v62, v10, s55 dst_sel:DWORD dst_unused:UNUSED_PAD src0_sel:BYTE_3 src1_sel:DWORD
                                        ; implicit-def: $vgpr10
; %bb.1037:                             ;   in Loop: Header=BB2_676 Depth=2
	s_andn2_saveexec_b64 s[22:23], s[22:23]
; %bb.1038:                             ;   in Loop: Header=BB2_676 Depth=2
	v_cmp_lt_i32_e32 vcc, -1, v10
	v_bfrev_b32_e32 v3, 0.5
	v_cndmask_b32_e32 v62, v3, v19, vcc
; %bb.1039:                             ;   in Loop: Header=BB2_676 Depth=2
	s_or_b64 exec, exec, s[22:23]
.LBB2_1040:                             ;   in Loop: Header=BB2_676 Depth=2
	s_or_b64 exec, exec, s[20:21]
	v_cmp_lt_u32_e32 vcc, s59, v16
	v_mov_b32_e32 v11, 0
	s_and_saveexec_b64 s[20:21], vcc
	s_cbranch_execz .LBB2_1048
; %bb.1041:                             ;   in Loop: Header=BB2_676 Depth=2
	v_lshrrev_b32_e32 v10, 24, v16
	v_cmp_ne_u32_e32 vcc, s64, v10
	v_bfrev_b32_e32 v11, 1
	s_and_saveexec_b64 s[22:23], vcc
	s_cbranch_execz .LBB2_1047
; %bb.1042:                             ;   in Loop: Header=BB2_676 Depth=2
	v_and_b32_e32 v11, 0x7c000000, v16
	v_bfe_u32 v3, v16, 24, 2
	v_cmp_ne_u32_e32 vcc, s67, v11
                                        ; implicit-def: $vgpr11
	s_and_saveexec_b64 s[90:91], vcc
	s_xor_b64 s[90:91], exec, s[90:91]
	s_cbranch_execz .LBB2_1044
; %bb.1043:                             ;   in Loop: Header=BB2_676 Depth=2
	v_ffbh_u32_e32 v11, v3
	v_min_u32_e32 v15, 32, v11
	v_subrev_u32_e32 v11, 29, v15
	v_lshlrev_b64 v[10:11], v11, v[10:11]
	v_bfe_u32 v14, v16, 26, 5
	v_sub_u32_e32 v11, 30, v15
	v_and_b32_e32 v10, 3, v10
	v_cmp_eq_u32_e32 vcc, 0, v14
	v_cndmask_b32_e32 v11, v14, v11, vcc
	v_cndmask_b32_e32 v3, v3, v10, vcc
	v_and_b32_e32 v10, 0x80000000, v16
	v_lshl_add_u32 v10, v11, 23, v10
	v_lshl_or_b32 v3, v3, 21, v10
	v_add_u32_e32 v11, 0x38000000, v3
                                        ; implicit-def: $vgpr3
.LBB2_1044:                             ;   in Loop: Header=BB2_676 Depth=2
	s_andn2_saveexec_b64 s[90:91], s[90:91]
; %bb.1045:                             ;   in Loop: Header=BB2_676 Depth=2
	v_cmp_lt_i32_e32 vcc, -1, v16
	v_cndmask_b32_e32 v10, v21, v61, vcc
	v_cmp_eq_u32_e32 vcc, 0, v3
	v_cndmask_b32_e32 v11, v2, v10, vcc
; %bb.1046:                             ;   in Loop: Header=BB2_676 Depth=2
	s_or_b64 exec, exec, s[90:91]
.LBB2_1047:                             ;   in Loop: Header=BB2_676 Depth=2
	s_or_b64 exec, exec, s[22:23]
.LBB2_1048:                             ;   in Loop: Header=BB2_676 Depth=2
	s_or_b64 exec, exec, s[20:21]
	v_bfe_u32 v10, v12, 24, 2
	v_and_b32_e32 v14, 0x7c000000, v12
	v_cmp_eq_u32_e32 vcc, s67, v14
	v_ffbh_u32_e32 v14, v10
	v_min_u32_e32 v25, 32, v14
	v_lshrrev_b32_e32 v3, 24, v12
	v_subrev_u32_e32 v14, 29, v25
	v_bfe_u32 v24, v12, 26, 5
	v_lshlrev_b64 v[14:15], v14, v[3:4]
	v_cmp_eq_u32_e64 s[20:21], 0, v24
	v_sub_u32_e32 v15, 30, v25
	v_and_b32_e32 v14, 3, v14
	v_cndmask_b32_e64 v15, v24, v15, s[20:21]
	v_and_b32_e32 v24, 0x80000000, v12
	v_cndmask_b32_e64 v14, v10, v14, s[20:21]
	v_lshl_add_u32 v15, v15, 23, v24
	v_cmp_lt_i32_e64 s[22:23], -1, v12
	v_lshl_or_b32 v14, v14, 21, v15
	v_cmp_eq_u32_e64 s[20:21], 0, v10
	v_cndmask_b32_e64 v10, v21, v61, s[22:23]
	v_add_u32_e32 v14, 0x38000000, v14
	v_cndmask_b32_e64 v10, v2, v10, s[20:21]
	v_cndmask_b32_e32 v10, v14, v10, vcc
	v_cmp_ne_u32_e32 vcc, s64, v3
	v_cndmask_b32_e32 v3, v0, v10, vcc
	v_cmp_lt_u32_e32 vcc, s59, v12
	v_cndmask_b32_e32 v3, 0, v3, vcc
	v_mul_f32_e32 v10, v3, v11
	v_and_b32_e32 v14, 0x7f800000, v10
	v_mov_b32_e32 v15, v37
	v_cmp_ne_u64_e32 vcc, s[60:61], v[14:15]
	v_and_b32_e32 v36, 0x7fffff, v10
                                        ; implicit-def: $vgpr24
	s_and_saveexec_b64 s[20:21], vcc
	s_xor_b64 s[22:23], exec, s[20:21]
	s_cbranch_execz .LBB2_1062
; %bb.1049:                             ;   in Loop: Header=BB2_676 Depth=2
	v_and_b32_e32 v14, 0x7fffffff, v10
	v_mov_b32_e32 v15, v37
	v_cmp_gt_u64_e32 vcc, s[62:63], v[14:15]
	v_and_b32_sdwa v25, v10, s64 dst_sel:DWORD dst_unused:UNUSED_PAD src0_sel:BYTE_3 src1_sel:DWORD
                                        ; implicit-def: $vgpr24
	s_and_saveexec_b64 s[20:21], vcc
	s_xor_b64 s[90:91], exec, s[20:21]
	s_cbranch_execz .LBB2_1059
; %bb.1050:                             ;   in Loop: Header=BB2_676 Depth=2
	v_mov_b32_e32 v24, 0
	v_cmp_ne_u32_e32 vcc, 0, v10
	s_and_saveexec_b64 s[92:93], vcc
	s_cbranch_execz .LBB2_1058
; %bb.1051:                             ;   in Loop: Header=BB2_676 Depth=2
	v_bfe_u32 v3, v10, 23, 8
	v_cmp_gt_u32_e64 s[20:21], s65, v3
	v_sub_u32_e32 v10, 0x71, v3
	v_cmp_eq_u32_e32 vcc, 0, v3
	v_cndmask_b32_e64 v10, 0, v10, s[20:21]
	v_mov_b32_e32 v14, 0x70
	v_cndmask_b32_e32 v24, v10, v14, vcc
	v_or_b32_e32 v11, 0x800000, v36
	v_add_u32_e32 v10, 21, v24
	v_cndmask_b32_e32 v36, v11, v36, vcc
	v_lshlrev_b64 v[10:11], v10, -1
	v_add_u32_e32 v14, 20, v24
	v_lshlrev_b64 v[14:15], v14, 1
	v_bfi_b32 v11, v11, 0, 0
	v_bfi_b32 v10, v10, 0, v36
	v_cmp_eq_u64_e64 s[20:21], v[10:11], v[14:15]
	v_lshrrev_b64 v[10:11], v24, v[36:37]
	v_mov_b32_e32 v15, v11
	v_mov_b32_e32 v14, v10
	s_and_saveexec_b64 s[94:95], s[20:21]
; %bb.1052:                             ;   in Loop: Header=BB2_676 Depth=2
	v_bfe_u32 v11, v10, 21, 1
	v_add_co_u32_e64 v11, s[20:21], v10, v11
	v_add_co_u32_e64 v14, s[20:21], -1, v11
; %bb.1053:                             ;   in Loop: Header=BB2_676 Depth=2
	s_or_b64 exec, exec, s[94:95]
	v_add_u32_e32 v3, 0xffffff81, v3
	v_mov_b32_e32 v11, 0xffffff82
	v_cndmask_b32_e32 v3, v3, v11, vcc
	v_lshrrev_b32_e32 v11, 23, v10
	v_add3_u32 v24, v24, v3, v11
	v_add_u32_e32 v15, 14, v24
	v_and_b32_e32 v3, 0x1fffff, v14
	v_add_u32_e32 v36, v3, v10
	v_cmp_ne_u32_e32 vcc, 0, v15
                                        ; implicit-def: $vgpr10_vgpr11
                                        ; implicit-def: $vgpr3
	s_and_saveexec_b64 s[20:21], vcc
	s_xor_b64 s[20:21], exec, s[20:21]
; %bb.1054:                             ;   in Loop: Header=BB2_676 Depth=2
	v_cmp_lt_u64_e32 vcc, s[72:73], v[36:37]
	v_add_u32_e32 v3, 15, v24
	v_cndmask_b32_e64 v10, 0, 1, vcc
	v_cndmask_b32_e32 v3, v15, v3, vcc
	v_lshrrev_b64 v[10:11], v10, v[36:37]
; %bb.1055:                             ;   in Loop: Header=BB2_676 Depth=2
	s_andn2_saveexec_b64 s[20:21], s[20:21]
; %bb.1056:                             ;   in Loop: Header=BB2_676 Depth=2
	v_mov_b32_e32 v10, v36
	v_bfe_u32 v3, v36, 23, 1
	v_mov_b32_e32 v11, v37
; %bb.1057:                             ;   in Loop: Header=BB2_676 Depth=2
	s_or_b64 exec, exec, s[20:21]
	v_lshrrev_b64 v[10:11], 21, v[10:11]
	v_cmp_gt_i32_e32 vcc, 32, v3
	v_cndmask_b32_e32 v11, 0, v11, vcc
	v_cndmask_b32_e32 v10, 3, v10, vcc
	v_cmp_eq_u32_e32 vcc, 0, v3
	v_min_i32_e32 v3, 31, v3
	v_cmp_eq_u64_e64 s[20:21], 0, v[10:11]
	v_lshlrev_b32_e32 v3, 2, v3
	v_and_b32_e32 v3, 0xfc, v3
	v_and_or_b32 v3, v10, 3, v3
	s_and_b64 s[20:21], vcc, s[20:21]
	v_cndmask_b32_e64 v3, v3, 0, s[20:21]
	v_or_b32_e32 v24, v3, v25
.LBB2_1058:                             ;   in Loop: Header=BB2_676 Depth=2
	s_or_b64 exec, exec, s[92:93]
                                        ; implicit-def: $vgpr25
.LBB2_1059:                             ;   in Loop: Header=BB2_676 Depth=2
	s_andn2_saveexec_b64 s[20:21], s[90:91]
; %bb.1060:                             ;   in Loop: Header=BB2_676 Depth=2
	v_or_b32_e32 v24, 0x7b, v25
; %bb.1061:                             ;   in Loop: Header=BB2_676 Depth=2
	s_or_b64 exec, exec, s[20:21]
                                        ; implicit-def: $vgpr10
.LBB2_1062:                             ;   in Loop: Header=BB2_676 Depth=2
	s_andn2_saveexec_b64 s[20:21], s[22:23]
	s_cbranch_execz .LBB2_1068
; %bb.1063:                             ;   in Loop: Header=BB2_676 Depth=2
	v_cmp_ne_u64_e32 vcc, 0, v[36:37]
                                        ; implicit-def: $vgpr24
	s_and_saveexec_b64 s[22:23], vcc
	s_xor_b64 s[22:23], exec, s[22:23]
; %bb.1064:                             ;   in Loop: Header=BB2_676 Depth=2
	v_or_b32_sdwa v24, v10, s55 dst_sel:DWORD dst_unused:UNUSED_PAD src0_sel:BYTE_3 src1_sel:DWORD
                                        ; implicit-def: $vgpr10
; %bb.1065:                             ;   in Loop: Header=BB2_676 Depth=2
	s_andn2_saveexec_b64 s[22:23], s[22:23]
; %bb.1066:                             ;   in Loop: Header=BB2_676 Depth=2
	v_cmp_lt_i32_e32 vcc, -1, v10
	v_bfrev_b32_e32 v3, 0.5
	v_cndmask_b32_e32 v24, v3, v19, vcc
; %bb.1067:                             ;   in Loop: Header=BB2_676 Depth=2
	s_or_b64 exec, exec, s[22:23]
.LBB2_1068:                             ;   in Loop: Header=BB2_676 Depth=2
	s_or_b64 exec, exec, s[20:21]
	v_mov_b32_e32 v36, v17
	v_cmp_ne_u16_sdwa s[22:23], v17, v37 src0_sel:BYTE_0 src1_sel:DWORD
	v_mov_b32_e32 v14, 0
	s_and_saveexec_b64 s[20:21], s[22:23]
	s_cbranch_execz .LBB2_1076
; %bb.1069:                             ;   in Loop: Header=BB2_676 Depth=2
	v_cmp_ne_u16_sdwa s[90:91], v17, s64 src0_sel:BYTE_0 src1_sel:DWORD
	v_bfrev_b32_e32 v14, 1
	s_and_saveexec_b64 s[22:23], s[90:91]
	s_cbranch_execz .LBB2_1075
; %bb.1070:                             ;   in Loop: Header=BB2_676 Depth=2
	v_and_b32_e32 v10, 0x7c, v17
	v_and_b32_e32 v3, 3, v17
	v_cmp_ne_u32_e32 vcc, s53, v10
                                        ; implicit-def: $vgpr14
	s_and_saveexec_b64 s[90:91], vcc
	s_xor_b64 s[90:91], exec, s[90:91]
	s_cbranch_execz .LBB2_1072
; %bb.1071:                             ;   in Loop: Header=BB2_676 Depth=2
	v_ffbh_u32_e32 v10, v3
	v_min_u32_e32 v15, 32, v10
	v_subrev_u32_e32 v10, 29, v15
	v_lshlrev_b64 v[10:11], v10, v[36:37]
	v_bfe_u32 v14, v17, 2, 5
	v_and_b32_e32 v10, 3, v10
	v_cmp_eq_u32_e32 vcc, 0, v14
	v_sub_u32_e32 v11, 30, v15
	v_cndmask_b32_e32 v3, v3, v10, vcc
	v_lshlrev_b32_e32 v10, 24, v17
	v_cndmask_b32_e32 v11, v14, v11, vcc
	v_and_b32_e32 v10, 0x80000000, v10
	v_lshl_add_u32 v10, v11, 23, v10
	v_lshl_or_b32 v3, v3, 21, v10
	v_add_u32_e32 v14, 0x38000000, v3
                                        ; implicit-def: $vgpr3
.LBB2_1072:                             ;   in Loop: Header=BB2_676 Depth=2
	s_andn2_saveexec_b64 s[90:91], s[90:91]
; %bb.1073:                             ;   in Loop: Header=BB2_676 Depth=2
	v_cmp_gt_i16_sdwa vcc, sext(v17), v20 src0_sel:BYTE_0 src1_sel:DWORD
	v_cndmask_b32_e32 v10, v21, v61, vcc
	v_cmp_eq_u32_e32 vcc, 0, v3
	v_cndmask_b32_e32 v14, v2, v10, vcc
; %bb.1074:                             ;   in Loop: Header=BB2_676 Depth=2
	s_or_b64 exec, exec, s[90:91]
.LBB2_1075:                             ;   in Loop: Header=BB2_676 Depth=2
	s_or_b64 exec, exec, s[22:23]
.LBB2_1076:                             ;   in Loop: Header=BB2_676 Depth=2
	s_or_b64 exec, exec, s[20:21]
	v_cmp_gt_i16_sdwa s[22:23], v13, s55 src0_sel:BYTE_0 src1_sel:DWORD
	s_mov_b64 s[20:21], 0
	s_and_saveexec_b64 s[90:91], s[22:23]
	s_xor_b64 s[22:23], exec, s[90:91]
	s_cbranch_execz .LBB2_1080
; %bb.1077:                             ;   in Loop: Header=BB2_676 Depth=2
	v_cmp_eq_u16_sdwa s[92:93], v13, s64 src0_sel:BYTE_0 src1_sel:DWORD
	s_mov_b64 s[20:21], -1
	s_and_saveexec_b64 s[90:91], s[92:93]
; %bb.1078:                             ;   in Loop: Header=BB2_676 Depth=2
	s_xor_b64 s[20:21], exec, -1
; %bb.1079:                             ;   in Loop: Header=BB2_676 Depth=2
	s_or_b64 exec, exec, s[90:91]
	s_and_b64 s[20:21], s[20:21], exec
.LBB2_1080:                             ;   in Loop: Header=BB2_676 Depth=2
	s_or_saveexec_b64 s[22:23], s[22:23]
	v_bfrev_b32_e32 v3, 1
	s_xor_b64 exec, exec, s[22:23]
; %bb.1081:                             ;   in Loop: Header=BB2_676 Depth=2
	v_cmp_ne_u16_sdwa s[90:91], v13, v37 src0_sel:BYTE_0 src1_sel:DWORD
	s_andn2_b64 s[20:21], s[20:21], exec
	s_and_b64 s[90:91], s[90:91], exec
	v_mov_b32_e32 v3, 0
	s_or_b64 s[20:21], s[20:21], s[90:91]
; %bb.1082:                             ;   in Loop: Header=BB2_676 Depth=2
	s_or_b64 exec, exec, s[22:23]
	v_mov_b32_e32 v10, v13
	v_mov_b32_e32 v11, v37
	s_and_saveexec_b64 s[90:91], s[20:21]
	s_cbranch_execz .LBB2_1084
; %bb.1083:                             ;   in Loop: Header=BB2_676 Depth=2
	v_and_b32_e32 v3, 3, v13
	v_and_b32_e32 v25, 0x7c, v13
	v_cmp_eq_u32_e32 vcc, s53, v25
	v_ffbh_u32_e32 v25, v3
	v_min_u32_e32 v25, 32, v25
	v_subrev_u32_e32 v34, 29, v25
	v_lshlrev_b64 v[34:35], v34, v[10:11]
	v_bfe_u32 v15, v13, 2, 5
	v_cmp_eq_u32_e64 s[20:21], 0, v15
	v_sub_u32_e32 v11, 30, v25
	v_and_b32_e32 v25, 3, v34
	v_cndmask_b32_e64 v11, v15, v11, s[20:21]
	v_cndmask_b32_e64 v15, v3, v25, s[20:21]
	v_lshlrev_b32_e32 v25, 24, v13
	v_and_b32_e32 v25, 0x80000000, v25
	v_lshl_add_u32 v11, v11, 23, v25
	v_cmp_gt_i16_sdwa s[22:23], sext(v13), v20 src0_sel:BYTE_0 src1_sel:DWORD
	v_lshl_or_b32 v11, v15, 21, v11
	v_cmp_eq_u32_e64 s[20:21], 0, v3
	v_cndmask_b32_e64 v3, v21, v61, s[22:23]
	v_add_u32_e32 v11, 0x38000000, v11
	v_cndmask_b32_e64 v3, v2, v3, s[20:21]
	v_cndmask_b32_e32 v3, v11, v3, vcc
.LBB2_1084:                             ;   in Loop: Header=BB2_676 Depth=2
	s_or_b64 exec, exec, s[90:91]
	v_mul_f32_e32 v44, v14, v3
	v_and_b32_e32 v34, 0x7f800000, v44
	v_mov_b32_e32 v35, v37
	v_cmp_ne_u64_e32 vcc, s[60:61], v[34:35]
	v_and_b32_e32 v14, 0x7fffff, v44
	v_mov_b32_e32 v15, v37
                                        ; implicit-def: $vgpr25
	s_and_saveexec_b64 s[20:21], vcc
	s_xor_b64 s[22:23], exec, s[20:21]
	s_cbranch_execz .LBB2_1098
; %bb.1085:                             ;   in Loop: Header=BB2_676 Depth=2
	v_and_b32_e32 v34, 0x7fffffff, v44
	v_mov_b32_e32 v35, v37
	v_cmp_gt_u64_e32 vcc, s[62:63], v[34:35]
	v_and_b32_sdwa v11, v44, s64 dst_sel:DWORD dst_unused:UNUSED_PAD src0_sel:BYTE_3 src1_sel:DWORD
                                        ; implicit-def: $vgpr25
	s_and_saveexec_b64 s[20:21], vcc
	s_xor_b64 s[90:91], exec, s[20:21]
	s_cbranch_execz .LBB2_1095
; %bb.1086:                             ;   in Loop: Header=BB2_676 Depth=2
	v_mov_b32_e32 v25, 0
	v_cmp_ne_u32_e32 vcc, 0, v44
	s_and_saveexec_b64 s[92:93], vcc
	s_cbranch_execz .LBB2_1094
; %bb.1087:                             ;   in Loop: Header=BB2_676 Depth=2
	v_bfe_u32 v3, v44, 23, 8
	v_cmp_gt_u32_e64 s[20:21], s65, v3
	v_sub_u32_e32 v25, 0x71, v3
	v_cmp_eq_u32_e32 vcc, 0, v3
	v_cndmask_b32_e64 v25, 0, v25, s[20:21]
	v_mov_b32_e32 v35, 0x70
	v_or_b32_e32 v34, 0x800000, v14
	v_cndmask_b32_e32 v25, v25, v35, vcc
	v_cndmask_b32_e32 v14, v34, v14, vcc
	v_add_u32_e32 v34, 21, v25
	v_lshlrev_b64 v[34:35], v34, -1
	v_add_u32_e32 v44, 20, v25
	v_bfi_b32 v34, v34, 0, v14
	v_lshlrev_b64 v[44:45], v44, 1
	v_lshrrev_b64 v[14:15], v25, v[14:15]
	v_bfi_b32 v35, v35, 0, 0
	v_cmp_eq_u64_e64 s[20:21], v[34:35], v[44:45]
	v_mov_b32_e32 v45, v15
	v_mov_b32_e32 v44, v14
	s_and_saveexec_b64 s[94:95], s[20:21]
; %bb.1088:                             ;   in Loop: Header=BB2_676 Depth=2
	v_bfe_u32 v15, v14, 21, 1
	v_add_co_u32_e64 v15, s[20:21], v14, v15
	v_add_co_u32_e64 v44, s[20:21], -1, v15
; %bb.1089:                             ;   in Loop: Header=BB2_676 Depth=2
	s_or_b64 exec, exec, s[94:95]
	v_add_u32_e32 v3, 0xffffff81, v3
	v_mov_b32_e32 v15, 0xffffff82
	v_cndmask_b32_e32 v3, v3, v15, vcc
	v_lshrrev_b32_e32 v15, 23, v14
	v_add3_u32 v34, v25, v3, v15
	v_add_u32_e32 v25, 14, v34
	v_and_b32_e32 v3, 0x1fffff, v44
	v_add_u32_e32 v14, v3, v14
	v_mov_b32_e32 v15, v37
	v_cmp_ne_u32_e32 vcc, 0, v25
                                        ; implicit-def: $vgpr3
	s_and_saveexec_b64 s[20:21], vcc
	s_xor_b64 s[20:21], exec, s[20:21]
; %bb.1090:                             ;   in Loop: Header=BB2_676 Depth=2
	v_cmp_lt_u64_e32 vcc, s[72:73], v[14:15]
	v_add_u32_e32 v3, 15, v34
	v_cndmask_b32_e32 v3, v25, v3, vcc
	v_cndmask_b32_e64 v25, 0, 1, vcc
	v_lshrrev_b64 v[14:15], v25, v[14:15]
; %bb.1091:                             ;   in Loop: Header=BB2_676 Depth=2
	s_andn2_saveexec_b64 s[20:21], s[20:21]
; %bb.1092:                             ;   in Loop: Header=BB2_676 Depth=2
	v_bfe_u32 v3, v14, 23, 1
; %bb.1093:                             ;   in Loop: Header=BB2_676 Depth=2
	s_or_b64 exec, exec, s[20:21]
	v_lshrrev_b64 v[14:15], 21, v[14:15]
	v_cmp_gt_i32_e32 vcc, 32, v3
	v_cndmask_b32_e32 v15, 0, v15, vcc
	v_cndmask_b32_e32 v14, 3, v14, vcc
	v_cmp_eq_u32_e32 vcc, 0, v3
	v_min_i32_e32 v3, 31, v3
	v_cmp_eq_u64_e64 s[20:21], 0, v[14:15]
	v_lshlrev_b32_e32 v3, 2, v3
	v_and_b32_e32 v3, 0xfc, v3
	v_and_or_b32 v3, v14, 3, v3
	s_and_b64 s[20:21], vcc, s[20:21]
	v_cndmask_b32_e64 v3, v3, 0, s[20:21]
	v_or_b32_e32 v25, v3, v11
.LBB2_1094:                             ;   in Loop: Header=BB2_676 Depth=2
	s_or_b64 exec, exec, s[92:93]
                                        ; implicit-def: $vgpr11
.LBB2_1095:                             ;   in Loop: Header=BB2_676 Depth=2
	s_andn2_saveexec_b64 s[20:21], s[90:91]
; %bb.1096:                             ;   in Loop: Header=BB2_676 Depth=2
	v_or_b32_e32 v25, 0x7b, v11
; %bb.1097:                             ;   in Loop: Header=BB2_676 Depth=2
	s_or_b64 exec, exec, s[20:21]
                                        ; implicit-def: $vgpr44
                                        ; implicit-def: $vgpr14_vgpr15
.LBB2_1098:                             ;   in Loop: Header=BB2_676 Depth=2
	s_andn2_saveexec_b64 s[20:21], s[22:23]
	s_cbranch_execz .LBB2_1104
; %bb.1099:                             ;   in Loop: Header=BB2_676 Depth=2
	v_cmp_ne_u64_e32 vcc, 0, v[14:15]
                                        ; implicit-def: $vgpr25
	s_and_saveexec_b64 s[22:23], vcc
	s_xor_b64 s[22:23], exec, s[22:23]
; %bb.1100:                             ;   in Loop: Header=BB2_676 Depth=2
	v_or_b32_sdwa v25, v44, s55 dst_sel:DWORD dst_unused:UNUSED_PAD src0_sel:BYTE_3 src1_sel:DWORD
                                        ; implicit-def: $vgpr44
; %bb.1101:                             ;   in Loop: Header=BB2_676 Depth=2
	s_andn2_saveexec_b64 s[22:23], s[22:23]
; %bb.1102:                             ;   in Loop: Header=BB2_676 Depth=2
	v_cmp_lt_i32_e32 vcc, -1, v44
	v_bfrev_b32_e32 v3, 0.5
	v_cndmask_b32_e32 v25, v3, v19, vcc
; %bb.1103:                             ;   in Loop: Header=BB2_676 Depth=2
	s_or_b64 exec, exec, s[22:23]
.LBB2_1104:                             ;   in Loop: Header=BB2_676 Depth=2
	s_or_b64 exec, exec, s[20:21]
	v_lshrrev_b16_e32 v14, 8, v36
	v_cmp_ne_u16_e32 vcc, 0, v14
	v_mov_b32_e32 v11, 0
	s_and_saveexec_b64 s[20:21], vcc
	s_cbranch_execz .LBB2_1112
; %bb.1105:                             ;   in Loop: Header=BB2_676 Depth=2
	v_cmp_ne_u16_e32 vcc, s64, v14
	v_bfrev_b32_e32 v11, 1
	s_and_saveexec_b64 s[22:23], vcc
	s_cbranch_execz .LBB2_1111
; %bb.1106:                             ;   in Loop: Header=BB2_676 Depth=2
	v_and_b32_e32 v11, 0x7c, v14
	v_and_b32_e32 v3, 3, v14
	v_cmp_ne_u32_e32 vcc, s53, v11
                                        ; implicit-def: $vgpr11
	s_and_saveexec_b64 s[90:91], vcc
	s_xor_b64 s[90:91], exec, s[90:91]
	s_cbranch_execz .LBB2_1108
; %bb.1107:                             ;   in Loop: Header=BB2_676 Depth=2
	v_ffbh_u32_e32 v34, v3
	v_min_u32_e32 v34, 32, v34
	v_mov_b32_e32 v15, v37
	v_subrev_u32_e32 v35, 29, v34
	v_bfe_u32 v11, v14, 2, 5
	v_lshlrev_b64 v[14:15], v35, v[14:15]
	v_cmp_eq_u32_e32 vcc, 0, v11
	v_and_b32_e32 v14, 3, v14
	v_sub_u32_e32 v15, 30, v34
	v_cndmask_b32_e32 v3, v3, v14, vcc
	v_lshlrev_b32_e32 v14, 16, v36
	v_cndmask_b32_e32 v11, v11, v15, vcc
	v_and_b32_e32 v14, 0x80000000, v14
	v_lshl_add_u32 v11, v11, 23, v14
	v_lshl_or_b32 v3, v3, 21, v11
	v_add_u32_e32 v11, 0x38000000, v3
                                        ; implicit-def: $vgpr3
.LBB2_1108:                             ;   in Loop: Header=BB2_676 Depth=2
	s_andn2_saveexec_b64 s[90:91], s[90:91]
; %bb.1109:                             ;   in Loop: Header=BB2_676 Depth=2
	v_cmp_lt_i16_e32 vcc, -1, v36
	v_cndmask_b32_e32 v11, v21, v61, vcc
	v_cmp_eq_u32_e32 vcc, 0, v3
	v_cndmask_b32_e32 v11, v2, v11, vcc
; %bb.1110:                             ;   in Loop: Header=BB2_676 Depth=2
	s_or_b64 exec, exec, s[90:91]
.LBB2_1111:                             ;   in Loop: Header=BB2_676 Depth=2
	s_or_b64 exec, exec, s[22:23]
.LBB2_1112:                             ;   in Loop: Header=BB2_676 Depth=2
	s_or_b64 exec, exec, s[20:21]
	v_lshrrev_b16_e32 v36, 8, v10
	v_cmp_lt_i16_e32 vcc, s55, v36
	s_mov_b64 s[20:21], 0
	s_and_saveexec_b64 s[22:23], vcc
	s_xor_b64 s[22:23], exec, s[22:23]
	s_cbranch_execz .LBB2_1215
; %bb.1113:                             ;   in Loop: Header=BB2_676 Depth=2
	v_cmp_eq_u16_e32 vcc, s64, v36
	s_mov_b64 s[20:21], -1
	s_and_saveexec_b64 s[90:91], vcc
; %bb.1114:                             ;   in Loop: Header=BB2_676 Depth=2
	s_xor_b64 s[20:21], exec, -1
; %bb.1115:                             ;   in Loop: Header=BB2_676 Depth=2
	s_or_b64 exec, exec, s[90:91]
	s_and_b64 s[20:21], s[20:21], exec
	s_or_saveexec_b64 s[22:23], s[22:23]
	v_bfrev_b32_e32 v3, 1
	s_xor_b64 exec, exec, s[22:23]
	s_cbranch_execnz .LBB2_1216
.LBB2_1116:                             ;   in Loop: Header=BB2_676 Depth=2
	s_or_b64 exec, exec, s[22:23]
	s_and_saveexec_b64 s[90:91], s[20:21]
	s_cbranch_execz .LBB2_1118
.LBB2_1117:                             ;   in Loop: Header=BB2_676 Depth=2
	v_and_b32_e32 v3, 3, v36
	v_and_b32_e32 v14, 0x7c, v36
	v_cmp_eq_u32_e32 vcc, s53, v14
	v_ffbh_u32_e32 v14, v3
	v_min_u32_e32 v35, 32, v14
	v_subrev_u32_e32 v14, 29, v35
	v_bfe_u32 v34, v36, 2, 5
	v_lshlrev_b64 v[14:15], v14, v[36:37]
	v_cmp_eq_u32_e64 s[20:21], 0, v34
	v_sub_u32_e32 v15, 30, v35
	v_cndmask_b32_e64 v15, v34, v15, s[20:21]
	v_lshlrev_b32_e32 v34, 24, v36
	v_and_b32_e32 v14, 3, v14
	v_and_b32_e32 v34, 0x80000000, v34
	v_cndmask_b32_e64 v14, v3, v14, s[20:21]
	v_lshl_add_u32 v15, v15, 23, v34
	v_cmp_lt_i16_e64 s[22:23], -1, v10
	v_lshl_or_b32 v14, v14, 21, v15
	v_cmp_eq_u32_e64 s[20:21], 0, v3
	v_cndmask_b32_e64 v3, v21, v61, s[22:23]
	v_add_u32_e32 v14, 0x38000000, v14
	v_cndmask_b32_e64 v3, v2, v3, s[20:21]
	v_cndmask_b32_e32 v3, v14, v3, vcc
.LBB2_1118:                             ;   in Loop: Header=BB2_676 Depth=2
	s_or_b64 exec, exec, s[90:91]
	v_mul_f32_e32 v10, v11, v3
	v_and_b32_e32 v14, 0x7f800000, v10
	v_mov_b32_e32 v15, v37
	v_cmp_ne_u64_e32 vcc, s[60:61], v[14:15]
	v_and_b32_e32 v36, 0x7fffff, v10
                                        ; implicit-def: $vgpr44
	s_and_saveexec_b64 s[20:21], vcc
	s_xor_b64 s[22:23], exec, s[20:21]
	s_cbranch_execz .LBB2_1132
; %bb.1119:                             ;   in Loop: Header=BB2_676 Depth=2
	v_and_b32_e32 v14, 0x7fffffff, v10
	v_mov_b32_e32 v15, v37
	v_cmp_gt_u64_e32 vcc, s[62:63], v[14:15]
	v_and_b32_sdwa v45, v10, s64 dst_sel:DWORD dst_unused:UNUSED_PAD src0_sel:BYTE_3 src1_sel:DWORD
                                        ; implicit-def: $vgpr44
	s_and_saveexec_b64 s[20:21], vcc
	s_xor_b64 s[90:91], exec, s[20:21]
	s_cbranch_execz .LBB2_1129
; %bb.1120:                             ;   in Loop: Header=BB2_676 Depth=2
	v_mov_b32_e32 v44, 0
	v_cmp_ne_u32_e32 vcc, 0, v10
	s_and_saveexec_b64 s[92:93], vcc
	s_cbranch_execz .LBB2_1128
; %bb.1121:                             ;   in Loop: Header=BB2_676 Depth=2
	v_bfe_u32 v3, v10, 23, 8
	v_cmp_gt_u32_e64 s[20:21], s65, v3
	v_sub_u32_e32 v10, 0x71, v3
	v_cmp_eq_u32_e32 vcc, 0, v3
	v_cndmask_b32_e64 v10, 0, v10, s[20:21]
	v_mov_b32_e32 v14, 0x70
	v_cndmask_b32_e32 v34, v10, v14, vcc
	v_or_b32_e32 v11, 0x800000, v36
	v_add_u32_e32 v10, 21, v34
	v_cndmask_b32_e32 v36, v11, v36, vcc
	v_lshlrev_b64 v[10:11], v10, -1
	v_add_u32_e32 v14, 20, v34
	v_lshlrev_b64 v[14:15], v14, 1
	v_bfi_b32 v11, v11, 0, 0
	v_bfi_b32 v10, v10, 0, v36
	v_cmp_eq_u64_e64 s[20:21], v[10:11], v[14:15]
	v_lshrrev_b64 v[10:11], v34, v[36:37]
	v_mov_b32_e32 v15, v11
	v_mov_b32_e32 v14, v10
	s_and_saveexec_b64 s[94:95], s[20:21]
; %bb.1122:                             ;   in Loop: Header=BB2_676 Depth=2
	v_bfe_u32 v11, v10, 21, 1
	v_add_co_u32_e64 v11, s[20:21], v10, v11
	v_add_co_u32_e64 v14, s[20:21], -1, v11
; %bb.1123:                             ;   in Loop: Header=BB2_676 Depth=2
	s_or_b64 exec, exec, s[94:95]
	v_add_u32_e32 v3, 0xffffff81, v3
	v_mov_b32_e32 v11, 0xffffff82
	v_cndmask_b32_e32 v3, v3, v11, vcc
	v_lshrrev_b32_e32 v11, 23, v10
	v_add3_u32 v34, v34, v3, v11
	v_add_u32_e32 v15, 14, v34
	v_and_b32_e32 v3, 0x1fffff, v14
	v_add_u32_e32 v36, v3, v10
	v_cmp_ne_u32_e32 vcc, 0, v15
                                        ; implicit-def: $vgpr10_vgpr11
                                        ; implicit-def: $vgpr3
	s_and_saveexec_b64 s[20:21], vcc
	s_xor_b64 s[20:21], exec, s[20:21]
; %bb.1124:                             ;   in Loop: Header=BB2_676 Depth=2
	v_cmp_lt_u64_e32 vcc, s[72:73], v[36:37]
	v_add_u32_e32 v3, 15, v34
	v_cndmask_b32_e64 v10, 0, 1, vcc
	v_cndmask_b32_e32 v3, v15, v3, vcc
	v_lshrrev_b64 v[10:11], v10, v[36:37]
; %bb.1125:                             ;   in Loop: Header=BB2_676 Depth=2
	s_andn2_saveexec_b64 s[20:21], s[20:21]
; %bb.1126:                             ;   in Loop: Header=BB2_676 Depth=2
	v_mov_b32_e32 v10, v36
	v_bfe_u32 v3, v36, 23, 1
	v_mov_b32_e32 v11, v37
; %bb.1127:                             ;   in Loop: Header=BB2_676 Depth=2
	s_or_b64 exec, exec, s[20:21]
	v_lshrrev_b64 v[10:11], 21, v[10:11]
	v_cmp_gt_i32_e32 vcc, 32, v3
	v_cndmask_b32_e32 v11, 0, v11, vcc
	v_cndmask_b32_e32 v10, 3, v10, vcc
	v_cmp_eq_u32_e32 vcc, 0, v3
	v_min_i32_e32 v3, 31, v3
	v_cmp_eq_u64_e64 s[20:21], 0, v[10:11]
	v_lshlrev_b32_e32 v3, 2, v3
	v_and_b32_e32 v3, 0xfc, v3
	v_and_or_b32 v3, v10, 3, v3
	s_and_b64 s[20:21], vcc, s[20:21]
	v_cndmask_b32_e64 v3, v3, 0, s[20:21]
	v_or_b32_e32 v44, v3, v45
.LBB2_1128:                             ;   in Loop: Header=BB2_676 Depth=2
	s_or_b64 exec, exec, s[92:93]
                                        ; implicit-def: $vgpr45
.LBB2_1129:                             ;   in Loop: Header=BB2_676 Depth=2
	s_andn2_saveexec_b64 s[20:21], s[90:91]
; %bb.1130:                             ;   in Loop: Header=BB2_676 Depth=2
	v_or_b32_e32 v44, 0x7b, v45
; %bb.1131:                             ;   in Loop: Header=BB2_676 Depth=2
	s_or_b64 exec, exec, s[20:21]
                                        ; implicit-def: $vgpr10
.LBB2_1132:                             ;   in Loop: Header=BB2_676 Depth=2
	s_andn2_saveexec_b64 s[20:21], s[22:23]
	s_cbranch_execz .LBB2_1138
; %bb.1133:                             ;   in Loop: Header=BB2_676 Depth=2
	v_cmp_ne_u64_e32 vcc, 0, v[36:37]
                                        ; implicit-def: $vgpr44
	s_and_saveexec_b64 s[22:23], vcc
	s_xor_b64 s[22:23], exec, s[22:23]
; %bb.1134:                             ;   in Loop: Header=BB2_676 Depth=2
	v_or_b32_sdwa v44, v10, s55 dst_sel:DWORD dst_unused:UNUSED_PAD src0_sel:BYTE_3 src1_sel:DWORD
                                        ; implicit-def: $vgpr10
; %bb.1135:                             ;   in Loop: Header=BB2_676 Depth=2
	s_andn2_saveexec_b64 s[22:23], s[22:23]
; %bb.1136:                             ;   in Loop: Header=BB2_676 Depth=2
	v_cmp_lt_i32_e32 vcc, -1, v10
	v_bfrev_b32_e32 v3, 0.5
	v_cndmask_b32_e32 v44, v3, v19, vcc
; %bb.1137:                             ;   in Loop: Header=BB2_676 Depth=2
	s_or_b64 exec, exec, s[22:23]
.LBB2_1138:                             ;   in Loop: Header=BB2_676 Depth=2
	s_or_b64 exec, exec, s[20:21]
	v_lshrrev_b32_e32 v10, 16, v17
	v_cmp_ne_u16_sdwa s[22:23], v10, v37 src0_sel:BYTE_0 src1_sel:DWORD
	v_mov_b32_e32 v11, 0
	s_and_saveexec_b64 s[20:21], s[22:23]
	s_cbranch_execz .LBB2_1146
; %bb.1139:                             ;   in Loop: Header=BB2_676 Depth=2
	v_cmp_ne_u16_sdwa s[90:91], v10, s64 src0_sel:BYTE_0 src1_sel:DWORD
	v_bfrev_b32_e32 v11, 1
	s_and_saveexec_b64 s[22:23], s[90:91]
	s_cbranch_execz .LBB2_1145
; %bb.1140:                             ;   in Loop: Header=BB2_676 Depth=2
	v_and_b32_e32 v11, 0x7c0000, v17
	v_bfe_u32 v3, v17, 16, 2
	v_cmp_ne_u32_e32 vcc, s66, v11
                                        ; implicit-def: $vgpr11
	s_and_saveexec_b64 s[90:91], vcc
	s_xor_b64 s[90:91], exec, s[90:91]
	s_cbranch_execz .LBB2_1142
; %bb.1141:                             ;   in Loop: Header=BB2_676 Depth=2
	v_ffbh_u32_e32 v11, v3
	v_min_u32_e32 v15, 32, v11
	v_subrev_u32_e32 v11, 29, v15
	v_lshlrev_b64 v[10:11], v11, v[10:11]
	v_bfe_u32 v14, v17, 18, 5
	v_and_b32_e32 v10, 3, v10
	v_cmp_eq_u32_e32 vcc, 0, v14
	v_sub_u32_e32 v11, 30, v15
	v_cndmask_b32_e32 v3, v3, v10, vcc
	v_lshlrev_b32_e32 v10, 8, v17
	v_cndmask_b32_e32 v11, v14, v11, vcc
	v_and_b32_e32 v10, 0x80000000, v10
	v_lshl_add_u32 v10, v11, 23, v10
	v_lshl_or_b32 v3, v3, 21, v10
	v_add_u32_e32 v11, 0x38000000, v3
                                        ; implicit-def: $vgpr3
                                        ; implicit-def: $vgpr10
.LBB2_1142:                             ;   in Loop: Header=BB2_676 Depth=2
	s_andn2_saveexec_b64 s[90:91], s[90:91]
; %bb.1143:                             ;   in Loop: Header=BB2_676 Depth=2
	v_cmp_gt_i16_sdwa vcc, sext(v10), v20 src0_sel:BYTE_0 src1_sel:DWORD
	v_cndmask_b32_e32 v10, v21, v61, vcc
	v_cmp_eq_u32_e32 vcc, 0, v3
	v_cndmask_b32_e32 v11, v2, v10, vcc
; %bb.1144:                             ;   in Loop: Header=BB2_676 Depth=2
	s_or_b64 exec, exec, s[90:91]
.LBB2_1145:                             ;   in Loop: Header=BB2_676 Depth=2
	s_or_b64 exec, exec, s[22:23]
.LBB2_1146:                             ;   in Loop: Header=BB2_676 Depth=2
	s_or_b64 exec, exec, s[20:21]
	v_lshrrev_b32_e32 v10, 16, v13
	v_cmp_gt_i16_sdwa s[22:23], v10, s55 src0_sel:BYTE_0 src1_sel:DWORD
	s_mov_b64 s[20:21], 0
	s_and_saveexec_b64 s[90:91], s[22:23]
	s_xor_b64 s[22:23], exec, s[90:91]
	s_cbranch_execz .LBB2_1217
; %bb.1147:                             ;   in Loop: Header=BB2_676 Depth=2
	v_cmp_eq_u16_sdwa s[92:93], v10, s64 src0_sel:BYTE_0 src1_sel:DWORD
	s_mov_b64 s[20:21], -1
	s_and_saveexec_b64 s[90:91], s[92:93]
; %bb.1148:                             ;   in Loop: Header=BB2_676 Depth=2
	s_xor_b64 s[20:21], exec, -1
; %bb.1149:                             ;   in Loop: Header=BB2_676 Depth=2
	s_or_b64 exec, exec, s[90:91]
	s_and_b64 s[20:21], s[20:21], exec
	s_or_saveexec_b64 s[22:23], s[22:23]
	v_bfrev_b32_e32 v3, 1
	s_xor_b64 exec, exec, s[22:23]
	s_cbranch_execnz .LBB2_1218
.LBB2_1150:                             ;   in Loop: Header=BB2_676 Depth=2
	s_or_b64 exec, exec, s[22:23]
	s_and_saveexec_b64 s[90:91], s[20:21]
	s_cbranch_execz .LBB2_1152
.LBB2_1151:                             ;   in Loop: Header=BB2_676 Depth=2
	v_and_b32_e32 v3, 3, v10
	v_and_b32_e32 v14, 0x7c0000, v13
	v_cmp_eq_u32_e32 vcc, s66, v14
	v_ffbh_u32_e32 v14, v3
	v_min_u32_e32 v35, 32, v14
	v_subrev_u32_e32 v14, 29, v35
	v_bfe_u32 v34, v13, 18, 5
	v_lshlrev_b64 v[14:15], v14, v[10:11]
	v_cmp_eq_u32_e64 s[20:21], 0, v34
	v_sub_u32_e32 v15, 30, v35
	v_cndmask_b32_e64 v15, v34, v15, s[20:21]
	v_lshlrev_b32_e32 v34, 24, v10
	v_and_b32_e32 v14, 3, v14
	v_and_b32_e32 v34, 0x80000000, v34
	v_cndmask_b32_e64 v14, v3, v14, s[20:21]
	v_lshl_add_u32 v15, v15, 23, v34
	v_cmp_gt_i16_sdwa s[22:23], sext(v10), v20 src0_sel:BYTE_0 src1_sel:DWORD
	v_lshl_or_b32 v14, v14, 21, v15
	v_cmp_eq_u32_e64 s[20:21], 0, v3
	v_cndmask_b32_e64 v3, v21, v61, s[22:23]
	v_add_u32_e32 v14, 0x38000000, v14
	v_cndmask_b32_e64 v3, v2, v3, s[20:21]
	v_cndmask_b32_e32 v3, v14, v3, vcc
.LBB2_1152:                             ;   in Loop: Header=BB2_676 Depth=2
	s_or_b64 exec, exec, s[90:91]
	v_mul_f32_e32 v10, v11, v3
	v_and_b32_e32 v14, 0x7f800000, v10
	v_mov_b32_e32 v15, v37
	v_cmp_ne_u64_e32 vcc, s[60:61], v[14:15]
	v_and_b32_e32 v36, 0x7fffff, v10
                                        ; implicit-def: $vgpr14
	s_and_saveexec_b64 s[20:21], vcc
	s_xor_b64 s[22:23], exec, s[20:21]
	s_cbranch_execz .LBB2_1166
; %bb.1153:                             ;   in Loop: Header=BB2_676 Depth=2
	v_and_b32_e32 v14, 0x7fffffff, v10
	v_mov_b32_e32 v15, v37
	v_cmp_gt_u64_e32 vcc, s[62:63], v[14:15]
	v_and_b32_sdwa v45, v10, s64 dst_sel:DWORD dst_unused:UNUSED_PAD src0_sel:BYTE_3 src1_sel:DWORD
                                        ; implicit-def: $vgpr14
	s_and_saveexec_b64 s[20:21], vcc
	s_xor_b64 s[90:91], exec, s[20:21]
	s_cbranch_execz .LBB2_1163
; %bb.1154:                             ;   in Loop: Header=BB2_676 Depth=2
	v_mov_b32_e32 v14, 0
	v_cmp_ne_u32_e32 vcc, 0, v10
	s_and_saveexec_b64 s[92:93], vcc
	s_cbranch_execz .LBB2_1162
; %bb.1155:                             ;   in Loop: Header=BB2_676 Depth=2
	v_bfe_u32 v3, v10, 23, 8
	v_cmp_gt_u32_e64 s[20:21], s65, v3
	v_sub_u32_e32 v10, 0x71, v3
	v_cmp_eq_u32_e32 vcc, 0, v3
	v_cndmask_b32_e64 v10, 0, v10, s[20:21]
	v_mov_b32_e32 v14, 0x70
	v_cndmask_b32_e32 v34, v10, v14, vcc
	v_or_b32_e32 v11, 0x800000, v36
	v_add_u32_e32 v10, 21, v34
	v_cndmask_b32_e32 v36, v11, v36, vcc
	v_lshlrev_b64 v[10:11], v10, -1
	v_add_u32_e32 v14, 20, v34
	v_lshlrev_b64 v[14:15], v14, 1
	v_bfi_b32 v11, v11, 0, 0
	v_bfi_b32 v10, v10, 0, v36
	v_cmp_eq_u64_e64 s[20:21], v[10:11], v[14:15]
	v_lshrrev_b64 v[10:11], v34, v[36:37]
	v_mov_b32_e32 v15, v11
	v_mov_b32_e32 v14, v10
	s_and_saveexec_b64 s[94:95], s[20:21]
; %bb.1156:                             ;   in Loop: Header=BB2_676 Depth=2
	v_bfe_u32 v11, v10, 21, 1
	v_add_co_u32_e64 v11, s[20:21], v10, v11
	v_add_co_u32_e64 v14, s[20:21], -1, v11
; %bb.1157:                             ;   in Loop: Header=BB2_676 Depth=2
	s_or_b64 exec, exec, s[94:95]
	v_add_u32_e32 v3, 0xffffff81, v3
	v_mov_b32_e32 v11, 0xffffff82
	v_cndmask_b32_e32 v3, v3, v11, vcc
	v_lshrrev_b32_e32 v11, 23, v10
	v_add3_u32 v34, v34, v3, v11
	v_add_u32_e32 v15, 14, v34
	v_and_b32_e32 v3, 0x1fffff, v14
	v_add_u32_e32 v36, v3, v10
	v_cmp_ne_u32_e32 vcc, 0, v15
                                        ; implicit-def: $vgpr10_vgpr11
                                        ; implicit-def: $vgpr3
	s_and_saveexec_b64 s[20:21], vcc
	s_xor_b64 s[20:21], exec, s[20:21]
; %bb.1158:                             ;   in Loop: Header=BB2_676 Depth=2
	v_cmp_lt_u64_e32 vcc, s[72:73], v[36:37]
	v_add_u32_e32 v3, 15, v34
	v_cndmask_b32_e64 v10, 0, 1, vcc
	v_cndmask_b32_e32 v3, v15, v3, vcc
	v_lshrrev_b64 v[10:11], v10, v[36:37]
; %bb.1159:                             ;   in Loop: Header=BB2_676 Depth=2
	s_andn2_saveexec_b64 s[20:21], s[20:21]
; %bb.1160:                             ;   in Loop: Header=BB2_676 Depth=2
	v_mov_b32_e32 v10, v36
	v_bfe_u32 v3, v36, 23, 1
	v_mov_b32_e32 v11, v37
; %bb.1161:                             ;   in Loop: Header=BB2_676 Depth=2
	s_or_b64 exec, exec, s[20:21]
	v_lshrrev_b64 v[10:11], 21, v[10:11]
	v_cmp_gt_i32_e32 vcc, 32, v3
	v_cndmask_b32_e32 v11, 0, v11, vcc
	v_cndmask_b32_e32 v10, 3, v10, vcc
	v_cmp_eq_u32_e32 vcc, 0, v3
	v_min_i32_e32 v3, 31, v3
	v_cmp_eq_u64_e64 s[20:21], 0, v[10:11]
	v_lshlrev_b32_e32 v3, 2, v3
	v_and_b32_e32 v3, 0xfc, v3
	v_and_or_b32 v3, v10, 3, v3
	s_and_b64 s[20:21], vcc, s[20:21]
	v_cndmask_b32_e64 v3, v3, 0, s[20:21]
	v_or_b32_e32 v14, v3, v45
.LBB2_1162:                             ;   in Loop: Header=BB2_676 Depth=2
	s_or_b64 exec, exec, s[92:93]
                                        ; implicit-def: $vgpr45
.LBB2_1163:                             ;   in Loop: Header=BB2_676 Depth=2
	s_andn2_saveexec_b64 s[20:21], s[90:91]
; %bb.1164:                             ;   in Loop: Header=BB2_676 Depth=2
	v_or_b32_e32 v14, 0x7b, v45
; %bb.1165:                             ;   in Loop: Header=BB2_676 Depth=2
	s_or_b64 exec, exec, s[20:21]
                                        ; implicit-def: $vgpr10
.LBB2_1166:                             ;   in Loop: Header=BB2_676 Depth=2
	s_andn2_saveexec_b64 s[20:21], s[22:23]
	s_cbranch_execz .LBB2_1172
; %bb.1167:                             ;   in Loop: Header=BB2_676 Depth=2
	v_cmp_ne_u64_e32 vcc, 0, v[36:37]
                                        ; implicit-def: $vgpr14
	s_and_saveexec_b64 s[22:23], vcc
	s_xor_b64 s[22:23], exec, s[22:23]
; %bb.1168:                             ;   in Loop: Header=BB2_676 Depth=2
	v_or_b32_sdwa v14, v10, s55 dst_sel:DWORD dst_unused:UNUSED_PAD src0_sel:BYTE_3 src1_sel:DWORD
                                        ; implicit-def: $vgpr10
; %bb.1169:                             ;   in Loop: Header=BB2_676 Depth=2
	s_andn2_saveexec_b64 s[22:23], s[22:23]
; %bb.1170:                             ;   in Loop: Header=BB2_676 Depth=2
	v_cmp_lt_i32_e32 vcc, -1, v10
	v_bfrev_b32_e32 v3, 0.5
	v_cndmask_b32_e32 v14, v3, v19, vcc
; %bb.1171:                             ;   in Loop: Header=BB2_676 Depth=2
	s_or_b64 exec, exec, s[22:23]
.LBB2_1172:                             ;   in Loop: Header=BB2_676 Depth=2
	s_or_b64 exec, exec, s[20:21]
	v_cmp_lt_u64_e32 vcc, s[58:59], v[16:17]
	v_mov_b32_e32 v11, 0
	s_and_saveexec_b64 s[20:21], vcc
	s_cbranch_execz .LBB2_1180
; %bb.1173:                             ;   in Loop: Header=BB2_676 Depth=2
	v_lshrrev_b32_e32 v10, 24, v17
	v_cmp_ne_u32_e32 vcc, s64, v10
	v_bfrev_b32_e32 v11, 1
	s_and_saveexec_b64 s[22:23], vcc
	s_cbranch_execz .LBB2_1179
; %bb.1174:                             ;   in Loop: Header=BB2_676 Depth=2
	v_and_b32_e32 v11, 0x7c000000, v17
	v_bfe_u32 v3, v17, 24, 2
	v_cmp_ne_u32_e32 vcc, s67, v11
                                        ; implicit-def: $vgpr11
	s_and_saveexec_b64 s[90:91], vcc
	s_xor_b64 s[90:91], exec, s[90:91]
	s_cbranch_execz .LBB2_1176
; %bb.1175:                             ;   in Loop: Header=BB2_676 Depth=2
	v_ffbh_u32_e32 v11, v3
	v_min_u32_e32 v16, 32, v11
	v_subrev_u32_e32 v11, 29, v16
	v_lshlrev_b64 v[10:11], v11, v[10:11]
	v_bfe_u32 v15, v17, 26, 5
	v_sub_u32_e32 v11, 30, v16
	v_and_b32_e32 v10, 3, v10
	v_cmp_eq_u32_e32 vcc, 0, v15
	v_cndmask_b32_e32 v11, v15, v11, vcc
	v_cndmask_b32_e32 v3, v3, v10, vcc
	v_and_b32_e32 v10, 0x80000000, v17
	v_lshl_add_u32 v10, v11, 23, v10
	v_lshl_or_b32 v3, v3, 21, v10
	v_add_u32_e32 v11, 0x38000000, v3
                                        ; implicit-def: $vgpr3
                                        ; implicit-def: $vgpr16_vgpr17
.LBB2_1176:                             ;   in Loop: Header=BB2_676 Depth=2
	s_andn2_saveexec_b64 s[90:91], s[90:91]
; %bb.1177:                             ;   in Loop: Header=BB2_676 Depth=2
	v_cmp_lt_i64_e32 vcc, -1, v[16:17]
	v_cndmask_b32_e32 v10, v21, v61, vcc
	v_cmp_eq_u32_e32 vcc, 0, v3
	v_cndmask_b32_e32 v11, v2, v10, vcc
; %bb.1178:                             ;   in Loop: Header=BB2_676 Depth=2
	s_or_b64 exec, exec, s[90:91]
.LBB2_1179:                             ;   in Loop: Header=BB2_676 Depth=2
	s_or_b64 exec, exec, s[22:23]
.LBB2_1180:                             ;   in Loop: Header=BB2_676 Depth=2
	s_or_b64 exec, exec, s[20:21]
	v_bfe_u32 v10, v13, 24, 2
	v_and_b32_e32 v15, 0x7c000000, v13
	v_cmp_eq_u32_e32 vcc, s67, v15
	v_ffbh_u32_e32 v15, v10
	v_min_u32_e32 v34, 32, v15
	v_lshrrev_b32_e32 v3, 24, v13
	v_subrev_u32_e32 v15, 29, v34
	v_bfe_u32 v17, v13, 26, 5
	v_lshlrev_b64 v[15:16], v15, v[3:4]
	v_cmp_eq_u32_e64 s[20:21], 0, v17
	v_sub_u32_e32 v16, 30, v34
	v_and_b32_e32 v15, 3, v15
	v_cndmask_b32_e64 v16, v17, v16, s[20:21]
	v_and_b32_e32 v17, 0x80000000, v13
	v_cmp_lt_i64_e64 s[22:23], -1, v[12:13]
	v_cndmask_b32_e64 v15, v10, v15, s[20:21]
	v_lshl_add_u32 v16, v16, 23, v17
	v_lshl_or_b32 v15, v15, 21, v16
	v_cmp_eq_u32_e64 s[20:21], 0, v10
	v_cndmask_b32_e64 v10, v21, v61, s[22:23]
	v_add_u32_e32 v15, 0x38000000, v15
	v_cndmask_b32_e64 v10, v2, v10, s[20:21]
	v_cndmask_b32_e32 v10, v15, v10, vcc
	v_cmp_ne_u32_e32 vcc, s64, v3
	v_cndmask_b32_e32 v3, v0, v10, vcc
	v_cmp_lt_u64_e32 vcc, s[58:59], v[12:13]
	v_mov_b32_e32 v13, v37
	v_cndmask_b32_e32 v3, 0, v3, vcc
	v_mul_f32_e32 v11, v3, v11
	v_and_b32_e32 v12, 0x7f800000, v11
	v_cmp_ne_u64_e32 vcc, s[60:61], v[12:13]
	v_and_b32_e32 v36, 0x7fffff, v11
                                        ; implicit-def: $vgpr10
	s_and_saveexec_b64 s[20:21], vcc
	s_xor_b64 s[22:23], exec, s[20:21]
	s_cbranch_execz .LBB2_1194
; %bb.1181:                             ;   in Loop: Header=BB2_676 Depth=2
	v_and_b32_e32 v12, 0x7fffffff, v11
	v_mov_b32_e32 v13, v37
	v_cmp_gt_u64_e32 vcc, s[62:63], v[12:13]
	v_and_b32_sdwa v13, v11, s64 dst_sel:DWORD dst_unused:UNUSED_PAD src0_sel:BYTE_3 src1_sel:DWORD
                                        ; implicit-def: $vgpr10
	s_and_saveexec_b64 s[20:21], vcc
	s_xor_b64 s[90:91], exec, s[20:21]
	s_cbranch_execz .LBB2_1191
; %bb.1182:                             ;   in Loop: Header=BB2_676 Depth=2
	v_mov_b32_e32 v10, 0
	v_cmp_ne_u32_e32 vcc, 0, v11
	s_and_saveexec_b64 s[92:93], vcc
	s_cbranch_execz .LBB2_1190
; %bb.1183:                             ;   in Loop: Header=BB2_676 Depth=2
	v_bfe_u32 v3, v11, 23, 8
	v_cmp_gt_u32_e64 s[20:21], s65, v3
	v_sub_u32_e32 v10, 0x71, v3
	v_cmp_eq_u32_e32 vcc, 0, v3
	v_cndmask_b32_e64 v10, 0, v10, s[20:21]
	v_mov_b32_e32 v12, 0x70
	v_cndmask_b32_e32 v15, v10, v12, vcc
	v_or_b32_e32 v11, 0x800000, v36
	v_add_u32_e32 v10, 21, v15
	v_cndmask_b32_e32 v36, v11, v36, vcc
	v_lshlrev_b64 v[10:11], v10, -1
	v_add_u32_e32 v12, 20, v15
	v_lshlrev_b64 v[16:17], v12, 1
	v_bfi_b32 v11, v11, 0, 0
	v_bfi_b32 v10, v10, 0, v36
	v_cmp_eq_u64_e64 s[20:21], v[10:11], v[16:17]
	v_lshrrev_b64 v[10:11], v15, v[36:37]
	v_mov_b32_e32 v12, v11
	v_mov_b32_e32 v11, v10
	s_and_saveexec_b64 s[94:95], s[20:21]
; %bb.1184:                             ;   in Loop: Header=BB2_676 Depth=2
	v_bfe_u32 v11, v10, 21, 1
	v_add_co_u32_e64 v11, s[20:21], v10, v11
	v_add_co_u32_e64 v11, s[20:21], -1, v11
; %bb.1185:                             ;   in Loop: Header=BB2_676 Depth=2
	s_or_b64 exec, exec, s[94:95]
	v_add_u32_e32 v3, 0xffffff81, v3
	v_mov_b32_e32 v12, 0xffffff82
	v_cndmask_b32_e32 v3, v3, v12, vcc
	v_lshrrev_b32_e32 v12, 23, v10
	v_add3_u32 v15, v15, v3, v12
	v_add_u32_e32 v12, 14, v15
	v_and_b32_e32 v3, 0x1fffff, v11
	v_add_u32_e32 v36, v3, v10
	v_cmp_ne_u32_e32 vcc, 0, v12
                                        ; implicit-def: $vgpr10_vgpr11
                                        ; implicit-def: $vgpr3
	s_and_saveexec_b64 s[20:21], vcc
	s_xor_b64 s[20:21], exec, s[20:21]
; %bb.1186:                             ;   in Loop: Header=BB2_676 Depth=2
	v_cmp_lt_u64_e32 vcc, s[72:73], v[36:37]
	v_add_u32_e32 v3, 15, v15
	v_cndmask_b32_e64 v10, 0, 1, vcc
	v_cndmask_b32_e32 v3, v12, v3, vcc
	v_lshrrev_b64 v[10:11], v10, v[36:37]
; %bb.1187:                             ;   in Loop: Header=BB2_676 Depth=2
	s_andn2_saveexec_b64 s[20:21], s[20:21]
; %bb.1188:                             ;   in Loop: Header=BB2_676 Depth=2
	v_mov_b32_e32 v10, v36
	v_bfe_u32 v3, v36, 23, 1
	v_mov_b32_e32 v11, v37
; %bb.1189:                             ;   in Loop: Header=BB2_676 Depth=2
	s_or_b64 exec, exec, s[20:21]
	v_lshrrev_b64 v[10:11], 21, v[10:11]
	v_cmp_gt_i32_e32 vcc, 32, v3
	v_cndmask_b32_e32 v11, 0, v11, vcc
	v_cndmask_b32_e32 v10, 3, v10, vcc
	v_cmp_eq_u32_e32 vcc, 0, v3
	v_min_i32_e32 v3, 31, v3
	v_cmp_eq_u64_e64 s[20:21], 0, v[10:11]
	v_lshlrev_b32_e32 v3, 2, v3
	v_and_b32_e32 v3, 0xfc, v3
	v_and_or_b32 v3, v10, 3, v3
	s_and_b64 s[20:21], vcc, s[20:21]
	v_cndmask_b32_e64 v3, v3, 0, s[20:21]
	v_or_b32_e32 v10, v3, v13
.LBB2_1190:                             ;   in Loop: Header=BB2_676 Depth=2
	s_or_b64 exec, exec, s[92:93]
                                        ; implicit-def: $vgpr13
.LBB2_1191:                             ;   in Loop: Header=BB2_676 Depth=2
	s_andn2_saveexec_b64 s[20:21], s[90:91]
; %bb.1192:                             ;   in Loop: Header=BB2_676 Depth=2
	v_or_b32_e32 v10, 0x7b, v13
; %bb.1193:                             ;   in Loop: Header=BB2_676 Depth=2
	s_or_b64 exec, exec, s[20:21]
                                        ; implicit-def: $vgpr11
.LBB2_1194:                             ;   in Loop: Header=BB2_676 Depth=2
	s_andn2_saveexec_b64 s[20:21], s[22:23]
	s_cbranch_execz .LBB2_675
; %bb.1195:                             ;   in Loop: Header=BB2_676 Depth=2
	v_cmp_ne_u64_e32 vcc, 0, v[36:37]
                                        ; implicit-def: $vgpr10
	s_and_saveexec_b64 s[22:23], vcc
	s_xor_b64 s[22:23], exec, s[22:23]
; %bb.1196:                             ;   in Loop: Header=BB2_676 Depth=2
	v_or_b32_sdwa v10, v11, s55 dst_sel:DWORD dst_unused:UNUSED_PAD src0_sel:BYTE_3 src1_sel:DWORD
                                        ; implicit-def: $vgpr11
; %bb.1197:                             ;   in Loop: Header=BB2_676 Depth=2
	s_andn2_saveexec_b64 s[22:23], s[22:23]
	s_cbranch_execz .LBB2_674
; %bb.1198:                             ;   in Loop: Header=BB2_676 Depth=2
	v_cmp_lt_i32_e32 vcc, -1, v11
	v_bfrev_b32_e32 v3, 0.5
	v_cndmask_b32_e32 v10, v3, v19, vcc
	s_branch .LBB2_674
.LBB2_1199:                             ;   in Loop: Header=BB2_676 Depth=2
	s_or_saveexec_b64 s[22:23], s[22:23]
	v_bfrev_b32_e32 v3, 1
	s_xor_b64 exec, exec, s[22:23]
	s_cbranch_execz .LBB2_688
.LBB2_1200:                             ;   in Loop: Header=BB2_676 Depth=2
	v_cmp_ne_u16_sdwa s[90:91], v10, v37 src0_sel:BYTE_0 src1_sel:DWORD
	s_andn2_b64 s[20:21], s[20:21], exec
	s_and_b64 s[90:91], s[90:91], exec
	v_mov_b32_e32 v3, 0
	s_or_b64 s[20:21], s[20:21], s[90:91]
	s_or_b64 exec, exec, s[22:23]
	s_and_saveexec_b64 s[90:91], s[20:21]
	s_cbranch_execnz .LBB2_689
	s_branch .LBB2_690
.LBB2_1201:                             ;   in Loop: Header=BB2_676 Depth=2
	s_or_saveexec_b64 s[22:23], s[22:23]
	v_bfrev_b32_e32 v3, 1
	s_xor_b64 exec, exec, s[22:23]
	s_cbranch_execz .LBB2_722
.LBB2_1202:                             ;   in Loop: Header=BB2_676 Depth=2
	v_cmp_ne_u16_e32 vcc, 0, v36
	s_andn2_b64 s[20:21], s[20:21], exec
	s_and_b64 s[90:91], vcc, exec
	v_mov_b32_e32 v3, 0
	s_or_b64 s[20:21], s[20:21], s[90:91]
	s_or_b64 exec, exec, s[22:23]
	s_and_saveexec_b64 s[90:91], s[20:21]
	s_cbranch_execnz .LBB2_723
	s_branch .LBB2_724
.LBB2_1203:                             ;   in Loop: Header=BB2_676 Depth=2
	s_or_saveexec_b64 s[22:23], s[22:23]
	v_bfrev_b32_e32 v3, 1
	s_xor_b64 exec, exec, s[22:23]
	s_cbranch_execz .LBB2_756
.LBB2_1204:                             ;   in Loop: Header=BB2_676 Depth=2
	v_cmp_ne_u16_sdwa s[90:91], v30, v37 src0_sel:BYTE_0 src1_sel:DWORD
	s_andn2_b64 s[20:21], s[20:21], exec
	s_and_b64 s[90:91], s[90:91], exec
	v_mov_b32_e32 v3, 0
	s_or_b64 s[20:21], s[20:21], s[90:91]
	s_or_b64 exec, exec, s[22:23]
	s_and_saveexec_b64 s[90:91], s[20:21]
	s_cbranch_execnz .LBB2_757
	s_branch .LBB2_758
.LBB2_1205:                             ;   in Loop: Header=BB2_676 Depth=2
	s_or_saveexec_b64 s[22:23], s[22:23]
	v_bfrev_b32_e32 v3, 1
	s_xor_b64 exec, exec, s[22:23]
	s_cbranch_execz .LBB2_854
.LBB2_1206:                             ;   in Loop: Header=BB2_676 Depth=2
	v_cmp_ne_u16_e32 vcc, 0, v36
	s_andn2_b64 s[20:21], s[20:21], exec
	s_and_b64 s[90:91], vcc, exec
	v_mov_b32_e32 v3, 0
	s_or_b64 s[20:21], s[20:21], s[90:91]
	s_or_b64 exec, exec, s[22:23]
	s_and_saveexec_b64 s[90:91], s[20:21]
	s_cbranch_execnz .LBB2_855
	s_branch .LBB2_856
.LBB2_1207:                             ;   in Loop: Header=BB2_676 Depth=2
	s_or_saveexec_b64 s[22:23], s[22:23]
	v_bfrev_b32_e32 v3, 1
	s_xor_b64 exec, exec, s[22:23]
	s_cbranch_execz .LBB2_888
.LBB2_1208:                             ;   in Loop: Header=BB2_676 Depth=2
	v_cmp_ne_u16_sdwa s[90:91], v30, v37 src0_sel:BYTE_0 src1_sel:DWORD
	s_andn2_b64 s[20:21], s[20:21], exec
	s_and_b64 s[90:91], s[90:91], exec
	v_mov_b32_e32 v3, 0
	s_or_b64 s[20:21], s[20:21], s[90:91]
	s_or_b64 exec, exec, s[22:23]
	s_and_saveexec_b64 s[90:91], s[20:21]
	s_cbranch_execnz .LBB2_889
	s_branch .LBB2_890
.LBB2_1209:                             ;   in Loop: Header=BB2_676 Depth=2
	s_or_saveexec_b64 s[22:23], s[22:23]
	v_bfrev_b32_e32 v3, 1
	s_xor_b64 exec, exec, s[22:23]
	s_cbranch_execz .LBB2_950
.LBB2_1210:                             ;   in Loop: Header=BB2_676 Depth=2
	v_cmp_ne_u16_sdwa s[90:91], v12, v37 src0_sel:BYTE_0 src1_sel:DWORD
	s_andn2_b64 s[20:21], s[20:21], exec
	s_and_b64 s[90:91], s[90:91], exec
	v_mov_b32_e32 v3, 0
	s_or_b64 s[20:21], s[20:21], s[90:91]
	s_or_b64 exec, exec, s[22:23]
	s_and_saveexec_b64 s[90:91], s[20:21]
	s_cbranch_execnz .LBB2_951
	s_branch .LBB2_952
.LBB2_1211:                             ;   in Loop: Header=BB2_676 Depth=2
	s_or_saveexec_b64 s[22:23], s[22:23]
	v_bfrev_b32_e32 v3, 1
	s_xor_b64 exec, exec, s[22:23]
	s_cbranch_execz .LBB2_984
.LBB2_1212:                             ;   in Loop: Header=BB2_676 Depth=2
	v_cmp_ne_u16_e32 vcc, 0, v36
	s_andn2_b64 s[20:21], s[20:21], exec
	s_and_b64 s[90:91], vcc, exec
	v_mov_b32_e32 v3, 0
	s_or_b64 s[20:21], s[20:21], s[90:91]
	s_or_b64 exec, exec, s[22:23]
	s_and_saveexec_b64 s[90:91], s[20:21]
	s_cbranch_execnz .LBB2_985
	s_branch .LBB2_986
.LBB2_1213:                             ;   in Loop: Header=BB2_676 Depth=2
	s_or_saveexec_b64 s[22:23], s[22:23]
	v_bfrev_b32_e32 v3, 1
	s_xor_b64 exec, exec, s[22:23]
	s_cbranch_execz .LBB2_1018
.LBB2_1214:                             ;   in Loop: Header=BB2_676 Depth=2
	v_cmp_ne_u16_sdwa s[90:91], v10, v37 src0_sel:BYTE_0 src1_sel:DWORD
	s_andn2_b64 s[20:21], s[20:21], exec
	s_and_b64 s[90:91], s[90:91], exec
	v_mov_b32_e32 v3, 0
	s_or_b64 s[20:21], s[20:21], s[90:91]
	s_or_b64 exec, exec, s[22:23]
	s_and_saveexec_b64 s[90:91], s[20:21]
	s_cbranch_execnz .LBB2_1019
	s_branch .LBB2_1020
.LBB2_1215:                             ;   in Loop: Header=BB2_676 Depth=2
	s_or_saveexec_b64 s[22:23], s[22:23]
	v_bfrev_b32_e32 v3, 1
	s_xor_b64 exec, exec, s[22:23]
	s_cbranch_execz .LBB2_1116
.LBB2_1216:                             ;   in Loop: Header=BB2_676 Depth=2
	v_cmp_ne_u16_e32 vcc, 0, v36
	s_andn2_b64 s[20:21], s[20:21], exec
	s_and_b64 s[90:91], vcc, exec
	v_mov_b32_e32 v3, 0
	s_or_b64 s[20:21], s[20:21], s[90:91]
	s_or_b64 exec, exec, s[22:23]
	s_and_saveexec_b64 s[90:91], s[20:21]
	s_cbranch_execnz .LBB2_1117
	s_branch .LBB2_1118
.LBB2_1217:                             ;   in Loop: Header=BB2_676 Depth=2
	s_or_saveexec_b64 s[22:23], s[22:23]
	v_bfrev_b32_e32 v3, 1
	s_xor_b64 exec, exec, s[22:23]
	s_cbranch_execz .LBB2_1150
.LBB2_1218:                             ;   in Loop: Header=BB2_676 Depth=2
	v_cmp_ne_u16_sdwa s[90:91], v10, v37 src0_sel:BYTE_0 src1_sel:DWORD
	s_andn2_b64 s[20:21], s[20:21], exec
	s_and_b64 s[90:91], s[90:91], exec
	v_mov_b32_e32 v3, 0
	s_or_b64 s[20:21], s[20:21], s[90:91]
	s_or_b64 exec, exec, s[22:23]
	s_and_saveexec_b64 s[90:91], s[20:21]
	s_cbranch_execnz .LBB2_1151
	s_branch .LBB2_1152
.LBB2_1219:                             ;   in Loop: Header=BB2_49 Depth=1
	s_or_b64 exec, exec, s[88:89]
	buffer_load_dword v54, off, s[0:3], s33 offset:76 ; 4-byte Folded Reload
	buffer_load_dword v55, off, s[0:3], s33 offset:80 ; 4-byte Folded Reload
	;; [unrolled: 1-line block ×11, first 2 shown]
	v_mov_b32_e32 v10, v31
.LBB2_1220:                             ;   in Loop: Header=BB2_49 Depth=1
	s_or_b64 exec, exec, s[78:79]
	buffer_load_dword v16, off, s[0:3], s33 offset:92 ; 4-byte Folded Reload
	buffer_load_dword v17, off, s[0:3], s33 offset:96 ; 4-byte Folded Reload
	v_cmp_lt_i32_e32 vcc, 0, v56
	v_cndmask_b32_e32 v1, 0, v18, vcc
	v_sub_u32_e32 v1, v1, v56
	s_waitcnt vmcnt(2)
	v_lshl_add_u32 v1, v1, 6, v3
	s_mov_b64 s[78:79], exec
.LBB2_1221:                             ;   in Loop: Header=BB2_49 Depth=1
	s_or_b64 exec, exec, s[24:25]
	buffer_load_dword v31, off, s[0:3], s33 offset:120 ; 4-byte Folded Reload
	buffer_load_dword v45, off, s[0:3], s33 offset:104 ; 4-byte Folded Reload
	;; [unrolled: 1-line block ×4, first 2 shown]
	v_mov_b32_e32 v43, 1
	v_mov_b32_e32 v44, 0xc8
	;; [unrolled: 1-line block ×3, first 2 shown]
	s_and_saveexec_b64 s[22:23], s[78:79]
	s_cbranch_execz .LBB2_1590
.LBB2_1222:                             ;   in Loop: Header=BB2_49 Depth=1
	v_ashrrev_i32_e32 v3, 31, v1
	v_lshrrev_b32_e32 v3, 26, v3
	v_add_u32_e32 v3, v1, v3
	v_ashrrev_i32_e32 v30, 6, v3
	v_mov_b32_e32 v62, v10
	v_lshrrev_b32_e32 v10, 9, v10
	v_sub_u32_e32 v59, v10, v30
	v_cmp_lt_i32_e32 vcc, 0, v59
	s_and_saveexec_b64 s[24:25], vcc
	s_cbranch_execz .LBB2_1546
; %bb.1223:                             ;   in Loop: Header=BB2_49 Depth=1
	v_and_b32_e32 v3, 0xffffffc0, v3
	v_sub_u32_e32 v3, v1, v3
	v_lshlrev_b32_e32 v10, 9, v30
	v_add3_u32 v3, v13, v3, v10
	v_mov_b32_e32 v10, v11
	s_waitcnt vmcnt(0)
	buffer_store_dword v56, off, s[0:3], s33 offset:88 ; 4-byte Folded Spill
	buffer_store_dword v13, off, s[0:3], s33 offset:132 ; 4-byte Folded Spill
	s_trap 2
	v_mov_b32_e32 v11, v12
	ds_read_b64 v[12:13], v0
	v_ashrrev_i32_e32 v15, 31, v3
	v_add_co_u32_e32 v10, vcc, v3, v10
	v_addc_co_u32_e32 v11, vcc, v15, v11, vcc
	s_waitcnt lgkmcnt(0)
	v_add_co_u32_e32 v12, vcc, v12, v3
	v_addc_co_u32_e32 v13, vcc, v13, v15, vcc
	v_add_co_u32_e32 v14, vcc, 0x1c0, v16
	v_addc_co_u32_e32 v16, vcc, 0, v17, vcc
	;; [unrolled: 2-line block ×3, first 2 shown]
	s_mov_b64 s[78:79], 0
	s_branch .LBB2_1226
.LBB2_1224:                             ;   in Loop: Header=BB2_1226 Depth=2
	s_or_b64 exec, exec, s[88:89]
.LBB2_1225:                             ;   in Loop: Header=BB2_1226 Depth=2
	s_or_b64 exec, exec, s[20:21]
	v_add_co_u32_e32 v34, vcc, 0xfffffe40, v14
	v_addc_co_u32_e32 v35, vcc, -1, v15, vcc
	flat_store_byte v[34:35], v57 glc slc
	v_add_co_u32_e32 v34, vcc, 0xfffffe80, v14
	v_addc_co_u32_e32 v35, vcc, -1, v15, vcc
	flat_store_byte v[34:35], v47 glc slc
	;; [unrolled: 3-line block ×5, first 2 shown]
	v_add_co_u32_e32 v34, vcc, s52, v14
	v_addc_co_u32_e32 v35, vcc, -1, v15, vcc
	v_add_co_u32_e32 v24, vcc, s50, v14
	flat_store_byte v[34:35], v25 glc slc
	v_addc_co_u32_e32 v25, vcc, -1, v15, vcc
	flat_store_byte v[24:25], v52 glc slc
	flat_store_byte v[14:15], v17 glc slc
	buffer_load_dword v3, off, s[0:3], s33 offset:64 ; 4-byte Folded Reload
	v_sub_u32_e32 v59, v59, v18
	s_waitcnt vmcnt(0)
	v_add_co_u32_e32 v10, vcc, v10, v3
	v_addc_co_u32_e32 v11, vcc, 0, v11, vcc
	v_add_co_u32_e32 v12, vcc, v12, v3
	v_addc_co_u32_e32 v13, vcc, 0, v13, vcc
	v_cmp_gt_i32_e32 vcc, 1, v59
	s_or_b64 s[78:79], vcc, s[78:79]
	v_add_co_u32_e32 v14, vcc, v14, v3
	v_addc_co_u32_e32 v15, vcc, 0, v15, vcc
	s_andn2_b64 exec, exec, s[78:79]
	s_cbranch_execz .LBB2_1545
.LBB2_1226:                             ;   Parent Loop BB2_49 Depth=1
                                        ; =>  This Inner Loop Header: Depth=2
	flat_load_sbyte v36, v[10:11] glc slc
	flat_load_sbyte v55, v[10:11] offset:64 glc slc
	flat_load_sbyte v45, v[10:11] offset:128 glc slc
	;; [unrolled: 1-line block ×7, first 2 shown]
	flat_load_sbyte v56, v[12:13] glc slc
	flat_load_sbyte v46, v[12:13] offset:64 glc slc
	flat_load_sbyte v44, v[12:13] offset:128 glc slc
	;; [unrolled: 1-line block ×7, first 2 shown]
	v_mov_b32_e32 v17, 0
	v_mov_b32_e32 v24, 0
	s_waitcnt vmcnt(0) lgkmcnt(0)
	v_cmp_ne_u16_e32 vcc, 0, v36
	s_and_saveexec_b64 s[20:21], vcc
	s_cbranch_execz .LBB2_1234
; %bb.1227:                             ;   in Loop: Header=BB2_1226 Depth=2
	v_cmp_ne_u16_e32 vcc, s52, v36
	v_bfrev_b32_e32 v24, 1
	s_and_saveexec_b64 s[88:89], vcc
	s_cbranch_execz .LBB2_1233
; %bb.1228:                             ;   in Loop: Header=BB2_1226 Depth=2
	v_and_b32_e32 v24, 0x7c, v36
	v_and_b32_e32 v3, 3, v36
	v_cmp_ne_u32_e32 vcc, s53, v24
                                        ; implicit-def: $vgpr24
	s_and_saveexec_b64 s[90:91], vcc
	s_xor_b64 s[90:91], exec, s[90:91]
	s_cbranch_execz .LBB2_1230
; %bb.1229:                             ;   in Loop: Header=BB2_1226 Depth=2
	v_and_b32_e32 v24, 0xff, v36
	v_bfe_u32 v34, v24, 2, 5
	v_ffbh_u32_e32 v24, v3
	v_min_u32_e32 v35, 32, v24
	v_subrev_u32_e32 v24, 29, v35
	v_lshlrev_b64 v[24:25], v24, v[36:37]
	v_sub_u32_e32 v25, 30, v35
	v_and_b32_e32 v24, 3, v24
	v_cmp_eq_u32_e32 vcc, 0, v34
	v_cndmask_b32_e32 v25, v34, v25, vcc
	v_cndmask_b32_e32 v3, v3, v24, vcc
	v_and_b32_sdwa v24, sext(v36), s54 dst_sel:DWORD dst_unused:UNUSED_PAD src0_sel:WORD_0 src1_sel:DWORD
	v_lshl_add_u32 v24, v25, 23, v24
	v_lshl_or_b32 v3, v3, 21, v24
	v_add_u32_e32 v24, 0x38000000, v3
                                        ; implicit-def: $vgpr3
.LBB2_1230:                             ;   in Loop: Header=BB2_1226 Depth=2
	s_andn2_saveexec_b64 s[90:91], s[90:91]
; %bb.1231:                             ;   in Loop: Header=BB2_1226 Depth=2
	v_cmp_lt_i16_e32 vcc, -1, v36
	v_cndmask_b32_e32 v24, v21, v61, vcc
	v_cmp_eq_u32_e32 vcc, 0, v3
	v_cndmask_b32_e32 v24, v2, v24, vcc
; %bb.1232:                             ;   in Loop: Header=BB2_1226 Depth=2
	s_or_b64 exec, exec, s[90:91]
.LBB2_1233:                             ;   in Loop: Header=BB2_1226 Depth=2
	s_or_b64 exec, exec, s[88:89]
.LBB2_1234:                             ;   in Loop: Header=BB2_1226 Depth=2
	s_or_b64 exec, exec, s[20:21]
	v_cmp_ne_u16_e32 vcc, 0, v56
	s_and_saveexec_b64 s[20:21], vcc
	s_cbranch_execz .LBB2_1242
; %bb.1235:                             ;   in Loop: Header=BB2_1226 Depth=2
	v_cmp_ne_u16_e32 vcc, s52, v56
	v_bfrev_b32_e32 v17, 1
	s_and_saveexec_b64 s[88:89], vcc
	s_cbranch_execz .LBB2_1241
; %bb.1236:                             ;   in Loop: Header=BB2_1226 Depth=2
	v_and_b32_e32 v17, 0x7c, v56
	v_and_b32_e32 v3, 3, v56
	v_cmp_ne_u32_e32 vcc, s53, v17
                                        ; implicit-def: $vgpr17
	s_and_saveexec_b64 s[90:91], vcc
	s_xor_b64 s[90:91], exec, s[90:91]
	s_cbranch_execz .LBB2_1238
; %bb.1237:                             ;   in Loop: Header=BB2_1226 Depth=2
	v_ffbh_u32_e32 v25, v3
	v_min_u32_e32 v25, 32, v25
	v_and_b32_e32 v17, 0xff, v56
	v_mov_b32_e32 v57, v37
	v_subrev_u32_e32 v34, 29, v25
	v_bfe_u32 v17, v17, 2, 5
	v_lshlrev_b64 v[34:35], v34, v[56:57]
	v_sub_u32_e32 v25, 30, v25
	v_cmp_eq_u32_e32 vcc, 0, v17
	v_and_b32_e32 v34, 3, v34
	v_cndmask_b32_e32 v17, v17, v25, vcc
	v_and_b32_sdwa v25, sext(v56), s54 dst_sel:DWORD dst_unused:UNUSED_PAD src0_sel:WORD_0 src1_sel:DWORD
	v_cndmask_b32_e32 v3, v3, v34, vcc
	v_lshl_add_u32 v17, v17, 23, v25
	v_lshl_or_b32 v3, v3, 21, v17
	v_add_u32_e32 v17, 0x38000000, v3
                                        ; implicit-def: $vgpr3
                                        ; implicit-def: $vgpr56
.LBB2_1238:                             ;   in Loop: Header=BB2_1226 Depth=2
	s_andn2_saveexec_b64 s[90:91], s[90:91]
; %bb.1239:                             ;   in Loop: Header=BB2_1226 Depth=2
	v_cmp_lt_i16_e32 vcc, -1, v56
	v_cndmask_b32_e32 v17, v21, v61, vcc
	v_cmp_eq_u32_e32 vcc, 0, v3
	v_cndmask_b32_e32 v17, v2, v17, vcc
; %bb.1240:                             ;   in Loop: Header=BB2_1226 Depth=2
	s_or_b64 exec, exec, s[90:91]
.LBB2_1241:                             ;   in Loop: Header=BB2_1226 Depth=2
	s_or_b64 exec, exec, s[88:89]
.LBB2_1242:                             ;   in Loop: Header=BB2_1226 Depth=2
	s_or_b64 exec, exec, s[20:21]
	v_mul_f32_e32 v24, v24, v17
	v_and_b32_e32 v34, 0x7f800000, v24
	v_mov_b32_e32 v35, v37
	v_cmp_ne_u64_e32 vcc, s[60:61], v[34:35]
	v_and_b32_e32 v36, 0x7fffff, v24
                                        ; implicit-def: $vgpr57
	s_and_saveexec_b64 s[20:21], vcc
	s_xor_b64 s[88:89], exec, s[20:21]
	s_cbranch_execz .LBB2_1260
; %bb.1243:                             ;   in Loop: Header=BB2_1226 Depth=2
	v_and_b32_e32 v34, 0x7fffffff, v24
	v_mov_b32_e32 v35, v37
	v_cmp_gt_u64_e32 vcc, s[62:63], v[34:35]
	v_and_b32_sdwa v17, v24, s64 dst_sel:DWORD dst_unused:UNUSED_PAD src0_sel:BYTE_3 src1_sel:DWORD
                                        ; implicit-def: $vgpr57
	s_and_saveexec_b64 s[20:21], vcc
	s_xor_b64 s[90:91], exec, s[20:21]
	s_cbranch_execz .LBB2_1257
; %bb.1244:                             ;   in Loop: Header=BB2_1226 Depth=2
	v_cmp_ne_u32_e32 vcc, 0, v24
	v_mov_b32_e32 v57, 0
	s_and_saveexec_b64 s[92:93], vcc
	s_cbranch_execz .LBB2_1256
; %bb.1245:                             ;   in Loop: Header=BB2_1226 Depth=2
	v_bfe_u32 v3, v24, 23, 8
	v_cmp_gt_u32_e64 s[20:21], s65, v3
	v_sub_u32_e32 v24, 0x71, v3
	v_cmp_eq_u32_e32 vcc, 0, v3
	v_cndmask_b32_e64 v24, 0, v24, s[20:21]
	v_mov_b32_e32 v34, 0x70
	v_or_b32_e32 v25, 0x800000, v36
	v_cndmask_b32_e32 v24, v24, v34, vcc
	v_cndmask_b32_e32 v36, v25, v36, vcc
	v_add_u32_e32 v25, 21, v24
	v_lshlrev_b64 v[34:35], v25, -1
	v_add_u32_e32 v25, 20, v24
	v_lshlrev_b64 v[56:57], v25, 1
	v_bfi_b32 v35, v35, 0, 0
	v_bfi_b32 v34, v34, 0, v36
	v_cmp_eq_u64_e64 s[20:21], v[34:35], v[56:57]
	v_lshrrev_b64 v[56:57], v24, v[36:37]
	v_mov_b32_e32 v58, v57
	v_mov_b32_e32 v57, v56
	s_and_saveexec_b64 s[94:95], s[20:21]
; %bb.1246:                             ;   in Loop: Header=BB2_1226 Depth=2
	v_bfe_u32 v25, v56, 21, 1
	v_add_co_u32_e64 v25, s[20:21], v56, v25
	v_add_co_u32_e64 v57, s[20:21], -1, v25
; %bb.1247:                             ;   in Loop: Header=BB2_1226 Depth=2
	s_or_b64 exec, exec, s[94:95]
	v_add_u32_e32 v3, 0xffffff81, v3
	v_mov_b32_e32 v25, 0xffffff82
	v_cndmask_b32_e32 v3, v3, v25, vcc
	v_lshrrev_b32_e32 v25, 23, v56
	v_add3_u32 v25, v24, v3, v25
	v_add_u32_e32 v24, 14, v25
	v_and_b32_e32 v3, 0x1fffff, v57
	v_add_u32_e32 v36, v3, v56
	v_cmp_ne_u32_e32 vcc, 0, v24
                                        ; implicit-def: $vgpr56_vgpr57
                                        ; implicit-def: $vgpr3
	s_and_saveexec_b64 s[20:21], vcc
	s_xor_b64 s[20:21], exec, s[20:21]
; %bb.1248:                             ;   in Loop: Header=BB2_1226 Depth=2
	v_cmp_lt_u64_e32 vcc, s[72:73], v[36:37]
	v_add_u32_e32 v3, 15, v25
	v_cndmask_b32_e32 v3, v24, v3, vcc
	v_cndmask_b32_e64 v24, 0, 1, vcc
	v_lshrrev_b64 v[56:57], v24, v[36:37]
; %bb.1249:                             ;   in Loop: Header=BB2_1226 Depth=2
	s_andn2_saveexec_b64 s[20:21], s[20:21]
; %bb.1250:                             ;   in Loop: Header=BB2_1226 Depth=2
	v_mov_b32_e32 v57, v37
	v_bfe_u32 v3, v36, 23, 1
	v_mov_b32_e32 v56, v36
; %bb.1251:                             ;   in Loop: Header=BB2_1226 Depth=2
	s_or_b64 exec, exec, s[20:21]
	v_lshrrev_b64 v[24:25], 21, v[56:57]
	v_cmp_gt_i32_e32 vcc, 32, v3
	v_cndmask_b32_e32 v57, 0, v25, vcc
	v_cndmask_b32_e32 v56, 3, v24, vcc
	v_cmp_ne_u64_e32 vcc, 0, v[56:57]
	v_cmp_ne_u32_e64 s[20:21], 0, v3
	s_or_b64 s[20:21], s[20:21], vcc
                                        ; implicit-def: $vgpr57
	s_and_saveexec_b64 s[94:95], s[20:21]
	s_xor_b64 s[20:21], exec, s[94:95]
; %bb.1252:                             ;   in Loop: Header=BB2_1226 Depth=2
	v_min_i32_e32 v3, 31, v3
	v_lshl_or_b32 v3, v3, 2, v17
	v_and_or_b32 v57, v56, 3, v3
                                        ; implicit-def: $vgpr17
; %bb.1253:                             ;   in Loop: Header=BB2_1226 Depth=2
	s_andn2_saveexec_b64 s[20:21], s[20:21]
; %bb.1254:                             ;   in Loop: Header=BB2_1226 Depth=2
	v_mov_b32_e32 v57, v17
; %bb.1255:                             ;   in Loop: Header=BB2_1226 Depth=2
	s_or_b64 exec, exec, s[20:21]
.LBB2_1256:                             ;   in Loop: Header=BB2_1226 Depth=2
	s_or_b64 exec, exec, s[92:93]
                                        ; implicit-def: $vgpr17
.LBB2_1257:                             ;   in Loop: Header=BB2_1226 Depth=2
	s_andn2_saveexec_b64 s[20:21], s[90:91]
; %bb.1258:                             ;   in Loop: Header=BB2_1226 Depth=2
	v_or_b32_e32 v57, 0x7b, v17
; %bb.1259:                             ;   in Loop: Header=BB2_1226 Depth=2
	s_or_b64 exec, exec, s[20:21]
                                        ; implicit-def: $vgpr24
.LBB2_1260:                             ;   in Loop: Header=BB2_1226 Depth=2
	s_andn2_saveexec_b64 s[20:21], s[88:89]
	s_cbranch_execz .LBB2_1266
; %bb.1261:                             ;   in Loop: Header=BB2_1226 Depth=2
	v_cmp_ne_u64_e32 vcc, 0, v[36:37]
                                        ; implicit-def: $vgpr57
	s_and_saveexec_b64 s[88:89], vcc
	s_xor_b64 s[88:89], exec, s[88:89]
; %bb.1262:                             ;   in Loop: Header=BB2_1226 Depth=2
	v_or_b32_sdwa v57, v24, s55 dst_sel:DWORD dst_unused:UNUSED_PAD src0_sel:BYTE_3 src1_sel:DWORD
                                        ; implicit-def: $vgpr24
; %bb.1263:                             ;   in Loop: Header=BB2_1226 Depth=2
	s_andn2_saveexec_b64 s[88:89], s[88:89]
; %bb.1264:                             ;   in Loop: Header=BB2_1226 Depth=2
	v_cmp_lt_i32_e32 vcc, -1, v24
	v_cndmask_b32_e32 v57, -4, v19, vcc
; %bb.1265:                             ;   in Loop: Header=BB2_1226 Depth=2
	s_or_b64 exec, exec, s[88:89]
.LBB2_1266:                             ;   in Loop: Header=BB2_1226 Depth=2
	s_or_b64 exec, exec, s[20:21]
	v_cmp_ne_u16_e32 vcc, 0, v55
	v_mov_b32_e32 v17, 0
	v_mov_b32_e32 v24, 0
	s_and_saveexec_b64 s[20:21], vcc
	s_cbranch_execz .LBB2_1274
; %bb.1267:                             ;   in Loop: Header=BB2_1226 Depth=2
	v_cmp_ne_u16_e32 vcc, s52, v55
	v_bfrev_b32_e32 v24, 1
	s_and_saveexec_b64 s[88:89], vcc
	s_cbranch_execz .LBB2_1273
; %bb.1268:                             ;   in Loop: Header=BB2_1226 Depth=2
	v_and_b32_e32 v24, 0x7c, v55
	v_and_b32_e32 v3, 3, v55
	v_cmp_ne_u32_e32 vcc, s53, v24
                                        ; implicit-def: $vgpr24
	s_and_saveexec_b64 s[90:91], vcc
	s_xor_b64 s[90:91], exec, s[90:91]
	s_cbranch_execz .LBB2_1270
; %bb.1269:                             ;   in Loop: Header=BB2_1226 Depth=2
	v_and_b32_e32 v24, 0xff, v55
	v_bfe_u32 v34, v24, 2, 5
	v_ffbh_u32_e32 v24, v3
	v_min_u32_e32 v35, 32, v24
	v_mov_b32_e32 v56, v37
	v_subrev_u32_e32 v24, 29, v35
	v_lshlrev_b64 v[24:25], v24, v[55:56]
	v_sub_u32_e32 v25, 30, v35
	v_and_b32_e32 v24, 3, v24
	v_cmp_eq_u32_e32 vcc, 0, v34
	v_cndmask_b32_e32 v25, v34, v25, vcc
	v_cndmask_b32_e32 v3, v3, v24, vcc
	v_and_b32_sdwa v24, sext(v55), s54 dst_sel:DWORD dst_unused:UNUSED_PAD src0_sel:WORD_0 src1_sel:DWORD
	v_lshl_add_u32 v24, v25, 23, v24
	v_lshl_or_b32 v3, v3, 21, v24
	v_add_u32_e32 v24, 0x38000000, v3
                                        ; implicit-def: $vgpr3
                                        ; implicit-def: $vgpr55
.LBB2_1270:                             ;   in Loop: Header=BB2_1226 Depth=2
	s_andn2_saveexec_b64 s[90:91], s[90:91]
; %bb.1271:                             ;   in Loop: Header=BB2_1226 Depth=2
	v_cmp_lt_i16_e32 vcc, -1, v55
	v_cndmask_b32_e32 v24, v21, v61, vcc
	v_cmp_eq_u32_e32 vcc, 0, v3
	v_cndmask_b32_e32 v24, v2, v24, vcc
; %bb.1272:                             ;   in Loop: Header=BB2_1226 Depth=2
	s_or_b64 exec, exec, s[90:91]
.LBB2_1273:                             ;   in Loop: Header=BB2_1226 Depth=2
	s_or_b64 exec, exec, s[88:89]
.LBB2_1274:                             ;   in Loop: Header=BB2_1226 Depth=2
	s_or_b64 exec, exec, s[20:21]
	v_cmp_ne_u16_e32 vcc, 0, v46
	s_and_saveexec_b64 s[20:21], vcc
	s_cbranch_execz .LBB2_1282
; %bb.1275:                             ;   in Loop: Header=BB2_1226 Depth=2
	v_cmp_ne_u16_e32 vcc, s52, v46
	v_bfrev_b32_e32 v17, 1
	s_and_saveexec_b64 s[88:89], vcc
	s_cbranch_execz .LBB2_1281
; %bb.1276:                             ;   in Loop: Header=BB2_1226 Depth=2
	v_and_b32_e32 v17, 0x7c, v46
	v_and_b32_e32 v3, 3, v46
	v_cmp_ne_u32_e32 vcc, s53, v17
                                        ; implicit-def: $vgpr17
	s_and_saveexec_b64 s[90:91], vcc
	s_xor_b64 s[90:91], exec, s[90:91]
	s_cbranch_execz .LBB2_1278
; %bb.1277:                             ;   in Loop: Header=BB2_1226 Depth=2
	v_ffbh_u32_e32 v25, v3
	v_min_u32_e32 v25, 32, v25
	v_and_b32_e32 v17, 0xff, v46
	v_mov_b32_e32 v47, v37
	v_subrev_u32_e32 v34, 29, v25
	v_bfe_u32 v17, v17, 2, 5
	v_lshlrev_b64 v[34:35], v34, v[46:47]
	v_sub_u32_e32 v25, 30, v25
	v_cmp_eq_u32_e32 vcc, 0, v17
	v_and_b32_e32 v34, 3, v34
	v_cndmask_b32_e32 v17, v17, v25, vcc
	v_and_b32_sdwa v25, sext(v46), s54 dst_sel:DWORD dst_unused:UNUSED_PAD src0_sel:WORD_0 src1_sel:DWORD
	v_cndmask_b32_e32 v3, v3, v34, vcc
	v_lshl_add_u32 v17, v17, 23, v25
	v_lshl_or_b32 v3, v3, 21, v17
	v_add_u32_e32 v17, 0x38000000, v3
                                        ; implicit-def: $vgpr3
                                        ; implicit-def: $vgpr46
.LBB2_1278:                             ;   in Loop: Header=BB2_1226 Depth=2
	s_andn2_saveexec_b64 s[90:91], s[90:91]
; %bb.1279:                             ;   in Loop: Header=BB2_1226 Depth=2
	v_cmp_lt_i16_e32 vcc, -1, v46
	v_cndmask_b32_e32 v17, v21, v61, vcc
	v_cmp_eq_u32_e32 vcc, 0, v3
	v_cndmask_b32_e32 v17, v2, v17, vcc
; %bb.1280:                             ;   in Loop: Header=BB2_1226 Depth=2
	s_or_b64 exec, exec, s[90:91]
.LBB2_1281:                             ;   in Loop: Header=BB2_1226 Depth=2
	s_or_b64 exec, exec, s[88:89]
.LBB2_1282:                             ;   in Loop: Header=BB2_1226 Depth=2
	s_or_b64 exec, exec, s[20:21]
	v_mul_f32_e32 v24, v24, v17
	v_and_b32_e32 v34, 0x7f800000, v24
	v_mov_b32_e32 v35, v37
	v_cmp_ne_u64_e32 vcc, s[60:61], v[34:35]
	v_and_b32_e32 v36, 0x7fffff, v24
                                        ; implicit-def: $vgpr47
	s_and_saveexec_b64 s[20:21], vcc
	s_xor_b64 s[88:89], exec, s[20:21]
	s_cbranch_execz .LBB2_1300
; %bb.1283:                             ;   in Loop: Header=BB2_1226 Depth=2
	v_and_b32_e32 v34, 0x7fffffff, v24
	v_mov_b32_e32 v35, v37
	v_cmp_gt_u64_e32 vcc, s[62:63], v[34:35]
	v_and_b32_sdwa v17, v24, s64 dst_sel:DWORD dst_unused:UNUSED_PAD src0_sel:BYTE_3 src1_sel:DWORD
                                        ; implicit-def: $vgpr47
	s_and_saveexec_b64 s[20:21], vcc
	s_xor_b64 s[90:91], exec, s[20:21]
	s_cbranch_execz .LBB2_1297
; %bb.1284:                             ;   in Loop: Header=BB2_1226 Depth=2
	v_cmp_ne_u32_e32 vcc, 0, v24
	v_mov_b32_e32 v47, 0
	s_and_saveexec_b64 s[92:93], vcc
	s_cbranch_execz .LBB2_1296
; %bb.1285:                             ;   in Loop: Header=BB2_1226 Depth=2
	v_bfe_u32 v3, v24, 23, 8
	v_cmp_gt_u32_e64 s[20:21], s65, v3
	v_sub_u32_e32 v24, 0x71, v3
	v_cmp_eq_u32_e32 vcc, 0, v3
	v_cndmask_b32_e64 v24, 0, v24, s[20:21]
	v_mov_b32_e32 v34, 0x70
	v_or_b32_e32 v25, 0x800000, v36
	v_cndmask_b32_e32 v24, v24, v34, vcc
	v_cndmask_b32_e32 v36, v25, v36, vcc
	v_add_u32_e32 v25, 21, v24
	v_lshlrev_b64 v[34:35], v25, -1
	v_add_u32_e32 v25, 20, v24
	v_lshlrev_b64 v[46:47], v25, 1
	v_bfi_b32 v35, v35, 0, 0
	v_bfi_b32 v34, v34, 0, v36
	v_cmp_eq_u64_e64 s[20:21], v[34:35], v[46:47]
	v_lshrrev_b64 v[46:47], v24, v[36:37]
	v_mov_b32_e32 v56, v47
	v_mov_b32_e32 v55, v46
	s_and_saveexec_b64 s[94:95], s[20:21]
; %bb.1286:                             ;   in Loop: Header=BB2_1226 Depth=2
	v_bfe_u32 v25, v46, 21, 1
	v_add_co_u32_e64 v25, s[20:21], v46, v25
	v_add_co_u32_e64 v55, s[20:21], -1, v25
; %bb.1287:                             ;   in Loop: Header=BB2_1226 Depth=2
	s_or_b64 exec, exec, s[94:95]
	v_add_u32_e32 v3, 0xffffff81, v3
	v_mov_b32_e32 v25, 0xffffff82
	v_cndmask_b32_e32 v3, v3, v25, vcc
	v_lshrrev_b32_e32 v25, 23, v46
	v_add3_u32 v25, v24, v3, v25
	v_add_u32_e32 v24, 14, v25
	v_and_b32_e32 v3, 0x1fffff, v55
	v_add_u32_e32 v36, v3, v46
	v_cmp_ne_u32_e32 vcc, 0, v24
                                        ; implicit-def: $vgpr46_vgpr47
                                        ; implicit-def: $vgpr3
	s_and_saveexec_b64 s[20:21], vcc
	s_xor_b64 s[20:21], exec, s[20:21]
; %bb.1288:                             ;   in Loop: Header=BB2_1226 Depth=2
	v_cmp_lt_u64_e32 vcc, s[72:73], v[36:37]
	v_add_u32_e32 v3, 15, v25
	v_cndmask_b32_e32 v3, v24, v3, vcc
	v_cndmask_b32_e64 v24, 0, 1, vcc
	v_lshrrev_b64 v[46:47], v24, v[36:37]
; %bb.1289:                             ;   in Loop: Header=BB2_1226 Depth=2
	s_andn2_saveexec_b64 s[20:21], s[20:21]
; %bb.1290:                             ;   in Loop: Header=BB2_1226 Depth=2
	v_mov_b32_e32 v47, v37
	v_bfe_u32 v3, v36, 23, 1
	v_mov_b32_e32 v46, v36
; %bb.1291:                             ;   in Loop: Header=BB2_1226 Depth=2
	s_or_b64 exec, exec, s[20:21]
	v_lshrrev_b64 v[24:25], 21, v[46:47]
	v_cmp_gt_i32_e32 vcc, 32, v3
	v_cndmask_b32_e32 v47, 0, v25, vcc
	v_cndmask_b32_e32 v46, 3, v24, vcc
	v_cmp_ne_u64_e32 vcc, 0, v[46:47]
	v_cmp_ne_u32_e64 s[20:21], 0, v3
	s_or_b64 s[20:21], s[20:21], vcc
                                        ; implicit-def: $vgpr47
	s_and_saveexec_b64 s[94:95], s[20:21]
	s_xor_b64 s[20:21], exec, s[94:95]
; %bb.1292:                             ;   in Loop: Header=BB2_1226 Depth=2
	v_min_i32_e32 v3, 31, v3
	v_lshl_or_b32 v3, v3, 2, v17
	v_and_or_b32 v47, v46, 3, v3
                                        ; implicit-def: $vgpr17
; %bb.1293:                             ;   in Loop: Header=BB2_1226 Depth=2
	s_andn2_saveexec_b64 s[20:21], s[20:21]
; %bb.1294:                             ;   in Loop: Header=BB2_1226 Depth=2
	v_mov_b32_e32 v47, v17
; %bb.1295:                             ;   in Loop: Header=BB2_1226 Depth=2
	s_or_b64 exec, exec, s[20:21]
.LBB2_1296:                             ;   in Loop: Header=BB2_1226 Depth=2
	s_or_b64 exec, exec, s[92:93]
                                        ; implicit-def: $vgpr17
.LBB2_1297:                             ;   in Loop: Header=BB2_1226 Depth=2
	s_andn2_saveexec_b64 s[20:21], s[90:91]
; %bb.1298:                             ;   in Loop: Header=BB2_1226 Depth=2
	v_or_b32_e32 v47, 0x7b, v17
; %bb.1299:                             ;   in Loop: Header=BB2_1226 Depth=2
	s_or_b64 exec, exec, s[20:21]
                                        ; implicit-def: $vgpr24
.LBB2_1300:                             ;   in Loop: Header=BB2_1226 Depth=2
	s_andn2_saveexec_b64 s[20:21], s[88:89]
	s_cbranch_execz .LBB2_1306
; %bb.1301:                             ;   in Loop: Header=BB2_1226 Depth=2
	v_cmp_ne_u64_e32 vcc, 0, v[36:37]
                                        ; implicit-def: $vgpr47
	s_and_saveexec_b64 s[88:89], vcc
	s_xor_b64 s[88:89], exec, s[88:89]
; %bb.1302:                             ;   in Loop: Header=BB2_1226 Depth=2
	v_or_b32_sdwa v47, v24, s55 dst_sel:DWORD dst_unused:UNUSED_PAD src0_sel:BYTE_3 src1_sel:DWORD
                                        ; implicit-def: $vgpr24
; %bb.1303:                             ;   in Loop: Header=BB2_1226 Depth=2
	s_andn2_saveexec_b64 s[88:89], s[88:89]
; %bb.1304:                             ;   in Loop: Header=BB2_1226 Depth=2
	v_cmp_lt_i32_e32 vcc, -1, v24
	v_cndmask_b32_e32 v47, -4, v19, vcc
; %bb.1305:                             ;   in Loop: Header=BB2_1226 Depth=2
	s_or_b64 exec, exec, s[88:89]
.LBB2_1306:                             ;   in Loop: Header=BB2_1226 Depth=2
	s_or_b64 exec, exec, s[20:21]
	v_cmp_ne_u16_e32 vcc, 0, v45
	v_mov_b32_e32 v17, 0
	v_mov_b32_e32 v24, 0
	s_and_saveexec_b64 s[20:21], vcc
	s_cbranch_execz .LBB2_1314
; %bb.1307:                             ;   in Loop: Header=BB2_1226 Depth=2
	v_cmp_ne_u16_e32 vcc, s52, v45
	v_bfrev_b32_e32 v24, 1
	s_and_saveexec_b64 s[88:89], vcc
	s_cbranch_execz .LBB2_1313
; %bb.1308:                             ;   in Loop: Header=BB2_1226 Depth=2
	v_and_b32_e32 v24, 0x7c, v45
	v_and_b32_e32 v3, 3, v45
	v_cmp_ne_u32_e32 vcc, s53, v24
                                        ; implicit-def: $vgpr24
	s_and_saveexec_b64 s[90:91], vcc
	s_xor_b64 s[90:91], exec, s[90:91]
	s_cbranch_execz .LBB2_1310
; %bb.1309:                             ;   in Loop: Header=BB2_1226 Depth=2
	v_and_b32_e32 v24, 0xff, v45
	v_bfe_u32 v34, v24, 2, 5
	v_ffbh_u32_e32 v24, v3
	v_min_u32_e32 v35, 32, v24
	v_mov_b32_e32 v46, v37
	v_subrev_u32_e32 v24, 29, v35
	v_lshlrev_b64 v[24:25], v24, v[45:46]
	v_sub_u32_e32 v25, 30, v35
	v_and_b32_e32 v24, 3, v24
	v_cmp_eq_u32_e32 vcc, 0, v34
	v_cndmask_b32_e32 v25, v34, v25, vcc
	v_cndmask_b32_e32 v3, v3, v24, vcc
	v_and_b32_sdwa v24, sext(v45), s54 dst_sel:DWORD dst_unused:UNUSED_PAD src0_sel:WORD_0 src1_sel:DWORD
	v_lshl_add_u32 v24, v25, 23, v24
	v_lshl_or_b32 v3, v3, 21, v24
	v_add_u32_e32 v24, 0x38000000, v3
                                        ; implicit-def: $vgpr3
                                        ; implicit-def: $vgpr45
.LBB2_1310:                             ;   in Loop: Header=BB2_1226 Depth=2
	s_andn2_saveexec_b64 s[90:91], s[90:91]
; %bb.1311:                             ;   in Loop: Header=BB2_1226 Depth=2
	v_cmp_lt_i16_e32 vcc, -1, v45
	v_cndmask_b32_e32 v24, v21, v61, vcc
	v_cmp_eq_u32_e32 vcc, 0, v3
	v_cndmask_b32_e32 v24, v2, v24, vcc
; %bb.1312:                             ;   in Loop: Header=BB2_1226 Depth=2
	s_or_b64 exec, exec, s[90:91]
.LBB2_1313:                             ;   in Loop: Header=BB2_1226 Depth=2
	s_or_b64 exec, exec, s[88:89]
.LBB2_1314:                             ;   in Loop: Header=BB2_1226 Depth=2
	s_or_b64 exec, exec, s[20:21]
	v_cmp_ne_u16_e32 vcc, 0, v44
	s_and_saveexec_b64 s[20:21], vcc
	s_cbranch_execz .LBB2_1322
; %bb.1315:                             ;   in Loop: Header=BB2_1226 Depth=2
	v_cmp_ne_u16_e32 vcc, s52, v44
	v_bfrev_b32_e32 v17, 1
	s_and_saveexec_b64 s[88:89], vcc
	s_cbranch_execz .LBB2_1321
; %bb.1316:                             ;   in Loop: Header=BB2_1226 Depth=2
	v_and_b32_e32 v17, 0x7c, v44
	v_and_b32_e32 v3, 3, v44
	v_cmp_ne_u32_e32 vcc, s53, v17
                                        ; implicit-def: $vgpr17
	s_and_saveexec_b64 s[90:91], vcc
	s_xor_b64 s[90:91], exec, s[90:91]
	s_cbranch_execz .LBB2_1318
; %bb.1317:                             ;   in Loop: Header=BB2_1226 Depth=2
	v_ffbh_u32_e32 v25, v3
	v_min_u32_e32 v25, 32, v25
	v_and_b32_e32 v17, 0xff, v44
	v_mov_b32_e32 v45, v37
	v_subrev_u32_e32 v34, 29, v25
	v_bfe_u32 v17, v17, 2, 5
	v_lshlrev_b64 v[34:35], v34, v[44:45]
	v_sub_u32_e32 v25, 30, v25
	v_cmp_eq_u32_e32 vcc, 0, v17
	v_and_b32_e32 v34, 3, v34
	v_cndmask_b32_e32 v17, v17, v25, vcc
	v_and_b32_sdwa v25, sext(v44), s54 dst_sel:DWORD dst_unused:UNUSED_PAD src0_sel:WORD_0 src1_sel:DWORD
	v_cndmask_b32_e32 v3, v3, v34, vcc
	v_lshl_add_u32 v17, v17, 23, v25
	v_lshl_or_b32 v3, v3, 21, v17
	v_add_u32_e32 v17, 0x38000000, v3
                                        ; implicit-def: $vgpr3
                                        ; implicit-def: $vgpr44
.LBB2_1318:                             ;   in Loop: Header=BB2_1226 Depth=2
	s_andn2_saveexec_b64 s[90:91], s[90:91]
; %bb.1319:                             ;   in Loop: Header=BB2_1226 Depth=2
	v_cmp_lt_i16_e32 vcc, -1, v44
	v_cndmask_b32_e32 v17, v21, v61, vcc
	v_cmp_eq_u32_e32 vcc, 0, v3
	v_cndmask_b32_e32 v17, v2, v17, vcc
; %bb.1320:                             ;   in Loop: Header=BB2_1226 Depth=2
	s_or_b64 exec, exec, s[90:91]
.LBB2_1321:                             ;   in Loop: Header=BB2_1226 Depth=2
	s_or_b64 exec, exec, s[88:89]
.LBB2_1322:                             ;   in Loop: Header=BB2_1226 Depth=2
	s_or_b64 exec, exec, s[20:21]
	v_mul_f32_e32 v24, v24, v17
	v_and_b32_e32 v34, 0x7f800000, v24
	v_mov_b32_e32 v35, v37
	v_cmp_ne_u64_e32 vcc, s[60:61], v[34:35]
	v_and_b32_e32 v36, 0x7fffff, v24
                                        ; implicit-def: $vgpr45
	s_and_saveexec_b64 s[20:21], vcc
	s_xor_b64 s[88:89], exec, s[20:21]
	s_cbranch_execz .LBB2_1340
; %bb.1323:                             ;   in Loop: Header=BB2_1226 Depth=2
	v_and_b32_e32 v34, 0x7fffffff, v24
	v_mov_b32_e32 v35, v37
	v_cmp_gt_u64_e32 vcc, s[62:63], v[34:35]
	v_and_b32_sdwa v17, v24, s64 dst_sel:DWORD dst_unused:UNUSED_PAD src0_sel:BYTE_3 src1_sel:DWORD
                                        ; implicit-def: $vgpr45
	s_and_saveexec_b64 s[20:21], vcc
	s_xor_b64 s[90:91], exec, s[20:21]
	s_cbranch_execz .LBB2_1337
; %bb.1324:                             ;   in Loop: Header=BB2_1226 Depth=2
	v_cmp_ne_u32_e32 vcc, 0, v24
	v_mov_b32_e32 v45, 0
	s_and_saveexec_b64 s[92:93], vcc
	s_cbranch_execz .LBB2_1336
; %bb.1325:                             ;   in Loop: Header=BB2_1226 Depth=2
	v_bfe_u32 v3, v24, 23, 8
	v_cmp_gt_u32_e64 s[20:21], s65, v3
	v_sub_u32_e32 v24, 0x71, v3
	v_cmp_eq_u32_e32 vcc, 0, v3
	v_cndmask_b32_e64 v24, 0, v24, s[20:21]
	v_mov_b32_e32 v34, 0x70
	v_or_b32_e32 v25, 0x800000, v36
	v_cndmask_b32_e32 v24, v24, v34, vcc
	v_cndmask_b32_e32 v36, v25, v36, vcc
	v_add_u32_e32 v25, 21, v24
	v_lshlrev_b64 v[34:35], v25, -1
	v_add_u32_e32 v25, 20, v24
	v_lshlrev_b64 v[44:45], v25, 1
	v_bfi_b32 v35, v35, 0, 0
	v_bfi_b32 v34, v34, 0, v36
	v_cmp_eq_u64_e64 s[20:21], v[34:35], v[44:45]
	v_lshrrev_b64 v[44:45], v24, v[36:37]
	v_mov_b32_e32 v46, v45
	v_mov_b32_e32 v45, v44
	s_and_saveexec_b64 s[94:95], s[20:21]
; %bb.1326:                             ;   in Loop: Header=BB2_1226 Depth=2
	v_bfe_u32 v25, v44, 21, 1
	v_add_co_u32_e64 v25, s[20:21], v44, v25
	v_add_co_u32_e64 v45, s[20:21], -1, v25
; %bb.1327:                             ;   in Loop: Header=BB2_1226 Depth=2
	s_or_b64 exec, exec, s[94:95]
	v_add_u32_e32 v3, 0xffffff81, v3
	v_mov_b32_e32 v25, 0xffffff82
	v_cndmask_b32_e32 v3, v3, v25, vcc
	v_lshrrev_b32_e32 v25, 23, v44
	v_add3_u32 v25, v24, v3, v25
	v_add_u32_e32 v24, 14, v25
	v_and_b32_e32 v3, 0x1fffff, v45
	v_add_u32_e32 v36, v3, v44
	v_cmp_ne_u32_e32 vcc, 0, v24
                                        ; implicit-def: $vgpr44_vgpr45
                                        ; implicit-def: $vgpr3
	s_and_saveexec_b64 s[20:21], vcc
	s_xor_b64 s[20:21], exec, s[20:21]
; %bb.1328:                             ;   in Loop: Header=BB2_1226 Depth=2
	v_cmp_lt_u64_e32 vcc, s[72:73], v[36:37]
	v_add_u32_e32 v3, 15, v25
	v_cndmask_b32_e32 v3, v24, v3, vcc
	v_cndmask_b32_e64 v24, 0, 1, vcc
	v_lshrrev_b64 v[44:45], v24, v[36:37]
; %bb.1329:                             ;   in Loop: Header=BB2_1226 Depth=2
	s_andn2_saveexec_b64 s[20:21], s[20:21]
; %bb.1330:                             ;   in Loop: Header=BB2_1226 Depth=2
	v_mov_b32_e32 v45, v37
	v_bfe_u32 v3, v36, 23, 1
	v_mov_b32_e32 v44, v36
; %bb.1331:                             ;   in Loop: Header=BB2_1226 Depth=2
	s_or_b64 exec, exec, s[20:21]
	v_lshrrev_b64 v[24:25], 21, v[44:45]
	v_cmp_gt_i32_e32 vcc, 32, v3
	v_cndmask_b32_e32 v45, 0, v25, vcc
	v_cndmask_b32_e32 v44, 3, v24, vcc
	v_cmp_ne_u64_e32 vcc, 0, v[44:45]
	v_cmp_ne_u32_e64 s[20:21], 0, v3
	s_or_b64 s[20:21], s[20:21], vcc
                                        ; implicit-def: $vgpr45
	s_and_saveexec_b64 s[94:95], s[20:21]
	s_xor_b64 s[20:21], exec, s[94:95]
; %bb.1332:                             ;   in Loop: Header=BB2_1226 Depth=2
	v_min_i32_e32 v3, 31, v3
	v_lshl_or_b32 v3, v3, 2, v17
	v_and_or_b32 v45, v44, 3, v3
                                        ; implicit-def: $vgpr17
; %bb.1333:                             ;   in Loop: Header=BB2_1226 Depth=2
	s_andn2_saveexec_b64 s[20:21], s[20:21]
; %bb.1334:                             ;   in Loop: Header=BB2_1226 Depth=2
	v_mov_b32_e32 v45, v17
; %bb.1335:                             ;   in Loop: Header=BB2_1226 Depth=2
	s_or_b64 exec, exec, s[20:21]
.LBB2_1336:                             ;   in Loop: Header=BB2_1226 Depth=2
	s_or_b64 exec, exec, s[92:93]
                                        ; implicit-def: $vgpr17
.LBB2_1337:                             ;   in Loop: Header=BB2_1226 Depth=2
	s_andn2_saveexec_b64 s[20:21], s[90:91]
; %bb.1338:                             ;   in Loop: Header=BB2_1226 Depth=2
	v_or_b32_e32 v45, 0x7b, v17
; %bb.1339:                             ;   in Loop: Header=BB2_1226 Depth=2
	s_or_b64 exec, exec, s[20:21]
                                        ; implicit-def: $vgpr24
.LBB2_1340:                             ;   in Loop: Header=BB2_1226 Depth=2
	s_andn2_saveexec_b64 s[20:21], s[88:89]
	s_cbranch_execz .LBB2_1346
; %bb.1341:                             ;   in Loop: Header=BB2_1226 Depth=2
	v_cmp_ne_u64_e32 vcc, 0, v[36:37]
                                        ; implicit-def: $vgpr45
	s_and_saveexec_b64 s[88:89], vcc
	s_xor_b64 s[88:89], exec, s[88:89]
; %bb.1342:                             ;   in Loop: Header=BB2_1226 Depth=2
	v_or_b32_sdwa v45, v24, s55 dst_sel:DWORD dst_unused:UNUSED_PAD src0_sel:BYTE_3 src1_sel:DWORD
                                        ; implicit-def: $vgpr24
; %bb.1343:                             ;   in Loop: Header=BB2_1226 Depth=2
	s_andn2_saveexec_b64 s[88:89], s[88:89]
; %bb.1344:                             ;   in Loop: Header=BB2_1226 Depth=2
	v_cmp_lt_i32_e32 vcc, -1, v24
	v_cndmask_b32_e32 v45, -4, v19, vcc
; %bb.1345:                             ;   in Loop: Header=BB2_1226 Depth=2
	s_or_b64 exec, exec, s[88:89]
.LBB2_1346:                             ;   in Loop: Header=BB2_1226 Depth=2
	s_or_b64 exec, exec, s[20:21]
	v_cmp_ne_u16_e32 vcc, 0, v43
	v_mov_b32_e32 v17, 0
	v_mov_b32_e32 v24, 0
	s_and_saveexec_b64 s[20:21], vcc
	s_cbranch_execz .LBB2_1354
; %bb.1347:                             ;   in Loop: Header=BB2_1226 Depth=2
	v_cmp_ne_u16_e32 vcc, s52, v43
	v_bfrev_b32_e32 v24, 1
	s_and_saveexec_b64 s[88:89], vcc
	s_cbranch_execz .LBB2_1353
; %bb.1348:                             ;   in Loop: Header=BB2_1226 Depth=2
	v_and_b32_e32 v24, 0x7c, v43
	v_and_b32_e32 v3, 3, v43
	v_cmp_ne_u32_e32 vcc, s53, v24
                                        ; implicit-def: $vgpr24
	s_and_saveexec_b64 s[90:91], vcc
	s_xor_b64 s[90:91], exec, s[90:91]
	s_cbranch_execz .LBB2_1350
; %bb.1349:                             ;   in Loop: Header=BB2_1226 Depth=2
	v_and_b32_e32 v24, 0xff, v43
	v_bfe_u32 v34, v24, 2, 5
	v_ffbh_u32_e32 v24, v3
	v_min_u32_e32 v35, 32, v24
	v_mov_b32_e32 v44, v37
	v_subrev_u32_e32 v24, 29, v35
	v_lshlrev_b64 v[24:25], v24, v[43:44]
	v_sub_u32_e32 v25, 30, v35
	v_and_b32_e32 v24, 3, v24
	v_cmp_eq_u32_e32 vcc, 0, v34
	v_cndmask_b32_e32 v25, v34, v25, vcc
	v_cndmask_b32_e32 v3, v3, v24, vcc
	v_and_b32_sdwa v24, sext(v43), s54 dst_sel:DWORD dst_unused:UNUSED_PAD src0_sel:WORD_0 src1_sel:DWORD
	v_lshl_add_u32 v24, v25, 23, v24
	v_lshl_or_b32 v3, v3, 21, v24
	v_add_u32_e32 v24, 0x38000000, v3
                                        ; implicit-def: $vgpr3
                                        ; implicit-def: $vgpr43
.LBB2_1350:                             ;   in Loop: Header=BB2_1226 Depth=2
	s_andn2_saveexec_b64 s[90:91], s[90:91]
; %bb.1351:                             ;   in Loop: Header=BB2_1226 Depth=2
	v_cmp_lt_i16_e32 vcc, -1, v43
	v_cndmask_b32_e32 v24, v21, v61, vcc
	v_cmp_eq_u32_e32 vcc, 0, v3
	v_cndmask_b32_e32 v24, v2, v24, vcc
; %bb.1352:                             ;   in Loop: Header=BB2_1226 Depth=2
	s_or_b64 exec, exec, s[90:91]
.LBB2_1353:                             ;   in Loop: Header=BB2_1226 Depth=2
	s_or_b64 exec, exec, s[88:89]
.LBB2_1354:                             ;   in Loop: Header=BB2_1226 Depth=2
	s_or_b64 exec, exec, s[20:21]
	v_cmp_ne_u16_e32 vcc, 0, v42
	s_and_saveexec_b64 s[20:21], vcc
	s_cbranch_execz .LBB2_1362
; %bb.1355:                             ;   in Loop: Header=BB2_1226 Depth=2
	v_cmp_ne_u16_e32 vcc, s52, v42
	v_bfrev_b32_e32 v17, 1
	s_and_saveexec_b64 s[88:89], vcc
	s_cbranch_execz .LBB2_1361
; %bb.1356:                             ;   in Loop: Header=BB2_1226 Depth=2
	v_and_b32_e32 v17, 0x7c, v42
	v_and_b32_e32 v3, 3, v42
	v_cmp_ne_u32_e32 vcc, s53, v17
                                        ; implicit-def: $vgpr17
	s_and_saveexec_b64 s[90:91], vcc
	s_xor_b64 s[90:91], exec, s[90:91]
	s_cbranch_execz .LBB2_1358
; %bb.1357:                             ;   in Loop: Header=BB2_1226 Depth=2
	v_ffbh_u32_e32 v25, v3
	v_min_u32_e32 v25, 32, v25
	v_and_b32_e32 v17, 0xff, v42
	v_mov_b32_e32 v43, v37
	v_subrev_u32_e32 v34, 29, v25
	v_bfe_u32 v17, v17, 2, 5
	v_lshlrev_b64 v[34:35], v34, v[42:43]
	v_sub_u32_e32 v25, 30, v25
	v_cmp_eq_u32_e32 vcc, 0, v17
	v_and_b32_e32 v34, 3, v34
	v_cndmask_b32_e32 v17, v17, v25, vcc
	v_and_b32_sdwa v25, sext(v42), s54 dst_sel:DWORD dst_unused:UNUSED_PAD src0_sel:WORD_0 src1_sel:DWORD
	v_cndmask_b32_e32 v3, v3, v34, vcc
	v_lshl_add_u32 v17, v17, 23, v25
	v_lshl_or_b32 v3, v3, 21, v17
	v_add_u32_e32 v17, 0x38000000, v3
                                        ; implicit-def: $vgpr3
                                        ; implicit-def: $vgpr42
.LBB2_1358:                             ;   in Loop: Header=BB2_1226 Depth=2
	s_andn2_saveexec_b64 s[90:91], s[90:91]
; %bb.1359:                             ;   in Loop: Header=BB2_1226 Depth=2
	v_cmp_lt_i16_e32 vcc, -1, v42
	v_cndmask_b32_e32 v17, v21, v61, vcc
	v_cmp_eq_u32_e32 vcc, 0, v3
	v_cndmask_b32_e32 v17, v2, v17, vcc
; %bb.1360:                             ;   in Loop: Header=BB2_1226 Depth=2
	s_or_b64 exec, exec, s[90:91]
.LBB2_1361:                             ;   in Loop: Header=BB2_1226 Depth=2
	s_or_b64 exec, exec, s[88:89]
.LBB2_1362:                             ;   in Loop: Header=BB2_1226 Depth=2
	s_or_b64 exec, exec, s[20:21]
	v_mul_f32_e32 v24, v24, v17
	v_and_b32_e32 v34, 0x7f800000, v24
	v_mov_b32_e32 v35, v37
	v_cmp_ne_u64_e32 vcc, s[60:61], v[34:35]
	v_and_b32_e32 v36, 0x7fffff, v24
                                        ; implicit-def: $vgpr43
	s_and_saveexec_b64 s[20:21], vcc
	s_xor_b64 s[88:89], exec, s[20:21]
	s_cbranch_execz .LBB2_1380
; %bb.1363:                             ;   in Loop: Header=BB2_1226 Depth=2
	v_and_b32_e32 v34, 0x7fffffff, v24
	v_mov_b32_e32 v35, v37
	v_cmp_gt_u64_e32 vcc, s[62:63], v[34:35]
	v_and_b32_sdwa v17, v24, s64 dst_sel:DWORD dst_unused:UNUSED_PAD src0_sel:BYTE_3 src1_sel:DWORD
                                        ; implicit-def: $vgpr43
	s_and_saveexec_b64 s[20:21], vcc
	s_xor_b64 s[90:91], exec, s[20:21]
	s_cbranch_execz .LBB2_1377
; %bb.1364:                             ;   in Loop: Header=BB2_1226 Depth=2
	v_cmp_ne_u32_e32 vcc, 0, v24
	v_mov_b32_e32 v43, 0
	s_and_saveexec_b64 s[92:93], vcc
	s_cbranch_execz .LBB2_1376
; %bb.1365:                             ;   in Loop: Header=BB2_1226 Depth=2
	v_bfe_u32 v3, v24, 23, 8
	v_cmp_gt_u32_e64 s[20:21], s65, v3
	v_sub_u32_e32 v24, 0x71, v3
	v_cmp_eq_u32_e32 vcc, 0, v3
	v_cndmask_b32_e64 v24, 0, v24, s[20:21]
	v_mov_b32_e32 v34, 0x70
	v_or_b32_e32 v25, 0x800000, v36
	v_cndmask_b32_e32 v24, v24, v34, vcc
	v_cndmask_b32_e32 v36, v25, v36, vcc
	v_add_u32_e32 v25, 21, v24
	v_lshlrev_b64 v[34:35], v25, -1
	v_add_u32_e32 v25, 20, v24
	v_lshlrev_b64 v[42:43], v25, 1
	v_bfi_b32 v35, v35, 0, 0
	v_bfi_b32 v34, v34, 0, v36
	v_cmp_eq_u64_e64 s[20:21], v[34:35], v[42:43]
	v_lshrrev_b64 v[42:43], v24, v[36:37]
	v_mov_b32_e32 v44, v43
	v_mov_b32_e32 v43, v42
	s_and_saveexec_b64 s[94:95], s[20:21]
; %bb.1366:                             ;   in Loop: Header=BB2_1226 Depth=2
	v_bfe_u32 v25, v42, 21, 1
	v_add_co_u32_e64 v25, s[20:21], v42, v25
	v_add_co_u32_e64 v43, s[20:21], -1, v25
; %bb.1367:                             ;   in Loop: Header=BB2_1226 Depth=2
	s_or_b64 exec, exec, s[94:95]
	v_add_u32_e32 v3, 0xffffff81, v3
	v_mov_b32_e32 v25, 0xffffff82
	v_cndmask_b32_e32 v3, v3, v25, vcc
	v_lshrrev_b32_e32 v25, 23, v42
	v_add3_u32 v25, v24, v3, v25
	v_add_u32_e32 v24, 14, v25
	v_and_b32_e32 v3, 0x1fffff, v43
	v_add_u32_e32 v36, v3, v42
	v_cmp_ne_u32_e32 vcc, 0, v24
                                        ; implicit-def: $vgpr42_vgpr43
                                        ; implicit-def: $vgpr3
	s_and_saveexec_b64 s[20:21], vcc
	s_xor_b64 s[20:21], exec, s[20:21]
; %bb.1368:                             ;   in Loop: Header=BB2_1226 Depth=2
	v_cmp_lt_u64_e32 vcc, s[72:73], v[36:37]
	v_add_u32_e32 v3, 15, v25
	v_cndmask_b32_e32 v3, v24, v3, vcc
	v_cndmask_b32_e64 v24, 0, 1, vcc
	v_lshrrev_b64 v[42:43], v24, v[36:37]
; %bb.1369:                             ;   in Loop: Header=BB2_1226 Depth=2
	s_andn2_saveexec_b64 s[20:21], s[20:21]
; %bb.1370:                             ;   in Loop: Header=BB2_1226 Depth=2
	v_mov_b32_e32 v43, v37
	v_bfe_u32 v3, v36, 23, 1
	v_mov_b32_e32 v42, v36
; %bb.1371:                             ;   in Loop: Header=BB2_1226 Depth=2
	s_or_b64 exec, exec, s[20:21]
	v_lshrrev_b64 v[24:25], 21, v[42:43]
	v_cmp_gt_i32_e32 vcc, 32, v3
	v_cndmask_b32_e32 v43, 0, v25, vcc
	v_cndmask_b32_e32 v42, 3, v24, vcc
	v_cmp_ne_u64_e32 vcc, 0, v[42:43]
	v_cmp_ne_u32_e64 s[20:21], 0, v3
	s_or_b64 s[20:21], s[20:21], vcc
                                        ; implicit-def: $vgpr43
	s_and_saveexec_b64 s[94:95], s[20:21]
	s_xor_b64 s[20:21], exec, s[94:95]
; %bb.1372:                             ;   in Loop: Header=BB2_1226 Depth=2
	v_min_i32_e32 v3, 31, v3
	v_lshl_or_b32 v3, v3, 2, v17
	v_and_or_b32 v43, v42, 3, v3
                                        ; implicit-def: $vgpr17
; %bb.1373:                             ;   in Loop: Header=BB2_1226 Depth=2
	s_andn2_saveexec_b64 s[20:21], s[20:21]
; %bb.1374:                             ;   in Loop: Header=BB2_1226 Depth=2
	v_mov_b32_e32 v43, v17
; %bb.1375:                             ;   in Loop: Header=BB2_1226 Depth=2
	s_or_b64 exec, exec, s[20:21]
.LBB2_1376:                             ;   in Loop: Header=BB2_1226 Depth=2
	s_or_b64 exec, exec, s[92:93]
                                        ; implicit-def: $vgpr17
.LBB2_1377:                             ;   in Loop: Header=BB2_1226 Depth=2
	s_andn2_saveexec_b64 s[20:21], s[90:91]
; %bb.1378:                             ;   in Loop: Header=BB2_1226 Depth=2
	v_or_b32_e32 v43, 0x7b, v17
; %bb.1379:                             ;   in Loop: Header=BB2_1226 Depth=2
	s_or_b64 exec, exec, s[20:21]
                                        ; implicit-def: $vgpr24
.LBB2_1380:                             ;   in Loop: Header=BB2_1226 Depth=2
	s_andn2_saveexec_b64 s[20:21], s[88:89]
	s_cbranch_execz .LBB2_1386
; %bb.1381:                             ;   in Loop: Header=BB2_1226 Depth=2
	v_cmp_ne_u64_e32 vcc, 0, v[36:37]
                                        ; implicit-def: $vgpr43
	s_and_saveexec_b64 s[88:89], vcc
	s_xor_b64 s[88:89], exec, s[88:89]
; %bb.1382:                             ;   in Loop: Header=BB2_1226 Depth=2
	v_or_b32_sdwa v43, v24, s55 dst_sel:DWORD dst_unused:UNUSED_PAD src0_sel:BYTE_3 src1_sel:DWORD
                                        ; implicit-def: $vgpr24
; %bb.1383:                             ;   in Loop: Header=BB2_1226 Depth=2
	s_andn2_saveexec_b64 s[88:89], s[88:89]
; %bb.1384:                             ;   in Loop: Header=BB2_1226 Depth=2
	v_cmp_lt_i32_e32 vcc, -1, v24
	v_cndmask_b32_e32 v43, -4, v19, vcc
; %bb.1385:                             ;   in Loop: Header=BB2_1226 Depth=2
	s_or_b64 exec, exec, s[88:89]
.LBB2_1386:                             ;   in Loop: Header=BB2_1226 Depth=2
	s_or_b64 exec, exec, s[20:21]
	v_cmp_ne_u16_e32 vcc, 0, v41
	v_mov_b32_e32 v17, 0
	v_mov_b32_e32 v24, 0
	s_and_saveexec_b64 s[20:21], vcc
	s_cbranch_execz .LBB2_1394
; %bb.1387:                             ;   in Loop: Header=BB2_1226 Depth=2
	v_cmp_ne_u16_e32 vcc, s52, v41
	v_bfrev_b32_e32 v24, 1
	s_and_saveexec_b64 s[88:89], vcc
	s_cbranch_execz .LBB2_1393
; %bb.1388:                             ;   in Loop: Header=BB2_1226 Depth=2
	v_and_b32_e32 v24, 0x7c, v41
	v_and_b32_e32 v3, 3, v41
	v_cmp_ne_u32_e32 vcc, s53, v24
                                        ; implicit-def: $vgpr24
	s_and_saveexec_b64 s[90:91], vcc
	s_xor_b64 s[90:91], exec, s[90:91]
	s_cbranch_execz .LBB2_1390
; %bb.1389:                             ;   in Loop: Header=BB2_1226 Depth=2
	v_and_b32_e32 v24, 0xff, v41
	v_bfe_u32 v34, v24, 2, 5
	v_ffbh_u32_e32 v24, v3
	v_min_u32_e32 v35, 32, v24
	v_mov_b32_e32 v42, v37
	v_subrev_u32_e32 v24, 29, v35
	v_lshlrev_b64 v[24:25], v24, v[41:42]
	v_sub_u32_e32 v25, 30, v35
	v_and_b32_e32 v24, 3, v24
	v_cmp_eq_u32_e32 vcc, 0, v34
	v_cndmask_b32_e32 v25, v34, v25, vcc
	v_cndmask_b32_e32 v3, v3, v24, vcc
	v_and_b32_sdwa v24, sext(v41), s54 dst_sel:DWORD dst_unused:UNUSED_PAD src0_sel:WORD_0 src1_sel:DWORD
	v_lshl_add_u32 v24, v25, 23, v24
	v_lshl_or_b32 v3, v3, 21, v24
	v_add_u32_e32 v24, 0x38000000, v3
                                        ; implicit-def: $vgpr3
                                        ; implicit-def: $vgpr41
.LBB2_1390:                             ;   in Loop: Header=BB2_1226 Depth=2
	s_andn2_saveexec_b64 s[90:91], s[90:91]
; %bb.1391:                             ;   in Loop: Header=BB2_1226 Depth=2
	v_cmp_lt_i16_e32 vcc, -1, v41
	v_cndmask_b32_e32 v24, v21, v61, vcc
	v_cmp_eq_u32_e32 vcc, 0, v3
	v_cndmask_b32_e32 v24, v2, v24, vcc
; %bb.1392:                             ;   in Loop: Header=BB2_1226 Depth=2
	s_or_b64 exec, exec, s[90:91]
.LBB2_1393:                             ;   in Loop: Header=BB2_1226 Depth=2
	s_or_b64 exec, exec, s[88:89]
.LBB2_1394:                             ;   in Loop: Header=BB2_1226 Depth=2
	s_or_b64 exec, exec, s[20:21]
	v_cmp_ne_u16_e32 vcc, 0, v40
	s_and_saveexec_b64 s[20:21], vcc
	s_cbranch_execz .LBB2_1402
; %bb.1395:                             ;   in Loop: Header=BB2_1226 Depth=2
	v_cmp_ne_u16_e32 vcc, s52, v40
	v_bfrev_b32_e32 v17, 1
	s_and_saveexec_b64 s[88:89], vcc
	s_cbranch_execz .LBB2_1401
; %bb.1396:                             ;   in Loop: Header=BB2_1226 Depth=2
	v_and_b32_e32 v17, 0x7c, v40
	v_and_b32_e32 v3, 3, v40
	v_cmp_ne_u32_e32 vcc, s53, v17
                                        ; implicit-def: $vgpr17
	s_and_saveexec_b64 s[90:91], vcc
	s_xor_b64 s[90:91], exec, s[90:91]
	s_cbranch_execz .LBB2_1398
; %bb.1397:                             ;   in Loop: Header=BB2_1226 Depth=2
	v_ffbh_u32_e32 v25, v3
	v_min_u32_e32 v25, 32, v25
	v_and_b32_e32 v17, 0xff, v40
	v_mov_b32_e32 v41, v37
	v_subrev_u32_e32 v34, 29, v25
	v_bfe_u32 v17, v17, 2, 5
	v_lshlrev_b64 v[34:35], v34, v[40:41]
	v_sub_u32_e32 v25, 30, v25
	v_cmp_eq_u32_e32 vcc, 0, v17
	v_and_b32_e32 v34, 3, v34
	v_cndmask_b32_e32 v17, v17, v25, vcc
	v_and_b32_sdwa v25, sext(v40), s54 dst_sel:DWORD dst_unused:UNUSED_PAD src0_sel:WORD_0 src1_sel:DWORD
	v_cndmask_b32_e32 v3, v3, v34, vcc
	v_lshl_add_u32 v17, v17, 23, v25
	v_lshl_or_b32 v3, v3, 21, v17
	v_add_u32_e32 v17, 0x38000000, v3
                                        ; implicit-def: $vgpr3
                                        ; implicit-def: $vgpr40
.LBB2_1398:                             ;   in Loop: Header=BB2_1226 Depth=2
	s_andn2_saveexec_b64 s[90:91], s[90:91]
; %bb.1399:                             ;   in Loop: Header=BB2_1226 Depth=2
	v_cmp_lt_i16_e32 vcc, -1, v40
	v_cndmask_b32_e32 v17, v21, v61, vcc
	v_cmp_eq_u32_e32 vcc, 0, v3
	v_cndmask_b32_e32 v17, v2, v17, vcc
; %bb.1400:                             ;   in Loop: Header=BB2_1226 Depth=2
	s_or_b64 exec, exec, s[90:91]
.LBB2_1401:                             ;   in Loop: Header=BB2_1226 Depth=2
	s_or_b64 exec, exec, s[88:89]
.LBB2_1402:                             ;   in Loop: Header=BB2_1226 Depth=2
	s_or_b64 exec, exec, s[20:21]
	v_mul_f32_e32 v25, v24, v17
	v_and_b32_e32 v34, 0x7f800000, v25
	v_mov_b32_e32 v35, v37
	v_cmp_ne_u64_e32 vcc, s[60:61], v[34:35]
	v_and_b32_e32 v36, 0x7fffff, v25
                                        ; implicit-def: $vgpr24
	s_and_saveexec_b64 s[20:21], vcc
	s_xor_b64 s[88:89], exec, s[20:21]
	s_cbranch_execz .LBB2_1420
; %bb.1403:                             ;   in Loop: Header=BB2_1226 Depth=2
	v_and_b32_e32 v34, 0x7fffffff, v25
	v_mov_b32_e32 v35, v37
	v_cmp_gt_u64_e32 vcc, s[62:63], v[34:35]
	v_and_b32_sdwa v17, v25, s64 dst_sel:DWORD dst_unused:UNUSED_PAD src0_sel:BYTE_3 src1_sel:DWORD
                                        ; implicit-def: $vgpr24
	s_and_saveexec_b64 s[20:21], vcc
	s_xor_b64 s[90:91], exec, s[20:21]
	s_cbranch_execz .LBB2_1417
; %bb.1404:                             ;   in Loop: Header=BB2_1226 Depth=2
	v_cmp_ne_u32_e32 vcc, 0, v25
	v_mov_b32_e32 v24, 0
	s_and_saveexec_b64 s[92:93], vcc
	s_cbranch_execz .LBB2_1416
; %bb.1405:                             ;   in Loop: Header=BB2_1226 Depth=2
	v_bfe_u32 v3, v25, 23, 8
	v_cmp_gt_u32_e64 s[20:21], s65, v3
	v_sub_u32_e32 v24, 0x71, v3
	v_cmp_eq_u32_e32 vcc, 0, v3
	v_cndmask_b32_e64 v24, 0, v24, s[20:21]
	v_mov_b32_e32 v34, 0x70
	v_or_b32_e32 v25, 0x800000, v36
	v_cndmask_b32_e32 v24, v24, v34, vcc
	v_cndmask_b32_e32 v36, v25, v36, vcc
	v_add_u32_e32 v25, 21, v24
	v_lshlrev_b64 v[34:35], v25, -1
	v_add_u32_e32 v25, 20, v24
	v_lshlrev_b64 v[40:41], v25, 1
	v_bfi_b32 v35, v35, 0, 0
	v_bfi_b32 v34, v34, 0, v36
	v_cmp_eq_u64_e64 s[20:21], v[34:35], v[40:41]
	v_lshrrev_b64 v[40:41], v24, v[36:37]
	v_mov_b32_e32 v42, v41
	v_mov_b32_e32 v41, v40
	s_and_saveexec_b64 s[94:95], s[20:21]
; %bb.1406:                             ;   in Loop: Header=BB2_1226 Depth=2
	v_bfe_u32 v25, v40, 21, 1
	v_add_co_u32_e64 v25, s[20:21], v40, v25
	v_add_co_u32_e64 v41, s[20:21], -1, v25
; %bb.1407:                             ;   in Loop: Header=BB2_1226 Depth=2
	s_or_b64 exec, exec, s[94:95]
	v_add_u32_e32 v3, 0xffffff81, v3
	v_mov_b32_e32 v25, 0xffffff82
	v_cndmask_b32_e32 v3, v3, v25, vcc
	v_lshrrev_b32_e32 v25, 23, v40
	v_add3_u32 v25, v24, v3, v25
	v_add_u32_e32 v24, 14, v25
	v_and_b32_e32 v3, 0x1fffff, v41
	v_add_u32_e32 v36, v3, v40
	v_cmp_ne_u32_e32 vcc, 0, v24
                                        ; implicit-def: $vgpr40_vgpr41
                                        ; implicit-def: $vgpr3
	s_and_saveexec_b64 s[20:21], vcc
	s_xor_b64 s[20:21], exec, s[20:21]
; %bb.1408:                             ;   in Loop: Header=BB2_1226 Depth=2
	v_cmp_lt_u64_e32 vcc, s[72:73], v[36:37]
	v_add_u32_e32 v3, 15, v25
	v_cndmask_b32_e32 v3, v24, v3, vcc
	v_cndmask_b32_e64 v24, 0, 1, vcc
	v_lshrrev_b64 v[40:41], v24, v[36:37]
; %bb.1409:                             ;   in Loop: Header=BB2_1226 Depth=2
	s_andn2_saveexec_b64 s[20:21], s[20:21]
; %bb.1410:                             ;   in Loop: Header=BB2_1226 Depth=2
	v_mov_b32_e32 v41, v37
	v_bfe_u32 v3, v36, 23, 1
	v_mov_b32_e32 v40, v36
; %bb.1411:                             ;   in Loop: Header=BB2_1226 Depth=2
	s_or_b64 exec, exec, s[20:21]
	v_lshrrev_b64 v[24:25], 21, v[40:41]
	v_cmp_gt_i32_e32 vcc, 32, v3
	v_cndmask_b32_e32 v41, 0, v25, vcc
	v_cndmask_b32_e32 v40, 3, v24, vcc
	v_cmp_ne_u64_e32 vcc, 0, v[40:41]
	v_cmp_ne_u32_e64 s[20:21], 0, v3
	s_or_b64 s[20:21], s[20:21], vcc
                                        ; implicit-def: $vgpr24
	s_and_saveexec_b64 s[94:95], s[20:21]
	s_xor_b64 s[20:21], exec, s[94:95]
; %bb.1412:                             ;   in Loop: Header=BB2_1226 Depth=2
	v_min_i32_e32 v3, 31, v3
	v_lshl_or_b32 v3, v3, 2, v17
	v_and_or_b32 v24, v40, 3, v3
                                        ; implicit-def: $vgpr17
; %bb.1413:                             ;   in Loop: Header=BB2_1226 Depth=2
	s_andn2_saveexec_b64 s[20:21], s[20:21]
; %bb.1414:                             ;   in Loop: Header=BB2_1226 Depth=2
	v_mov_b32_e32 v24, v17
; %bb.1415:                             ;   in Loop: Header=BB2_1226 Depth=2
	s_or_b64 exec, exec, s[20:21]
.LBB2_1416:                             ;   in Loop: Header=BB2_1226 Depth=2
	s_or_b64 exec, exec, s[92:93]
                                        ; implicit-def: $vgpr17
.LBB2_1417:                             ;   in Loop: Header=BB2_1226 Depth=2
	s_andn2_saveexec_b64 s[20:21], s[90:91]
; %bb.1418:                             ;   in Loop: Header=BB2_1226 Depth=2
	v_or_b32_e32 v24, 0x7b, v17
; %bb.1419:                             ;   in Loop: Header=BB2_1226 Depth=2
	s_or_b64 exec, exec, s[20:21]
                                        ; implicit-def: $vgpr25
.LBB2_1420:                             ;   in Loop: Header=BB2_1226 Depth=2
	s_andn2_saveexec_b64 s[20:21], s[88:89]
	s_cbranch_execz .LBB2_1426
; %bb.1421:                             ;   in Loop: Header=BB2_1226 Depth=2
	v_cmp_ne_u64_e32 vcc, 0, v[36:37]
                                        ; implicit-def: $vgpr24
	s_and_saveexec_b64 s[88:89], vcc
	s_xor_b64 s[88:89], exec, s[88:89]
; %bb.1422:                             ;   in Loop: Header=BB2_1226 Depth=2
	v_or_b32_sdwa v24, v25, s55 dst_sel:DWORD dst_unused:UNUSED_PAD src0_sel:BYTE_3 src1_sel:DWORD
                                        ; implicit-def: $vgpr25
; %bb.1423:                             ;   in Loop: Header=BB2_1226 Depth=2
	s_andn2_saveexec_b64 s[88:89], s[88:89]
; %bb.1424:                             ;   in Loop: Header=BB2_1226 Depth=2
	v_cmp_lt_i32_e32 vcc, -1, v25
	v_cndmask_b32_e32 v24, -4, v19, vcc
; %bb.1425:                             ;   in Loop: Header=BB2_1226 Depth=2
	s_or_b64 exec, exec, s[88:89]
.LBB2_1426:                             ;   in Loop: Header=BB2_1226 Depth=2
	s_or_b64 exec, exec, s[20:21]
	v_cmp_ne_u16_e32 vcc, 0, v54
	v_mov_b32_e32 v17, 0
	v_mov_b32_e32 v25, 0
	s_and_saveexec_b64 s[20:21], vcc
	s_cbranch_execz .LBB2_1434
; %bb.1427:                             ;   in Loop: Header=BB2_1226 Depth=2
	v_cmp_ne_u16_e32 vcc, s52, v54
	v_bfrev_b32_e32 v25, 1
	s_and_saveexec_b64 s[88:89], vcc
	s_cbranch_execz .LBB2_1433
; %bb.1428:                             ;   in Loop: Header=BB2_1226 Depth=2
	v_and_b32_e32 v25, 0x7c, v54
	v_and_b32_e32 v3, 3, v54
	v_cmp_ne_u32_e32 vcc, s53, v25
                                        ; implicit-def: $vgpr25
	s_and_saveexec_b64 s[90:91], vcc
	s_xor_b64 s[90:91], exec, s[90:91]
	s_cbranch_execz .LBB2_1430
; %bb.1429:                             ;   in Loop: Header=BB2_1226 Depth=2
	v_ffbh_u32_e32 v34, v3
	v_min_u32_e32 v36, 32, v34
	v_mov_b32_e32 v55, v37
	v_subrev_u32_e32 v34, 29, v36
	v_and_b32_e32 v25, 0xff, v54
	v_lshlrev_b64 v[34:35], v34, v[54:55]
	v_bfe_u32 v25, v25, 2, 5
	v_sub_u32_e32 v35, 30, v36
	v_and_b32_e32 v34, 3, v34
	v_cmp_eq_u32_e32 vcc, 0, v25
	v_cndmask_b32_e32 v25, v25, v35, vcc
	v_cndmask_b32_e32 v3, v3, v34, vcc
	v_and_b32_sdwa v34, sext(v54), s54 dst_sel:DWORD dst_unused:UNUSED_PAD src0_sel:WORD_0 src1_sel:DWORD
	v_lshl_add_u32 v25, v25, 23, v34
	v_lshl_or_b32 v3, v3, 21, v25
	v_add_u32_e32 v25, 0x38000000, v3
                                        ; implicit-def: $vgpr3
                                        ; implicit-def: $vgpr54
.LBB2_1430:                             ;   in Loop: Header=BB2_1226 Depth=2
	s_andn2_saveexec_b64 s[90:91], s[90:91]
; %bb.1431:                             ;   in Loop: Header=BB2_1226 Depth=2
	v_cmp_lt_i16_e32 vcc, -1, v54
	v_cndmask_b32_e32 v25, v21, v61, vcc
	v_cmp_eq_u32_e32 vcc, 0, v3
	v_cndmask_b32_e32 v25, v2, v25, vcc
; %bb.1432:                             ;   in Loop: Header=BB2_1226 Depth=2
	s_or_b64 exec, exec, s[90:91]
.LBB2_1433:                             ;   in Loop: Header=BB2_1226 Depth=2
	s_or_b64 exec, exec, s[88:89]
.LBB2_1434:                             ;   in Loop: Header=BB2_1226 Depth=2
	s_or_b64 exec, exec, s[20:21]
	v_cmp_ne_u16_e32 vcc, 0, v53
	s_and_saveexec_b64 s[20:21], vcc
	s_cbranch_execz .LBB2_1442
; %bb.1435:                             ;   in Loop: Header=BB2_1226 Depth=2
	v_cmp_ne_u16_e32 vcc, s52, v53
	v_bfrev_b32_e32 v17, 1
	s_and_saveexec_b64 s[88:89], vcc
	s_cbranch_execz .LBB2_1441
; %bb.1436:                             ;   in Loop: Header=BB2_1226 Depth=2
	v_and_b32_e32 v17, 0x7c, v53
	v_and_b32_e32 v3, 3, v53
	v_cmp_ne_u32_e32 vcc, s53, v17
                                        ; implicit-def: $vgpr17
	s_and_saveexec_b64 s[90:91], vcc
	s_xor_b64 s[90:91], exec, s[90:91]
	s_cbranch_execz .LBB2_1438
; %bb.1437:                             ;   in Loop: Header=BB2_1226 Depth=2
	v_ffbh_u32_e32 v34, v3
	v_min_u32_e32 v36, 32, v34
	v_mov_b32_e32 v54, v37
	v_subrev_u32_e32 v34, 29, v36
	v_and_b32_e32 v17, 0xff, v53
	v_lshlrev_b64 v[34:35], v34, v[53:54]
	v_bfe_u32 v17, v17, 2, 5
	v_sub_u32_e32 v35, 30, v36
	v_and_b32_e32 v34, 3, v34
	v_cmp_eq_u32_e32 vcc, 0, v17
	v_cndmask_b32_e32 v17, v17, v35, vcc
	v_cndmask_b32_e32 v3, v3, v34, vcc
	v_and_b32_sdwa v34, sext(v53), s54 dst_sel:DWORD dst_unused:UNUSED_PAD src0_sel:WORD_0 src1_sel:DWORD
	v_lshl_add_u32 v17, v17, 23, v34
	v_lshl_or_b32 v3, v3, 21, v17
	v_add_u32_e32 v17, 0x38000000, v3
                                        ; implicit-def: $vgpr3
                                        ; implicit-def: $vgpr53
.LBB2_1438:                             ;   in Loop: Header=BB2_1226 Depth=2
	s_andn2_saveexec_b64 s[90:91], s[90:91]
; %bb.1439:                             ;   in Loop: Header=BB2_1226 Depth=2
	v_cmp_lt_i16_e32 vcc, -1, v53
	v_cndmask_b32_e32 v17, v21, v61, vcc
	v_cmp_eq_u32_e32 vcc, 0, v3
	v_cndmask_b32_e32 v17, v2, v17, vcc
; %bb.1440:                             ;   in Loop: Header=BB2_1226 Depth=2
	s_or_b64 exec, exec, s[90:91]
.LBB2_1441:                             ;   in Loop: Header=BB2_1226 Depth=2
	s_or_b64 exec, exec, s[88:89]
.LBB2_1442:                             ;   in Loop: Header=BB2_1226 Depth=2
	s_or_b64 exec, exec, s[20:21]
	v_mul_f32_e32 v53, v25, v17
	v_and_b32_e32 v34, 0x7f800000, v53
	v_mov_b32_e32 v35, v37
	v_cmp_ne_u64_e32 vcc, s[60:61], v[34:35]
	v_and_b32_e32 v36, 0x7fffff, v53
                                        ; implicit-def: $vgpr25
	s_and_saveexec_b64 s[20:21], vcc
	s_xor_b64 s[88:89], exec, s[20:21]
	s_cbranch_execz .LBB2_1460
; %bb.1443:                             ;   in Loop: Header=BB2_1226 Depth=2
	v_and_b32_e32 v34, 0x7fffffff, v53
	v_mov_b32_e32 v35, v37
	v_cmp_gt_u64_e32 vcc, s[62:63], v[34:35]
	v_and_b32_sdwa v17, v53, s64 dst_sel:DWORD dst_unused:UNUSED_PAD src0_sel:BYTE_3 src1_sel:DWORD
                                        ; implicit-def: $vgpr25
	s_and_saveexec_b64 s[20:21], vcc
	s_xor_b64 s[90:91], exec, s[20:21]
	s_cbranch_execz .LBB2_1457
; %bb.1444:                             ;   in Loop: Header=BB2_1226 Depth=2
	v_cmp_ne_u32_e32 vcc, 0, v53
	v_mov_b32_e32 v25, 0
	s_and_saveexec_b64 s[92:93], vcc
	s_cbranch_execz .LBB2_1456
; %bb.1445:                             ;   in Loop: Header=BB2_1226 Depth=2
	v_bfe_u32 v3, v53, 23, 8
	v_cmp_gt_u32_e64 s[20:21], s65, v3
	v_sub_u32_e32 v25, 0x71, v3
	v_cmp_eq_u32_e32 vcc, 0, v3
	v_cndmask_b32_e64 v25, 0, v25, s[20:21]
	v_mov_b32_e32 v35, 0x70
	v_or_b32_e32 v34, 0x800000, v36
	v_cndmask_b32_e32 v25, v25, v35, vcc
	v_cndmask_b32_e32 v36, v34, v36, vcc
	v_add_u32_e32 v34, 21, v25
	v_lshlrev_b64 v[34:35], v34, -1
	v_add_u32_e32 v53, 20, v25
	v_lshlrev_b64 v[53:54], v53, 1
	v_bfi_b32 v35, v35, 0, 0
	v_bfi_b32 v34, v34, 0, v36
	v_cmp_eq_u64_e64 s[20:21], v[34:35], v[53:54]
	v_lshrrev_b64 v[53:54], v25, v[36:37]
	v_mov_b32_e32 v55, v54
	v_mov_b32_e32 v54, v53
	s_and_saveexec_b64 s[94:95], s[20:21]
; %bb.1446:                             ;   in Loop: Header=BB2_1226 Depth=2
	v_bfe_u32 v34, v53, 21, 1
	v_add_co_u32_e64 v34, s[20:21], v53, v34
	v_add_co_u32_e64 v54, s[20:21], -1, v34
; %bb.1447:                             ;   in Loop: Header=BB2_1226 Depth=2
	s_or_b64 exec, exec, s[94:95]
	v_add_u32_e32 v3, 0xffffff81, v3
	v_mov_b32_e32 v34, 0xffffff82
	v_cndmask_b32_e32 v3, v3, v34, vcc
	v_lshrrev_b32_e32 v34, 23, v53
	v_add3_u32 v34, v25, v3, v34
	v_add_u32_e32 v25, 14, v34
	v_and_b32_e32 v3, 0x1fffff, v54
	v_add_u32_e32 v36, v3, v53
	v_cmp_ne_u32_e32 vcc, 0, v25
                                        ; implicit-def: $vgpr53_vgpr54
                                        ; implicit-def: $vgpr3
	s_and_saveexec_b64 s[20:21], vcc
	s_xor_b64 s[20:21], exec, s[20:21]
; %bb.1448:                             ;   in Loop: Header=BB2_1226 Depth=2
	v_cmp_lt_u64_e32 vcc, s[72:73], v[36:37]
	v_add_u32_e32 v3, 15, v34
	v_cndmask_b32_e32 v3, v25, v3, vcc
	v_cndmask_b32_e64 v25, 0, 1, vcc
	v_lshrrev_b64 v[53:54], v25, v[36:37]
; %bb.1449:                             ;   in Loop: Header=BB2_1226 Depth=2
	s_andn2_saveexec_b64 s[20:21], s[20:21]
; %bb.1450:                             ;   in Loop: Header=BB2_1226 Depth=2
	v_mov_b32_e32 v54, v37
	v_bfe_u32 v3, v36, 23, 1
	v_mov_b32_e32 v53, v36
; %bb.1451:                             ;   in Loop: Header=BB2_1226 Depth=2
	s_or_b64 exec, exec, s[20:21]
	v_lshrrev_b64 v[34:35], 21, v[53:54]
	v_cmp_gt_i32_e32 vcc, 32, v3
	v_cndmask_b32_e32 v54, 0, v35, vcc
	v_cndmask_b32_e32 v53, 3, v34, vcc
	v_cmp_ne_u64_e32 vcc, 0, v[53:54]
	v_cmp_ne_u32_e64 s[20:21], 0, v3
	s_or_b64 s[20:21], s[20:21], vcc
                                        ; implicit-def: $vgpr25
	s_and_saveexec_b64 s[94:95], s[20:21]
	s_xor_b64 s[20:21], exec, s[94:95]
; %bb.1452:                             ;   in Loop: Header=BB2_1226 Depth=2
	v_min_i32_e32 v3, 31, v3
	v_lshl_or_b32 v3, v3, 2, v17
	v_and_or_b32 v25, v53, 3, v3
                                        ; implicit-def: $vgpr17
; %bb.1453:                             ;   in Loop: Header=BB2_1226 Depth=2
	s_andn2_saveexec_b64 s[20:21], s[20:21]
; %bb.1454:                             ;   in Loop: Header=BB2_1226 Depth=2
	v_mov_b32_e32 v25, v17
; %bb.1455:                             ;   in Loop: Header=BB2_1226 Depth=2
	s_or_b64 exec, exec, s[20:21]
.LBB2_1456:                             ;   in Loop: Header=BB2_1226 Depth=2
	s_or_b64 exec, exec, s[92:93]
                                        ; implicit-def: $vgpr17
.LBB2_1457:                             ;   in Loop: Header=BB2_1226 Depth=2
	s_andn2_saveexec_b64 s[20:21], s[90:91]
; %bb.1458:                             ;   in Loop: Header=BB2_1226 Depth=2
	v_or_b32_e32 v25, 0x7b, v17
; %bb.1459:                             ;   in Loop: Header=BB2_1226 Depth=2
	s_or_b64 exec, exec, s[20:21]
                                        ; implicit-def: $vgpr53
.LBB2_1460:                             ;   in Loop: Header=BB2_1226 Depth=2
	s_andn2_saveexec_b64 s[20:21], s[88:89]
	s_cbranch_execz .LBB2_1466
; %bb.1461:                             ;   in Loop: Header=BB2_1226 Depth=2
	v_cmp_ne_u64_e32 vcc, 0, v[36:37]
                                        ; implicit-def: $vgpr25
	s_and_saveexec_b64 s[88:89], vcc
	s_xor_b64 s[88:89], exec, s[88:89]
; %bb.1462:                             ;   in Loop: Header=BB2_1226 Depth=2
	v_or_b32_sdwa v25, v53, s55 dst_sel:DWORD dst_unused:UNUSED_PAD src0_sel:BYTE_3 src1_sel:DWORD
                                        ; implicit-def: $vgpr53
; %bb.1463:                             ;   in Loop: Header=BB2_1226 Depth=2
	s_andn2_saveexec_b64 s[88:89], s[88:89]
; %bb.1464:                             ;   in Loop: Header=BB2_1226 Depth=2
	v_cmp_lt_i32_e32 vcc, -1, v53
	v_cndmask_b32_e32 v25, -4, v19, vcc
; %bb.1465:                             ;   in Loop: Header=BB2_1226 Depth=2
	s_or_b64 exec, exec, s[88:89]
.LBB2_1466:                             ;   in Loop: Header=BB2_1226 Depth=2
	s_or_b64 exec, exec, s[20:21]
	v_cmp_ne_u16_e32 vcc, 0, v52
	v_mov_b32_e32 v17, 0
	v_mov_b32_e32 v36, 0
	s_and_saveexec_b64 s[20:21], vcc
	s_cbranch_execz .LBB2_1474
; %bb.1467:                             ;   in Loop: Header=BB2_1226 Depth=2
	v_cmp_ne_u16_e32 vcc, s52, v52
	v_bfrev_b32_e32 v36, 1
	s_and_saveexec_b64 s[88:89], vcc
	s_cbranch_execz .LBB2_1473
; %bb.1468:                             ;   in Loop: Header=BB2_1226 Depth=2
	v_and_b32_e32 v34, 0x7c, v52
	v_and_b32_e32 v3, 3, v52
	v_cmp_ne_u32_e32 vcc, s53, v34
                                        ; implicit-def: $vgpr36
	s_and_saveexec_b64 s[90:91], vcc
	s_xor_b64 s[90:91], exec, s[90:91]
	s_cbranch_execz .LBB2_1470
; %bb.1469:                             ;   in Loop: Header=BB2_1226 Depth=2
	v_and_b32_e32 v34, 0xff, v52
	v_bfe_u32 v36, v34, 2, 5
	v_ffbh_u32_e32 v34, v3
	v_min_u32_e32 v54, 32, v34
	v_mov_b32_e32 v53, v37
	v_subrev_u32_e32 v34, 29, v54
	v_lshlrev_b64 v[34:35], v34, v[52:53]
	v_sub_u32_e32 v35, 30, v54
	v_and_b32_e32 v34, 3, v34
	v_cmp_eq_u32_e32 vcc, 0, v36
	v_cndmask_b32_e32 v35, v36, v35, vcc
	v_cndmask_b32_e32 v3, v3, v34, vcc
	v_and_b32_sdwa v34, sext(v52), s54 dst_sel:DWORD dst_unused:UNUSED_PAD src0_sel:WORD_0 src1_sel:DWORD
	v_lshl_add_u32 v34, v35, 23, v34
	v_lshl_or_b32 v3, v3, 21, v34
	v_add_u32_e32 v36, 0x38000000, v3
                                        ; implicit-def: $vgpr3
                                        ; implicit-def: $vgpr52
.LBB2_1470:                             ;   in Loop: Header=BB2_1226 Depth=2
	s_andn2_saveexec_b64 s[90:91], s[90:91]
; %bb.1471:                             ;   in Loop: Header=BB2_1226 Depth=2
	v_cmp_lt_i16_e32 vcc, -1, v52
	v_cndmask_b32_e32 v34, v21, v61, vcc
	v_cmp_eq_u32_e32 vcc, 0, v3
	v_cndmask_b32_e32 v36, v2, v34, vcc
; %bb.1472:                             ;   in Loop: Header=BB2_1226 Depth=2
	s_or_b64 exec, exec, s[90:91]
.LBB2_1473:                             ;   in Loop: Header=BB2_1226 Depth=2
	s_or_b64 exec, exec, s[88:89]
.LBB2_1474:                             ;   in Loop: Header=BB2_1226 Depth=2
	s_or_b64 exec, exec, s[20:21]
	v_cmp_ne_u16_e32 vcc, 0, v51
	s_and_saveexec_b64 s[20:21], vcc
	s_cbranch_execz .LBB2_1482
; %bb.1475:                             ;   in Loop: Header=BB2_1226 Depth=2
	v_cmp_ne_u16_e32 vcc, s52, v51
	v_bfrev_b32_e32 v17, 1
	s_and_saveexec_b64 s[88:89], vcc
	s_cbranch_execz .LBB2_1481
; %bb.1476:                             ;   in Loop: Header=BB2_1226 Depth=2
	v_and_b32_e32 v17, 0x7c, v51
	v_and_b32_e32 v3, 3, v51
	v_cmp_ne_u32_e32 vcc, s53, v17
                                        ; implicit-def: $vgpr17
	s_and_saveexec_b64 s[90:91], vcc
	s_xor_b64 s[90:91], exec, s[90:91]
	s_cbranch_execz .LBB2_1478
; %bb.1477:                             ;   in Loop: Header=BB2_1226 Depth=2
	v_ffbh_u32_e32 v34, v3
	v_min_u32_e32 v53, 32, v34
	v_mov_b32_e32 v52, v37
	v_subrev_u32_e32 v34, 29, v53
	v_and_b32_e32 v17, 0xff, v51
	v_lshlrev_b64 v[34:35], v34, v[51:52]
	v_bfe_u32 v17, v17, 2, 5
	v_sub_u32_e32 v35, 30, v53
	v_and_b32_e32 v34, 3, v34
	v_cmp_eq_u32_e32 vcc, 0, v17
	v_cndmask_b32_e32 v17, v17, v35, vcc
	v_cndmask_b32_e32 v3, v3, v34, vcc
	v_and_b32_sdwa v34, sext(v51), s54 dst_sel:DWORD dst_unused:UNUSED_PAD src0_sel:WORD_0 src1_sel:DWORD
	v_lshl_add_u32 v17, v17, 23, v34
	v_lshl_or_b32 v3, v3, 21, v17
	v_add_u32_e32 v17, 0x38000000, v3
                                        ; implicit-def: $vgpr3
                                        ; implicit-def: $vgpr51
.LBB2_1478:                             ;   in Loop: Header=BB2_1226 Depth=2
	s_andn2_saveexec_b64 s[90:91], s[90:91]
; %bb.1479:                             ;   in Loop: Header=BB2_1226 Depth=2
	v_cmp_lt_i16_e32 vcc, -1, v51
	v_cndmask_b32_e32 v17, v21, v61, vcc
	v_cmp_eq_u32_e32 vcc, 0, v3
	v_cndmask_b32_e32 v17, v2, v17, vcc
; %bb.1480:                             ;   in Loop: Header=BB2_1226 Depth=2
	s_or_b64 exec, exec, s[90:91]
.LBB2_1481:                             ;   in Loop: Header=BB2_1226 Depth=2
	s_or_b64 exec, exec, s[88:89]
.LBB2_1482:                             ;   in Loop: Header=BB2_1226 Depth=2
	s_or_b64 exec, exec, s[20:21]
	v_mul_f32_e32 v51, v36, v17
	v_and_b32_e32 v34, 0x7f800000, v51
	v_mov_b32_e32 v35, v37
	v_cmp_ne_u64_e32 vcc, s[60:61], v[34:35]
	v_and_b32_e32 v36, 0x7fffff, v51
                                        ; implicit-def: $vgpr52
	s_and_saveexec_b64 s[20:21], vcc
	s_xor_b64 s[88:89], exec, s[20:21]
	s_cbranch_execz .LBB2_1500
; %bb.1483:                             ;   in Loop: Header=BB2_1226 Depth=2
	v_and_b32_e32 v34, 0x7fffffff, v51
	v_mov_b32_e32 v35, v37
	v_cmp_gt_u64_e32 vcc, s[62:63], v[34:35]
	v_and_b32_sdwa v17, v51, s64 dst_sel:DWORD dst_unused:UNUSED_PAD src0_sel:BYTE_3 src1_sel:DWORD
                                        ; implicit-def: $vgpr52
	s_and_saveexec_b64 s[20:21], vcc
	s_xor_b64 s[90:91], exec, s[20:21]
	s_cbranch_execz .LBB2_1497
; %bb.1484:                             ;   in Loop: Header=BB2_1226 Depth=2
	v_cmp_ne_u32_e32 vcc, 0, v51
	v_mov_b32_e32 v52, 0
	s_and_saveexec_b64 s[92:93], vcc
	s_cbranch_execz .LBB2_1496
; %bb.1485:                             ;   in Loop: Header=BB2_1226 Depth=2
	v_bfe_u32 v3, v51, 23, 8
	v_cmp_gt_u32_e64 s[20:21], s65, v3
	v_sub_u32_e32 v34, 0x71, v3
	v_cmp_eq_u32_e32 vcc, 0, v3
	v_cndmask_b32_e64 v34, 0, v34, s[20:21]
	v_mov_b32_e32 v51, 0x70
	v_or_b32_e32 v35, 0x800000, v36
	v_cndmask_b32_e32 v34, v34, v51, vcc
	v_cndmask_b32_e32 v36, v35, v36, vcc
	v_add_u32_e32 v35, 21, v34
	v_lshlrev_b64 v[51:52], v35, -1
	v_add_u32_e32 v35, 20, v34
	v_lshlrev_b64 v[53:54], v35, 1
	v_bfi_b32 v52, v52, 0, 0
	v_bfi_b32 v51, v51, 0, v36
	v_cmp_eq_u64_e64 s[20:21], v[51:52], v[53:54]
	v_lshrrev_b64 v[51:52], v34, v[36:37]
	v_mov_b32_e32 v53, v52
	v_mov_b32_e32 v52, v51
	s_and_saveexec_b64 s[94:95], s[20:21]
; %bb.1486:                             ;   in Loop: Header=BB2_1226 Depth=2
	v_bfe_u32 v35, v51, 21, 1
	v_add_co_u32_e64 v35, s[20:21], v51, v35
	v_add_co_u32_e64 v52, s[20:21], -1, v35
; %bb.1487:                             ;   in Loop: Header=BB2_1226 Depth=2
	s_or_b64 exec, exec, s[94:95]
	v_add_u32_e32 v3, 0xffffff81, v3
	v_mov_b32_e32 v35, 0xffffff82
	v_cndmask_b32_e32 v3, v3, v35, vcc
	v_lshrrev_b32_e32 v35, 23, v51
	v_add3_u32 v53, v34, v3, v35
	v_add_u32_e32 v34, 14, v53
	v_and_b32_e32 v3, 0x1fffff, v52
	v_add_u32_e32 v36, v3, v51
	v_cmp_ne_u32_e32 vcc, 0, v34
                                        ; implicit-def: $vgpr51_vgpr52
                                        ; implicit-def: $vgpr3
	s_and_saveexec_b64 s[20:21], vcc
	s_xor_b64 s[20:21], exec, s[20:21]
; %bb.1488:                             ;   in Loop: Header=BB2_1226 Depth=2
	v_cmp_lt_u64_e32 vcc, s[72:73], v[36:37]
	v_add_u32_e32 v3, 15, v53
	v_cndmask_b32_e32 v3, v34, v3, vcc
	v_cndmask_b32_e64 v34, 0, 1, vcc
	v_lshrrev_b64 v[51:52], v34, v[36:37]
; %bb.1489:                             ;   in Loop: Header=BB2_1226 Depth=2
	s_andn2_saveexec_b64 s[20:21], s[20:21]
; %bb.1490:                             ;   in Loop: Header=BB2_1226 Depth=2
	v_mov_b32_e32 v52, v37
	v_bfe_u32 v3, v36, 23, 1
	v_mov_b32_e32 v51, v36
; %bb.1491:                             ;   in Loop: Header=BB2_1226 Depth=2
	s_or_b64 exec, exec, s[20:21]
	v_lshrrev_b64 v[34:35], 21, v[51:52]
	v_cmp_gt_i32_e32 vcc, 32, v3
	v_cndmask_b32_e32 v52, 0, v35, vcc
	v_cndmask_b32_e32 v51, 3, v34, vcc
	v_cmp_ne_u64_e32 vcc, 0, v[51:52]
	v_cmp_ne_u32_e64 s[20:21], 0, v3
	s_or_b64 s[20:21], s[20:21], vcc
                                        ; implicit-def: $vgpr52
	s_and_saveexec_b64 s[94:95], s[20:21]
	s_xor_b64 s[20:21], exec, s[94:95]
; %bb.1492:                             ;   in Loop: Header=BB2_1226 Depth=2
	v_min_i32_e32 v3, 31, v3
	v_lshl_or_b32 v3, v3, 2, v17
	v_and_or_b32 v52, v51, 3, v3
                                        ; implicit-def: $vgpr17
; %bb.1493:                             ;   in Loop: Header=BB2_1226 Depth=2
	s_andn2_saveexec_b64 s[20:21], s[20:21]
; %bb.1494:                             ;   in Loop: Header=BB2_1226 Depth=2
	v_mov_b32_e32 v52, v17
; %bb.1495:                             ;   in Loop: Header=BB2_1226 Depth=2
	s_or_b64 exec, exec, s[20:21]
.LBB2_1496:                             ;   in Loop: Header=BB2_1226 Depth=2
	s_or_b64 exec, exec, s[92:93]
                                        ; implicit-def: $vgpr17
.LBB2_1497:                             ;   in Loop: Header=BB2_1226 Depth=2
	s_andn2_saveexec_b64 s[20:21], s[90:91]
; %bb.1498:                             ;   in Loop: Header=BB2_1226 Depth=2
	v_or_b32_e32 v52, 0x7b, v17
; %bb.1499:                             ;   in Loop: Header=BB2_1226 Depth=2
	s_or_b64 exec, exec, s[20:21]
                                        ; implicit-def: $vgpr51
.LBB2_1500:                             ;   in Loop: Header=BB2_1226 Depth=2
	s_andn2_saveexec_b64 s[20:21], s[88:89]
	s_cbranch_execz .LBB2_1506
; %bb.1501:                             ;   in Loop: Header=BB2_1226 Depth=2
	v_cmp_ne_u64_e32 vcc, 0, v[36:37]
                                        ; implicit-def: $vgpr52
	s_and_saveexec_b64 s[88:89], vcc
	s_xor_b64 s[88:89], exec, s[88:89]
; %bb.1502:                             ;   in Loop: Header=BB2_1226 Depth=2
	v_or_b32_sdwa v52, v51, s55 dst_sel:DWORD dst_unused:UNUSED_PAD src0_sel:BYTE_3 src1_sel:DWORD
                                        ; implicit-def: $vgpr51
; %bb.1503:                             ;   in Loop: Header=BB2_1226 Depth=2
	s_andn2_saveexec_b64 s[88:89], s[88:89]
; %bb.1504:                             ;   in Loop: Header=BB2_1226 Depth=2
	v_cmp_lt_i32_e32 vcc, -1, v51
	v_cndmask_b32_e32 v52, -4, v19, vcc
; %bb.1505:                             ;   in Loop: Header=BB2_1226 Depth=2
	s_or_b64 exec, exec, s[88:89]
.LBB2_1506:                             ;   in Loop: Header=BB2_1226 Depth=2
	s_or_b64 exec, exec, s[20:21]
	v_cmp_ne_u16_e32 vcc, 0, v50
	v_mov_b32_e32 v17, 0
	v_mov_b32_e32 v36, 0
	s_and_saveexec_b64 s[20:21], vcc
	s_cbranch_execz .LBB2_1514
; %bb.1507:                             ;   in Loop: Header=BB2_1226 Depth=2
	v_cmp_ne_u16_e32 vcc, s52, v50
	v_bfrev_b32_e32 v36, 1
	s_and_saveexec_b64 s[88:89], vcc
	s_cbranch_execz .LBB2_1513
; %bb.1508:                             ;   in Loop: Header=BB2_1226 Depth=2
	v_and_b32_e32 v34, 0x7c, v50
	v_and_b32_e32 v3, 3, v50
	v_cmp_ne_u32_e32 vcc, s53, v34
                                        ; implicit-def: $vgpr36
	s_and_saveexec_b64 s[90:91], vcc
	s_xor_b64 s[90:91], exec, s[90:91]
	s_cbranch_execz .LBB2_1510
; %bb.1509:                             ;   in Loop: Header=BB2_1226 Depth=2
	v_and_b32_e32 v34, 0xff, v50
	v_bfe_u32 v36, v34, 2, 5
	v_ffbh_u32_e32 v34, v3
	v_min_u32_e32 v53, 32, v34
	v_mov_b32_e32 v51, v37
	v_subrev_u32_e32 v34, 29, v53
	v_lshlrev_b64 v[34:35], v34, v[50:51]
	v_sub_u32_e32 v35, 30, v53
	v_and_b32_e32 v34, 3, v34
	v_cmp_eq_u32_e32 vcc, 0, v36
	v_cndmask_b32_e32 v35, v36, v35, vcc
	v_cndmask_b32_e32 v3, v3, v34, vcc
	v_and_b32_sdwa v34, sext(v50), s54 dst_sel:DWORD dst_unused:UNUSED_PAD src0_sel:WORD_0 src1_sel:DWORD
	v_lshl_add_u32 v34, v35, 23, v34
	v_lshl_or_b32 v3, v3, 21, v34
	v_add_u32_e32 v36, 0x38000000, v3
                                        ; implicit-def: $vgpr3
                                        ; implicit-def: $vgpr50
.LBB2_1510:                             ;   in Loop: Header=BB2_1226 Depth=2
	s_andn2_saveexec_b64 s[90:91], s[90:91]
; %bb.1511:                             ;   in Loop: Header=BB2_1226 Depth=2
	v_cmp_lt_i16_e32 vcc, -1, v50
	v_cndmask_b32_e32 v34, v21, v61, vcc
	v_cmp_eq_u32_e32 vcc, 0, v3
	v_cndmask_b32_e32 v36, v2, v34, vcc
; %bb.1512:                             ;   in Loop: Header=BB2_1226 Depth=2
	s_or_b64 exec, exec, s[90:91]
.LBB2_1513:                             ;   in Loop: Header=BB2_1226 Depth=2
	s_or_b64 exec, exec, s[88:89]
.LBB2_1514:                             ;   in Loop: Header=BB2_1226 Depth=2
	s_or_b64 exec, exec, s[20:21]
	v_cmp_ne_u16_e32 vcc, 0, v16
	s_and_saveexec_b64 s[20:21], vcc
	s_cbranch_execz .LBB2_1522
; %bb.1515:                             ;   in Loop: Header=BB2_1226 Depth=2
	v_cmp_ne_u16_e32 vcc, s52, v16
	v_bfrev_b32_e32 v17, 1
	s_and_saveexec_b64 s[88:89], vcc
	s_cbranch_execz .LBB2_1521
; %bb.1516:                             ;   in Loop: Header=BB2_1226 Depth=2
	v_and_b32_e32 v17, 0x7c, v16
	v_and_b32_e32 v3, 3, v16
	v_cmp_ne_u32_e32 vcc, s53, v17
                                        ; implicit-def: $vgpr17
	s_and_saveexec_b64 s[90:91], vcc
	s_xor_b64 s[90:91], exec, s[90:91]
	s_cbranch_execz .LBB2_1518
; %bb.1517:                             ;   in Loop: Header=BB2_1226 Depth=2
	v_and_b32_e32 v34, 0xff, v16
	v_bfe_u32 v50, v34, 2, 5
	v_ffbh_u32_e32 v34, v3
	v_min_u32_e32 v51, 32, v34
	v_mov_b32_e32 v17, v37
	v_subrev_u32_e32 v34, 29, v51
	v_lshlrev_b64 v[34:35], v34, v[16:17]
	v_sub_u32_e32 v17, 30, v51
	v_cmp_eq_u32_e32 vcc, 0, v50
	v_and_b32_e32 v34, 3, v34
	v_cndmask_b32_e32 v17, v50, v17, vcc
	v_and_b32_sdwa v16, sext(v16), s54 dst_sel:DWORD dst_unused:UNUSED_PAD src0_sel:WORD_0 src1_sel:DWORD
	v_cndmask_b32_e32 v3, v3, v34, vcc
	v_lshl_add_u32 v16, v17, 23, v16
	v_lshl_or_b32 v3, v3, 21, v16
	v_add_u32_e32 v17, 0x38000000, v3
                                        ; implicit-def: $vgpr3
                                        ; implicit-def: $vgpr16
.LBB2_1518:                             ;   in Loop: Header=BB2_1226 Depth=2
	s_andn2_saveexec_b64 s[90:91], s[90:91]
; %bb.1519:                             ;   in Loop: Header=BB2_1226 Depth=2
	v_cmp_lt_i16_e32 vcc, -1, v16
	v_cndmask_b32_e32 v16, v21, v61, vcc
	v_cmp_eq_u32_e32 vcc, 0, v3
	v_cndmask_b32_e32 v17, v2, v16, vcc
; %bb.1520:                             ;   in Loop: Header=BB2_1226 Depth=2
	s_or_b64 exec, exec, s[90:91]
.LBB2_1521:                             ;   in Loop: Header=BB2_1226 Depth=2
	s_or_b64 exec, exec, s[88:89]
.LBB2_1522:                             ;   in Loop: Header=BB2_1226 Depth=2
	s_or_b64 exec, exec, s[20:21]
	v_mul_f32_e32 v16, v36, v17
	v_and_b32_e32 v34, 0x7f800000, v16
	v_mov_b32_e32 v35, v37
	v_cmp_ne_u64_e32 vcc, s[60:61], v[34:35]
	v_and_b32_e32 v36, 0x7fffff, v16
                                        ; implicit-def: $vgpr17
	s_and_saveexec_b64 s[20:21], vcc
	s_xor_b64 s[88:89], exec, s[20:21]
	s_cbranch_execz .LBB2_1540
; %bb.1523:                             ;   in Loop: Header=BB2_1226 Depth=2
	v_and_b32_e32 v34, 0x7fffffff, v16
	v_mov_b32_e32 v35, v37
	v_cmp_gt_u64_e32 vcc, s[62:63], v[34:35]
	v_and_b32_sdwa v53, v16, s64 dst_sel:DWORD dst_unused:UNUSED_PAD src0_sel:BYTE_3 src1_sel:DWORD
                                        ; implicit-def: $vgpr17
	s_and_saveexec_b64 s[20:21], vcc
	s_xor_b64 s[90:91], exec, s[20:21]
	s_cbranch_execz .LBB2_1537
; %bb.1524:                             ;   in Loop: Header=BB2_1226 Depth=2
	v_cmp_ne_u32_e32 vcc, 0, v16
	v_mov_b32_e32 v17, 0
	s_and_saveexec_b64 s[92:93], vcc
	s_cbranch_execz .LBB2_1536
; %bb.1525:                             ;   in Loop: Header=BB2_1226 Depth=2
	v_bfe_u32 v3, v16, 23, 8
	v_cmp_gt_u32_e64 s[20:21], s65, v3
	v_sub_u32_e32 v16, 0x71, v3
	v_cmp_eq_u32_e32 vcc, 0, v3
	v_cndmask_b32_e64 v16, 0, v16, s[20:21]
	v_mov_b32_e32 v34, 0x70
	v_cndmask_b32_e32 v34, v16, v34, vcc
	v_or_b32_e32 v17, 0x800000, v36
	v_add_u32_e32 v16, 21, v34
	v_cndmask_b32_e32 v36, v17, v36, vcc
	v_lshlrev_b64 v[16:17], v16, -1
	v_add_u32_e32 v35, 20, v34
	v_lshlrev_b64 v[50:51], v35, 1
	v_bfi_b32 v17, v17, 0, 0
	v_bfi_b32 v16, v16, 0, v36
	v_cmp_eq_u64_e64 s[20:21], v[16:17], v[50:51]
	v_lshrrev_b64 v[16:17], v34, v[36:37]
	v_mov_b32_e32 v51, v17
	v_mov_b32_e32 v50, v16
	s_and_saveexec_b64 s[94:95], s[20:21]
; %bb.1526:                             ;   in Loop: Header=BB2_1226 Depth=2
	v_bfe_u32 v17, v16, 21, 1
	v_add_co_u32_e64 v17, s[20:21], v16, v17
	v_add_co_u32_e64 v50, s[20:21], -1, v17
; %bb.1527:                             ;   in Loop: Header=BB2_1226 Depth=2
	s_or_b64 exec, exec, s[94:95]
	v_add_u32_e32 v3, 0xffffff81, v3
	v_mov_b32_e32 v17, 0xffffff82
	v_cndmask_b32_e32 v3, v3, v17, vcc
	v_lshrrev_b32_e32 v17, 23, v16
	v_add3_u32 v51, v34, v3, v17
	v_add_u32_e32 v34, 14, v51
	v_and_b32_e32 v3, 0x1fffff, v50
	v_add_u32_e32 v36, v3, v16
	v_cmp_ne_u32_e32 vcc, 0, v34
                                        ; implicit-def: $vgpr16_vgpr17
                                        ; implicit-def: $vgpr3
	s_and_saveexec_b64 s[20:21], vcc
	s_xor_b64 s[20:21], exec, s[20:21]
; %bb.1528:                             ;   in Loop: Header=BB2_1226 Depth=2
	v_cmp_lt_u64_e32 vcc, s[72:73], v[36:37]
	v_add_u32_e32 v3, 15, v51
	v_cndmask_b32_e64 v16, 0, 1, vcc
	v_lshrrev_b64 v[16:17], v16, v[36:37]
	v_cndmask_b32_e32 v3, v34, v3, vcc
; %bb.1529:                             ;   in Loop: Header=BB2_1226 Depth=2
	s_andn2_saveexec_b64 s[20:21], s[20:21]
; %bb.1530:                             ;   in Loop: Header=BB2_1226 Depth=2
	v_mov_b32_e32 v16, v36
	v_bfe_u32 v3, v36, 23, 1
	v_mov_b32_e32 v17, v37
; %bb.1531:                             ;   in Loop: Header=BB2_1226 Depth=2
	s_or_b64 exec, exec, s[20:21]
	v_lshrrev_b64 v[16:17], 21, v[16:17]
	v_cmp_gt_i32_e32 vcc, 32, v3
	v_cndmask_b32_e32 v17, 0, v17, vcc
	v_cndmask_b32_e32 v16, 3, v16, vcc
	v_cmp_ne_u64_e32 vcc, 0, v[16:17]
	v_cmp_ne_u32_e64 s[20:21], 0, v3
	s_or_b64 s[20:21], s[20:21], vcc
                                        ; implicit-def: $vgpr17
	s_and_saveexec_b64 s[94:95], s[20:21]
	s_xor_b64 s[20:21], exec, s[94:95]
; %bb.1532:                             ;   in Loop: Header=BB2_1226 Depth=2
	v_min_i32_e32 v3, 31, v3
	v_lshl_or_b32 v3, v3, 2, v53
	v_and_or_b32 v17, v16, 3, v3
                                        ; implicit-def: $vgpr53
; %bb.1533:                             ;   in Loop: Header=BB2_1226 Depth=2
	s_andn2_saveexec_b64 s[20:21], s[20:21]
; %bb.1534:                             ;   in Loop: Header=BB2_1226 Depth=2
	v_mov_b32_e32 v17, v53
; %bb.1535:                             ;   in Loop: Header=BB2_1226 Depth=2
	s_or_b64 exec, exec, s[20:21]
.LBB2_1536:                             ;   in Loop: Header=BB2_1226 Depth=2
	s_or_b64 exec, exec, s[92:93]
                                        ; implicit-def: $vgpr53
.LBB2_1537:                             ;   in Loop: Header=BB2_1226 Depth=2
	s_andn2_saveexec_b64 s[20:21], s[90:91]
; %bb.1538:                             ;   in Loop: Header=BB2_1226 Depth=2
	v_or_b32_e32 v17, 0x7b, v53
; %bb.1539:                             ;   in Loop: Header=BB2_1226 Depth=2
	s_or_b64 exec, exec, s[20:21]
                                        ; implicit-def: $vgpr16
.LBB2_1540:                             ;   in Loop: Header=BB2_1226 Depth=2
	s_andn2_saveexec_b64 s[20:21], s[88:89]
	s_cbranch_execz .LBB2_1225
; %bb.1541:                             ;   in Loop: Header=BB2_1226 Depth=2
	v_cmp_ne_u64_e32 vcc, 0, v[36:37]
                                        ; implicit-def: $vgpr17
	s_and_saveexec_b64 s[88:89], vcc
	s_xor_b64 s[88:89], exec, s[88:89]
; %bb.1542:                             ;   in Loop: Header=BB2_1226 Depth=2
	v_or_b32_sdwa v17, v16, s55 dst_sel:DWORD dst_unused:UNUSED_PAD src0_sel:BYTE_3 src1_sel:DWORD
                                        ; implicit-def: $vgpr16
; %bb.1543:                             ;   in Loop: Header=BB2_1226 Depth=2
	s_andn2_saveexec_b64 s[88:89], s[88:89]
	s_cbranch_execz .LBB2_1224
; %bb.1544:                             ;   in Loop: Header=BB2_1226 Depth=2
	v_cmp_lt_i32_e32 vcc, -1, v16
	v_cndmask_b32_e32 v17, -4, v19, vcc
	s_branch .LBB2_1224
.LBB2_1545:                             ;   in Loop: Header=BB2_49 Depth=1
	s_or_b64 exec, exec, s[78:79]
	buffer_load_dword v45, off, s[0:3], s33 offset:104 ; 4-byte Folded Reload
	buffer_load_dword v46, off, s[0:3], s33 offset:84 ; 4-byte Folded Reload
	;; [unrolled: 1-line block ×11, first 2 shown]
	v_mov_b32_e32 v43, 1
	v_mov_b32_e32 v44, 0xc8
	;; [unrolled: 1-line block ×3, first 2 shown]
.LBB2_1546:                             ;   in Loop: Header=BB2_49 Depth=1
	s_or_b64 exec, exec, s[24:25]
	v_and_b32_e32 v3, 0x7ffffe00, v62
	v_cmp_ne_u32_e32 vcc, v62, v3
	s_and_b64 exec, exec, vcc
	s_cbranch_execz .LBB2_1590
; %bb.1547:                             ;   in Loop: Header=BB2_49 Depth=1
	v_lshlrev_b32_e32 v10, 6, v30
	v_sub_u32_e32 v1, v1, v10
	v_lshlrev_b32_e32 v10, 6, v59
	v_sub_u32_e32 v10, v1, v10
	v_and_b32_e32 v1, 0x1ff, v62
	v_sub_u32_e32 v1, v1, v10
	v_cmp_lt_i32_e32 vcc, 0, v1
	s_and_b64 exec, exec, vcc
	s_cbranch_execz .LBB2_1590
; %bb.1548:                             ;   in Loop: Header=BB2_49 Depth=1
	s_waitcnt vmcnt(0)
	v_add3_u32 v3, v3, v13, v10
	s_trap 2
	ds_read_b128 v[10:13], v0
	ds_read_b64 v[14:15], v0
	v_ashrrev_i32_e32 v16, 31, v3
	s_mov_b64 s[24:25], 0
	s_waitcnt lgkmcnt(0)
	v_add_co_u32_e32 v10, vcc, v10, v3
	v_addc_co_u32_e32 v11, vcc, v11, v16, vcc
	v_add_co_u32_e32 v12, vcc, v12, v3
	v_addc_co_u32_e32 v13, vcc, v13, v16, vcc
	;; [unrolled: 2-line block ×3, first 2 shown]
	s_branch .LBB2_1551
.LBB2_1549:                             ;   in Loop: Header=BB2_1551 Depth=2
	s_or_b64 exec, exec, s[78:79]
.LBB2_1550:                             ;   in Loop: Header=BB2_1551 Depth=2
	s_or_b64 exec, exec, s[20:21]
	v_add_co_u32_e32 v10, vcc, v10, v42
	v_addc_co_u32_e32 v11, vcc, 0, v11, vcc
	v_add_co_u32_e32 v12, vcc, v12, v42
	v_addc_co_u32_e32 v13, vcc, 0, v13, vcc
	v_sub_u32_e32 v1, v1, v42
	v_cmp_gt_i32_e32 vcc, 1, v1
	flat_store_byte v[14:15], v17 glc slc
	s_or_b64 s[24:25], vcc, s[24:25]
	v_add_co_u32_e32 v14, vcc, v14, v42
	v_addc_co_u32_e32 v15, vcc, 0, v15, vcc
	s_andn2_b64 exec, exec, s[24:25]
	s_cbranch_execz .LBB2_1590
.LBB2_1551:                             ;   Parent Loop BB2_49 Depth=1
                                        ; =>  This Inner Loop Header: Depth=2
	flat_load_sbyte v36, v[10:11] glc slc
	flat_load_sbyte v16, v[12:13] glc slc
	v_mov_b32_e32 v17, 0
	v_mov_b32_e32 v24, 0
	s_waitcnt vmcnt(0) lgkmcnt(0)
	v_cmp_ne_u16_e32 vcc, 0, v36
	s_and_saveexec_b64 s[20:21], vcc
	s_cbranch_execz .LBB2_1559
; %bb.1552:                             ;   in Loop: Header=BB2_1551 Depth=2
	v_cmp_ne_u16_e32 vcc, s52, v36
	v_bfrev_b32_e32 v24, 1
	s_and_saveexec_b64 s[78:79], vcc
	s_cbranch_execz .LBB2_1558
; %bb.1553:                             ;   in Loop: Header=BB2_1551 Depth=2
	v_and_b32_e32 v24, 0x7c, v36
	v_and_b32_e32 v3, 3, v36
	v_cmp_ne_u32_e32 vcc, s53, v24
                                        ; implicit-def: $vgpr24
	s_and_saveexec_b64 s[88:89], vcc
	s_xor_b64 s[88:89], exec, s[88:89]
	s_cbranch_execz .LBB2_1555
; %bb.1554:                             ;   in Loop: Header=BB2_1551 Depth=2
	v_and_b32_e32 v24, 0xff, v36
	v_bfe_u32 v30, v24, 2, 5
	v_ffbh_u32_e32 v24, v3
	v_min_u32_e32 v34, 32, v24
	v_subrev_u32_e32 v24, 29, v34
	v_lshlrev_b64 v[24:25], v24, v[36:37]
	v_sub_u32_e32 v25, 30, v34
	v_and_b32_e32 v24, 3, v24
	v_cmp_eq_u32_e32 vcc, 0, v30
	v_cndmask_b32_e32 v25, v30, v25, vcc
	v_cndmask_b32_e32 v3, v3, v24, vcc
	v_and_b32_sdwa v24, sext(v36), s54 dst_sel:DWORD dst_unused:UNUSED_PAD src0_sel:WORD_0 src1_sel:DWORD
	v_lshl_add_u32 v24, v25, 23, v24
	v_lshl_or_b32 v3, v3, 21, v24
	v_add_u32_e32 v24, 0x38000000, v3
                                        ; implicit-def: $vgpr3
.LBB2_1555:                             ;   in Loop: Header=BB2_1551 Depth=2
	s_andn2_saveexec_b64 s[88:89], s[88:89]
; %bb.1556:                             ;   in Loop: Header=BB2_1551 Depth=2
	v_cmp_lt_i16_e32 vcc, -1, v36
	v_cndmask_b32_e32 v24, v21, v61, vcc
	v_cmp_eq_u32_e32 vcc, 0, v3
	v_cndmask_b32_e32 v24, v2, v24, vcc
; %bb.1557:                             ;   in Loop: Header=BB2_1551 Depth=2
	s_or_b64 exec, exec, s[88:89]
.LBB2_1558:                             ;   in Loop: Header=BB2_1551 Depth=2
	s_or_b64 exec, exec, s[78:79]
.LBB2_1559:                             ;   in Loop: Header=BB2_1551 Depth=2
	s_or_b64 exec, exec, s[20:21]
	v_cmp_ne_u16_e32 vcc, 0, v16
	s_and_saveexec_b64 s[20:21], vcc
	s_cbranch_execz .LBB2_1567
; %bb.1560:                             ;   in Loop: Header=BB2_1551 Depth=2
	v_cmp_ne_u16_e32 vcc, s52, v16
	v_bfrev_b32_e32 v17, 1
	s_and_saveexec_b64 s[78:79], vcc
	s_cbranch_execz .LBB2_1566
; %bb.1561:                             ;   in Loop: Header=BB2_1551 Depth=2
	v_and_b32_e32 v17, 0x7c, v16
	v_and_b32_e32 v3, 3, v16
	v_cmp_ne_u32_e32 vcc, s53, v17
                                        ; implicit-def: $vgpr17
	s_and_saveexec_b64 s[88:89], vcc
	s_xor_b64 s[88:89], exec, s[88:89]
	s_cbranch_execz .LBB2_1563
; %bb.1562:                             ;   in Loop: Header=BB2_1551 Depth=2
	v_ffbh_u32_e32 v34, v3
	v_and_b32_e32 v17, 0xff, v16
	v_min_u32_e32 v34, 32, v34
	v_bfe_u32 v25, v17, 2, 5
	v_mov_b32_e32 v17, v37
	v_subrev_u32_e32 v35, 29, v34
	v_and_b32_sdwa v30, sext(v16), s54 dst_sel:DWORD dst_unused:UNUSED_PAD src0_sel:WORD_0 src1_sel:DWORD
	v_lshlrev_b64 v[16:17], v35, v[16:17]
	v_sub_u32_e32 v17, 30, v34
	v_cmp_eq_u32_e32 vcc, 0, v25
	v_and_b32_e32 v16, 3, v16
	v_cndmask_b32_e32 v17, v25, v17, vcc
	v_cndmask_b32_e32 v3, v3, v16, vcc
	v_lshl_add_u32 v16, v17, 23, v30
	v_lshl_or_b32 v3, v3, 21, v16
	v_add_u32_e32 v17, 0x38000000, v3
                                        ; implicit-def: $vgpr16
                                        ; implicit-def: $vgpr3
.LBB2_1563:                             ;   in Loop: Header=BB2_1551 Depth=2
	s_andn2_saveexec_b64 s[88:89], s[88:89]
; %bb.1564:                             ;   in Loop: Header=BB2_1551 Depth=2
	v_cmp_lt_i16_e32 vcc, -1, v16
	v_cndmask_b32_e32 v16, v21, v61, vcc
	v_cmp_eq_u32_e32 vcc, 0, v3
	v_cndmask_b32_e32 v17, v2, v16, vcc
; %bb.1565:                             ;   in Loop: Header=BB2_1551 Depth=2
	s_or_b64 exec, exec, s[88:89]
.LBB2_1566:                             ;   in Loop: Header=BB2_1551 Depth=2
	s_or_b64 exec, exec, s[78:79]
.LBB2_1567:                             ;   in Loop: Header=BB2_1551 Depth=2
	s_or_b64 exec, exec, s[20:21]
	v_mul_f32_e32 v16, v24, v17
	v_and_b32_e32 v24, 0x7f800000, v16
	v_mov_b32_e32 v25, v37
	v_cmp_ne_u64_e32 vcc, s[60:61], v[24:25]
	v_and_b32_e32 v36, 0x7fffff, v16
                                        ; implicit-def: $vgpr17
	s_and_saveexec_b64 s[20:21], vcc
	s_xor_b64 s[78:79], exec, s[20:21]
	s_cbranch_execz .LBB2_1585
; %bb.1568:                             ;   in Loop: Header=BB2_1551 Depth=2
	v_and_b32_e32 v24, 0x7fffffff, v16
	v_mov_b32_e32 v25, v37
	v_cmp_gt_u64_e32 vcc, s[62:63], v[24:25]
	v_and_b32_sdwa v24, v16, s64 dst_sel:DWORD dst_unused:UNUSED_PAD src0_sel:BYTE_3 src1_sel:DWORD
                                        ; implicit-def: $vgpr17
	s_and_saveexec_b64 s[20:21], vcc
	s_xor_b64 s[88:89], exec, s[20:21]
	s_cbranch_execz .LBB2_1582
; %bb.1569:                             ;   in Loop: Header=BB2_1551 Depth=2
	v_cmp_ne_u32_e32 vcc, 0, v16
	v_mov_b32_e32 v17, 0
	s_and_saveexec_b64 s[90:91], vcc
	s_cbranch_execz .LBB2_1581
; %bb.1570:                             ;   in Loop: Header=BB2_1551 Depth=2
	v_bfe_u32 v3, v16, 23, 8
	v_cmp_gt_u32_e64 s[20:21], s65, v3
	v_sub_u32_e32 v16, 0x71, v3
	v_cmp_eq_u32_e32 vcc, 0, v3
	v_cndmask_b32_e64 v16, 0, v16, s[20:21]
	v_mov_b32_e32 v25, 0x70
	v_cndmask_b32_e32 v25, v16, v25, vcc
	v_or_b32_e32 v17, 0x800000, v36
	v_add_u32_e32 v16, 21, v25
	v_cndmask_b32_e32 v36, v17, v36, vcc
	v_lshlrev_b64 v[16:17], v16, -1
	v_add_u32_e32 v30, 20, v25
	v_lshlrev_b64 v[34:35], v30, 1
	v_bfi_b32 v17, v17, 0, 0
	v_bfi_b32 v16, v16, 0, v36
	v_cmp_eq_u64_e64 s[20:21], v[16:17], v[34:35]
	v_lshrrev_b64 v[16:17], v25, v[36:37]
	v_mov_b32_e32 v51, v17
	v_mov_b32_e32 v50, v16
	s_and_saveexec_b64 s[92:93], s[20:21]
; %bb.1571:                             ;   in Loop: Header=BB2_1551 Depth=2
	v_bfe_u32 v17, v16, 21, 1
	v_add_co_u32_e64 v17, s[20:21], v16, v17
	v_add_co_u32_e64 v50, s[20:21], -1, v17
; %bb.1572:                             ;   in Loop: Header=BB2_1551 Depth=2
	s_or_b64 exec, exec, s[92:93]
	v_add_u32_e32 v3, 0xffffff81, v3
	v_mov_b32_e32 v17, 0xffffff82
	v_cndmask_b32_e32 v3, v3, v17, vcc
	v_lshrrev_b32_e32 v17, 23, v16
	v_add3_u32 v30, v25, v3, v17
	v_add_u32_e32 v25, 14, v30
	v_and_b32_e32 v3, 0x1fffff, v50
	v_add_u32_e32 v36, v3, v16
	v_cmp_ne_u32_e32 vcc, 0, v25
                                        ; implicit-def: $vgpr16_vgpr17
                                        ; implicit-def: $vgpr3
	s_and_saveexec_b64 s[20:21], vcc
	s_xor_b64 s[20:21], exec, s[20:21]
; %bb.1573:                             ;   in Loop: Header=BB2_1551 Depth=2
	v_cmp_lt_u64_e32 vcc, s[72:73], v[36:37]
	v_add_u32_e32 v3, 15, v30
	v_cndmask_b32_e64 v16, 0, 1, vcc
	v_cndmask_b32_e32 v3, v25, v3, vcc
	v_lshrrev_b64 v[16:17], v16, v[36:37]
; %bb.1574:                             ;   in Loop: Header=BB2_1551 Depth=2
	s_andn2_saveexec_b64 s[20:21], s[20:21]
; %bb.1575:                             ;   in Loop: Header=BB2_1551 Depth=2
	v_mov_b32_e32 v16, v36
	v_bfe_u32 v3, v36, 23, 1
	v_mov_b32_e32 v17, v37
; %bb.1576:                             ;   in Loop: Header=BB2_1551 Depth=2
	s_or_b64 exec, exec, s[20:21]
	v_lshrrev_b64 v[16:17], 21, v[16:17]
	v_cmp_gt_i32_e32 vcc, 32, v3
	v_cndmask_b32_e32 v17, 0, v17, vcc
	v_cndmask_b32_e32 v16, 3, v16, vcc
	v_cmp_ne_u64_e32 vcc, 0, v[16:17]
	v_cmp_ne_u32_e64 s[20:21], 0, v3
	s_or_b64 s[20:21], s[20:21], vcc
                                        ; implicit-def: $vgpr17
	s_and_saveexec_b64 s[92:93], s[20:21]
	s_xor_b64 s[20:21], exec, s[92:93]
; %bb.1577:                             ;   in Loop: Header=BB2_1551 Depth=2
	v_min_i32_e32 v3, 31, v3
	v_lshl_or_b32 v3, v3, 2, v24
	v_and_or_b32 v17, v16, 3, v3
                                        ; implicit-def: $vgpr24
; %bb.1578:                             ;   in Loop: Header=BB2_1551 Depth=2
	s_andn2_saveexec_b64 s[20:21], s[20:21]
; %bb.1579:                             ;   in Loop: Header=BB2_1551 Depth=2
	v_mov_b32_e32 v17, v24
; %bb.1580:                             ;   in Loop: Header=BB2_1551 Depth=2
	s_or_b64 exec, exec, s[20:21]
.LBB2_1581:                             ;   in Loop: Header=BB2_1551 Depth=2
	s_or_b64 exec, exec, s[90:91]
                                        ; implicit-def: $vgpr24
.LBB2_1582:                             ;   in Loop: Header=BB2_1551 Depth=2
	s_andn2_saveexec_b64 s[20:21], s[88:89]
; %bb.1583:                             ;   in Loop: Header=BB2_1551 Depth=2
	v_or_b32_e32 v17, 0x7b, v24
; %bb.1584:                             ;   in Loop: Header=BB2_1551 Depth=2
	s_or_b64 exec, exec, s[20:21]
                                        ; implicit-def: $vgpr16
.LBB2_1585:                             ;   in Loop: Header=BB2_1551 Depth=2
	s_andn2_saveexec_b64 s[20:21], s[78:79]
	s_cbranch_execz .LBB2_1550
; %bb.1586:                             ;   in Loop: Header=BB2_1551 Depth=2
	v_cmp_ne_u64_e32 vcc, 0, v[36:37]
                                        ; implicit-def: $vgpr17
	s_and_saveexec_b64 s[78:79], vcc
	s_xor_b64 s[78:79], exec, s[78:79]
; %bb.1587:                             ;   in Loop: Header=BB2_1551 Depth=2
	v_or_b32_sdwa v17, v16, s55 dst_sel:DWORD dst_unused:UNUSED_PAD src0_sel:BYTE_3 src1_sel:DWORD
                                        ; implicit-def: $vgpr16
; %bb.1588:                             ;   in Loop: Header=BB2_1551 Depth=2
	s_andn2_saveexec_b64 s[78:79], s[78:79]
	s_cbranch_execz .LBB2_1549
; %bb.1589:                             ;   in Loop: Header=BB2_1551 Depth=2
	v_cmp_lt_i32_e32 vcc, -1, v16
	v_cndmask_b32_e32 v17, -4, v19, vcc
	s_branch .LBB2_1549
.LBB2_1590:                             ;   in Loop: Header=BB2_49 Depth=1
	s_or_b64 exec, exec, s[22:23]
	s_waitcnt vmcnt(0)
	v_cmp_ne_u32_e64 s[20:21], 0, v56
	s_and_saveexec_b64 s[22:23], s[10:11]
	s_cbranch_execz .LBB2_1609
.LBB2_1591:                             ;   in Loop: Header=BB2_49 Depth=1
	s_and_saveexec_b64 s[24:25], s[44:45]
	s_xor_b64 s[24:25], exec, s[24:25]
	s_cbranch_execz .LBB2_1606
; %bb.1592:                             ;   in Loop: Header=BB2_49 Depth=1
	s_and_saveexec_b64 s[78:79], s[12:13]
	s_cbranch_execz .LBB2_1605
; %bb.1593:                             ;   in Loop: Header=BB2_49 Depth=1
	s_mov_b64 s[90:91], exec
	v_mbcnt_lo_u32_b32 v1, s90, 0
	v_mbcnt_hi_u32_b32 v1, s91, v1
	v_cmp_eq_u32_e32 vcc, 0, v1
	s_waitcnt vmcnt(0) lgkmcnt(0)
	buffer_wbinvl1_vol
	s_and_saveexec_b64 s[88:89], vcc
	s_cbranch_execz .LBB2_1595
; %bb.1594:                             ;   in Loop: Header=BB2_49 Depth=1
	s_bcnt1_i32_b64 s90, s[90:91]
	v_mov_b32_e32 v36, s90
	ds_add_u64 v0, v[36:37]
	s_trap 2
.LBB2_1595:                             ;   in Loop: Header=BB2_49 Depth=1
	s_or_b64 exec, exec, s[88:89]
	s_trap 2
	ds_read_b64 v[10:11], v0
	s_waitcnt lgkmcnt(0)
	v_add_co_u32_e32 v26, vcc, v26, v18
	v_addc_co_u32_e32 v27, vcc, 0, v27, vcc
	v_cmp_lt_u64_e32 vcc, v[10:11], v[26:27]
	s_and_saveexec_b64 s[88:89], vcc
	s_cbranch_execz .LBB2_1604
; %bb.1596:                             ;   in Loop: Header=BB2_49 Depth=1
	s_mov_b32 s36, 0
	s_mov_b64 s[90:91], 0
                                        ; implicit-def: $sgpr92_sgpr93
                                        ; implicit-def: $sgpr94_sgpr95
	s_branch .LBB2_1598
.LBB2_1597:                             ;   in Loop: Header=BB2_1598 Depth=2
	s_or_b64 exec, exec, s[34:35]
	s_and_b64 vcc, exec, vcc
	s_or_b64 s[90:91], vcc, s[90:91]
	s_andn2_b64 s[92:93], s[92:93], exec
	s_and_b64 vcc, s[94:95], exec
	s_or_b64 s[92:93], s[92:93], vcc
	s_andn2_b64 exec, exec, s[90:91]
	s_cbranch_execz .LBB2_1602
.LBB2_1598:                             ;   Parent Loop BB2_49 Depth=1
                                        ; =>  This Inner Loop Header: Depth=2
	s_add_i32 s36, s36, 1
	s_cmpk_lg_i32 s36, 0x2710
	s_cselect_b64 s[30:31], -1, 0
	s_and_b64 vcc, exec, s[30:31]
	s_cbranch_vccz .LBB2_1600
; %bb.1599:                             ;   in Loop: Header=BB2_1598 Depth=2
	s_mov_b64 vcc, -1
	s_or_b64 s[94:95], s[94:95], exec
	s_and_saveexec_b64 s[34:35], s[30:31]
	s_cbranch_execz .LBB2_1597
	s_branch .LBB2_1601
.LBB2_1600:                             ;   in Loop: Header=BB2_1598 Depth=2
	s_trap 2
	ds_read_b64 v[10:11], v0
	s_andn2_b64 s[30:31], s[30:31], exec
	s_mov_b32 s36, 0
	s_waitcnt lgkmcnt(0)
	flat_load_dword v1, v[10:11] glc
	s_waitcnt vmcnt(0) lgkmcnt(0)
	buffer_wbinvl1_vol
	v_cmp_eq_u32_e32 vcc, 0, v1
	s_and_b64 vcc, vcc, exec
	s_or_b64 s[30:31], s[30:31], vcc
	s_mov_b64 vcc, -1
	s_or_b64 s[94:95], s[94:95], exec
	s_and_saveexec_b64 s[34:35], s[30:31]
	s_cbranch_execz .LBB2_1597
.LBB2_1601:                             ;   in Loop: Header=BB2_1598 Depth=2
	s_sleep 1
	s_trap 2
	ds_read_b64 v[10:11], v0
	s_waitcnt lgkmcnt(0)
	s_andn2_b64 s[94:95], s[94:95], exec
	v_cmp_ge_u64_e32 vcc, v[10:11], v[26:27]
	s_orn2_b64 vcc, vcc, exec
	s_branch .LBB2_1597
.LBB2_1602:                             ;   in Loop: Header=BB2_49 Depth=1
	s_or_b64 exec, exec, s[90:91]
	s_and_saveexec_b64 s[90:91], s[92:93]
	s_xor_b64 s[90:91], exec, s[90:91]
	s_cbranch_execz .LBB2_1604
; %bb.1603:                             ;   in Loop: Header=BB2_49 Depth=1
	ds_write_b32 v0, v43
	s_trap 2
.LBB2_1604:                             ;   in Loop: Header=BB2_49 Depth=1
	s_or_b64 exec, exec, s[88:89]
	;;#ASMSTART
	s_wakeup
	;;#ASMEND
.LBB2_1605:                             ;   in Loop: Header=BB2_49 Depth=1
	s_or_b64 exec, exec, s[78:79]
.LBB2_1606:                             ;   in Loop: Header=BB2_49 Depth=1
	s_andn2_saveexec_b64 s[24:25], s[24:25]
	s_cbranch_execz .LBB2_1608
; %bb.1607:                             ;   in Loop: Header=BB2_49 Depth=1
	s_waitcnt vmcnt(0) lgkmcnt(0)
	buffer_wbinvl1_vol
	s_barrier
.LBB2_1608:                             ;   in Loop: Header=BB2_49 Depth=1
	s_or_b64 exec, exec, s[24:25]
.LBB2_1609:                             ;   in Loop: Header=BB2_49 Depth=1
	s_or_b64 exec, exec, s[22:23]
	v_and_b32_e32 v1, 16, v60
	v_cmp_ne_u32_e32 vcc, 0, v1
	s_and_b64 s[22:23], vcc, s[20:21]
	s_and_saveexec_b64 s[20:21], s[22:23]
	s_cbranch_execz .LBB2_1611
; %bb.1610:                             ;   in Loop: Header=BB2_49 Depth=1
	s_waitcnt vmcnt(0) lgkmcnt(0)
	buffer_wbinvl1_vol
.LBB2_1611:                             ;   in Loop: Header=BB2_49 Depth=1
	s_or_b64 exec, exec, s[20:21]
	v_cmp_ne_u32_e32 vcc, 0, v1
	s_xor_b64 s[20:21], s[18:19], -1
	s_and_b64 s[22:23], vcc, s[20:21]
	s_and_saveexec_b64 s[20:21], s[22:23]
	s_cbranch_execz .LBB2_1613
; %bb.1612:                             ;   in Loop: Header=BB2_49 Depth=1
	flat_store_dword v[52:53], v43
.LBB2_1613:                             ;   in Loop: Header=BB2_49 Depth=1
	s_or_b64 exec, exec, s[20:21]
	v_and_b32_e32 v1, 48, v60
	v_cmp_ne_u32_e32 vcc, 0, v1
	s_and_saveexec_b64 s[20:21], vcc
	s_cbranch_execz .LBB2_1615
; %bb.1614:                             ;   in Loop: Header=BB2_49 Depth=1
	v_add_co_u32_e32 v8, vcc, 1, v8
	v_addc_co_u32_e32 v9, vcc, 0, v9, vcc
	flat_store_dwordx2 v[22:23], v[8:9]
.LBB2_1615:                             ;   in Loop: Header=BB2_49 Depth=1
	s_or_b64 exec, exec, s[20:21]
	v_mov_b32_e32 v1, v49
.LBB2_1616:                             ;   in Loop: Header=BB2_49 Depth=1
	s_or_b64 exec, exec, s[76:77]
	s_and_saveexec_b64 s[22:23], s[74:75]
	s_cbranch_execz .LBB2_48
; %bb.1617:                             ;   in Loop: Header=BB2_49 Depth=1
	v_sub_u32_e32 v1, v48, v1
	v_min_i32_e32 v10, v49, v1
	v_and_b32_e32 v1, 12, v60
	v_cmp_ne_u32_e32 vcc, 0, v1
	s_and_saveexec_b64 s[24:25], vcc
	s_cbranch_execz .LBB2_1641
; %bb.1618:                             ;   in Loop: Header=BB2_49 Depth=1
	v_and_b32_e32 v1, 8, v60
	v_add_co_u32_e32 v14, vcc, v28, v1
	v_addc_co_u32_e32 v15, vcc, 0, v29, vcc
	v_add_co_u32_e32 v12, vcc, 1, v8
	v_addc_co_u32_e32 v13, vcc, 0, v9, vcc
	v_cmp_lt_u64_e32 vcc, v[14:15], v[12:13]
	s_and_saveexec_b64 s[74:75], vcc
	s_cbranch_execz .LBB2_1630
; %bb.1619:                             ;   in Loop: Header=BB2_49 Depth=1
	v_and_b32_e32 v3, 64, v60
	s_mov_b32 s38, 0
	v_cmp_eq_u32_e32 vcc, 0, v3
	s_mov_b64 s[76:77], 0
                                        ; implicit-def: $sgpr78_sgpr79
                                        ; implicit-def: $sgpr88_sgpr89
                                        ; implicit-def: $sgpr90_sgpr91
	s_branch .LBB2_1623
.LBB2_1620:                             ;   in Loop: Header=BB2_1623 Depth=2
	s_waitcnt vmcnt(0) lgkmcnt(0)
	v_add_co_u32_e64 v14, s[20:21], v28, v1
	v_addc_co_u32_e64 v15, s[20:21], 0, v29, s[20:21]
	v_cmp_ge_u64_e64 s[20:21], v[14:15], v[12:13]
	s_or_b64 s[30:31], s[30:31], exec
	s_orn2_b64 s[94:95], s[20:21], exec
.LBB2_1621:                             ;   in Loop: Header=BB2_1623 Depth=2
	s_or_b64 exec, exec, s[36:37]
	s_andn2_b64 s[20:21], s[90:91], exec
	s_and_b64 s[90:91], s[30:31], exec
	s_or_b64 s[90:91], s[20:21], s[90:91]
	s_andn2_b64 s[20:21], s[88:89], exec
	s_and_b64 s[88:89], s[94:95], exec
	s_or_b64 s[88:89], s[20:21], s[88:89]
.LBB2_1622:                             ;   in Loop: Header=BB2_1623 Depth=2
	s_or_b64 exec, exec, s[92:93]
	s_and_b64 s[20:21], exec, s[88:89]
	s_or_b64 s[76:77], s[20:21], s[76:77]
	s_andn2_b64 s[20:21], s[78:79], exec
	s_and_b64 s[78:79], s[90:91], exec
	s_or_b64 s[78:79], s[20:21], s[78:79]
	s_andn2_b64 exec, exec, s[76:77]
	s_cbranch_execz .LBB2_1627
.LBB2_1623:                             ;   Parent Loop BB2_49 Depth=1
                                        ; =>  This Inner Loop Header: Depth=2
	s_sleep 1
	s_waitcnt vmcnt(0) lgkmcnt(0)
	flat_load_dwordx2 v[28:29], v[22:23] glc
	s_or_b64 s[90:91], s[90:91], exec
	s_or_b64 s[88:89], s[88:89], exec
                                        ; implicit-def: $vgpr9
	s_and_saveexec_b64 s[92:93], vcc
	s_cbranch_execz .LBB2_1622
; %bb.1624:                             ;   in Loop: Header=BB2_1623 Depth=2
	s_cmpk_lt_i32 s38, 0x270f
	s_cselect_b64 s[34:35], -1, 0
	s_cmpk_gt_i32 s38, 0x270e
	s_mov_b64 s[94:95], -1
	s_cbranch_scc0 .LBB2_1626
; %bb.1625:                             ;   in Loop: Header=BB2_1623 Depth=2
	s_trap 2
	ds_read_b64 v[14:15], v0
	s_andn2_b64 s[34:35], s[34:35], exec
	s_mov_b32 s38, 0
	s_mov_b64 s[30:31], 0
	s_waitcnt vmcnt(0) lgkmcnt(0)
	flat_load_dword v9, v[14:15] glc
	s_waitcnt vmcnt(0) lgkmcnt(0)
	buffer_wbinvl1_vol
	v_cmp_eq_u32_e64 s[20:21], 0, v9
	s_and_b64 s[20:21], s[20:21], exec
	s_or_b64 s[34:35], s[34:35], s[20:21]
	s_and_saveexec_b64 s[36:37], s[34:35]
	s_cbranch_execz .LBB2_1621
	s_branch .LBB2_1620
.LBB2_1626:                             ;   in Loop: Header=BB2_1623 Depth=2
	s_add_i32 s38, s38, 1
	s_mov_b64 s[30:31], -1
                                        ; implicit-def: $vgpr9
	s_and_saveexec_b64 s[36:37], s[34:35]
	s_cbranch_execz .LBB2_1621
	s_branch .LBB2_1620
.LBB2_1627:                             ;   in Loop: Header=BB2_49 Depth=1
	s_or_b64 exec, exec, s[76:77]
	s_xor_b64 s[20:21], s[78:79], -1
	s_and_saveexec_b64 s[76:77], s[20:21]
	s_xor_b64 s[20:21], exec, s[76:77]
	s_cbranch_execz .LBB2_1629
; %bb.1628:                             ;   in Loop: Header=BB2_49 Depth=1
	v_or_b32_e32 v60, 64, v60
	s_waitcnt lgkmcnt(0)
	ds_write_b32 v0, v9
	s_trap 2
.LBB2_1629:                             ;   in Loop: Header=BB2_49 Depth=1
	s_or_b64 exec, exec, s[20:21]
.LBB2_1630:                             ;   in Loop: Header=BB2_49 Depth=1
	s_or_b64 exec, exec, s[74:75]
	v_and_b32_e32 v3, 0x108, v60
	v_cmp_ne_u32_e32 vcc, s51, v3
	v_and_b32_e32 v16, 7, v8
	;;#ASMSTART
	s_wakeup
	;;#ASMEND
	s_and_saveexec_b64 s[20:21], vcc
	s_xor_b64 s[20:21], exec, s[20:21]
	s_andn2_saveexec_b64 s[20:21], s[20:21]
	s_cbranch_execz .LBB2_1632
; %bb.1631:                             ;   in Loop: Header=BB2_49 Depth=1
	v_mad_u64_u32 v[8:9], s[74:75], v16, 24, v[6:7]
	v_ashrrev_i32_e32 v11, 31, v10
	flat_store_dwordx2 v[8:9], v[10:11] offset:8
.LBB2_1632:                             ;   in Loop: Header=BB2_49 Depth=1
	s_or_b64 exec, exec, s[20:21]
	v_and_b32_e32 v3, 0x100, v60
	v_cmp_ne_u32_e32 vcc, 0, v3
	s_mov_b64 s[20:21], -1
                                        ; implicit-def: $vgpr8_vgpr9
	s_and_saveexec_b64 s[74:75], vcc
	s_cbranch_execz .LBB2_1636
; %bb.1633:                             ;   in Loop: Header=BB2_49 Depth=1
	v_mad_u64_u32 v[14:15], s[20:21], v16, 24, v[6:7]
	v_mov_b32_e32 v3, v15
	v_mad_u64_u32 v[8:9], s[20:21], v37, 24, v[3:4]
	v_mov_b32_e32 v15, v8
	flat_load_dword v3, v[14:15]
                                        ; implicit-def: $vgpr8_vgpr9
	s_waitcnt vmcnt(0) lgkmcnt(0)
	v_cmp_ne_u32_e32 vcc, 1, v3
	v_cmp_eq_u32_e64 s[20:21], 1, v3
	s_and_saveexec_b64 s[76:77], s[20:21]
	s_cbranch_execz .LBB2_1635
; %bb.1634:                             ;   in Loop: Header=BB2_49 Depth=1
	flat_load_dword v8, v[14:15] offset:4 glc
	s_waitcnt vmcnt(0) lgkmcnt(0)
	v_ashrrev_i32_e32 v9, 31, v8
.LBB2_1635:                             ;   in Loop: Header=BB2_49 Depth=1
	s_or_b64 exec, exec, s[76:77]
	s_orn2_b64 s[20:21], vcc, exec
.LBB2_1636:                             ;   in Loop: Header=BB2_49 Depth=1
	s_or_b64 exec, exec, s[74:75]
	s_and_saveexec_b64 s[74:75], s[20:21]
	s_cbranch_execz .LBB2_1638
; %bb.1637:                             ;   in Loop: Header=BB2_49 Depth=1
	v_mul_lo_u32 v3, v37, v40
	v_mul_lo_u32 v11, v16, v41
	v_mad_u64_u32 v[8:9], s[20:21], v16, v40, 0
	v_add3_u32 v9, v9, v11, v3
.LBB2_1638:                             ;   in Loop: Header=BB2_49 Depth=1
	s_or_b64 exec, exec, s[74:75]
	buffer_load_dword v14, off, s[0:3], s33 offset:68 ; 4-byte Folded Reload
	buffer_load_dword v15, off, s[0:3], s33 offset:72 ; 4-byte Folded Reload
	v_cmp_eq_u32_e32 vcc, 0, v1
	v_cndmask_b32_e32 v1, v44, v47, vcc
	v_add_u32_e32 v1, v0, v1
	s_waitcnt vmcnt(0)
	v_add_co_u32_e32 v8, vcc, v14, v8
	v_addc_co_u32_e32 v9, vcc, v15, v9, vcc
	ds_write_b64 v1, v[8:9] offset:584
	v_and_b32_e32 v1, 0x2000, v60
	v_cmp_ne_u32_e32 vcc, 0, v1
	s_and_saveexec_b64 s[20:21], vcc
	s_cbranch_execz .LBB2_1640
; %bb.1639:                             ;   in Loop: Header=BB2_49 Depth=1
	ds_read_b64 v[8:9], v0 offset:872
	s_waitcnt lgkmcnt(0)
	v_add_co_u32_e32 v8, vcc, 1, v8
	v_addc_co_u32_e32 v9, vcc, 0, v9, vcc
	ds_write_b64 v0, v[8:9] offset:872
.LBB2_1640:                             ;   in Loop: Header=BB2_49 Depth=1
	s_or_b64 exec, exec, s[20:21]
	v_mov_b32_e32 v8, v12
	v_mov_b32_e32 v9, v13
.LBB2_1641:                             ;   in Loop: Header=BB2_49 Depth=1
	s_or_b64 exec, exec, s[24:25]
	s_and_saveexec_b64 s[20:21], s[10:11]
	s_cbranch_execz .LBB2_1660
; %bb.1642:                             ;   in Loop: Header=BB2_49 Depth=1
	s_and_saveexec_b64 s[24:25], s[44:45]
	s_xor_b64 s[24:25], exec, s[24:25]
	s_cbranch_execz .LBB2_1657
; %bb.1643:                             ;   in Loop: Header=BB2_49 Depth=1
	s_and_saveexec_b64 s[74:75], s[12:13]
	s_cbranch_execz .LBB2_1656
; %bb.1644:                             ;   in Loop: Header=BB2_49 Depth=1
	s_mov_b64 s[78:79], exec
	v_mbcnt_lo_u32_b32 v1, s78, 0
	v_mbcnt_hi_u32_b32 v1, s79, v1
	v_cmp_eq_u32_e32 vcc, 0, v1
	s_waitcnt vmcnt(0) lgkmcnt(0)
	buffer_wbinvl1_vol
	s_and_saveexec_b64 s[76:77], vcc
	s_cbranch_execz .LBB2_1646
; %bb.1645:                             ;   in Loop: Header=BB2_49 Depth=1
	s_bcnt1_i32_b64 s78, s[78:79]
	v_mov_b32_e32 v36, s78
	ds_add_u64 v0, v[36:37]
	s_trap 2
.LBB2_1646:                             ;   in Loop: Header=BB2_49 Depth=1
	s_or_b64 exec, exec, s[76:77]
	s_trap 2
	ds_read_b64 v[11:12], v0
	s_waitcnt lgkmcnt(0)
	v_add_co_u32_e32 v26, vcc, v26, v18
	v_addc_co_u32_e32 v27, vcc, 0, v27, vcc
	v_cmp_lt_u64_e32 vcc, v[11:12], v[26:27]
	s_and_saveexec_b64 s[76:77], vcc
	s_cbranch_execz .LBB2_1655
; %bb.1647:                             ;   in Loop: Header=BB2_49 Depth=1
	s_mov_b32 s30, 0
	s_mov_b64 s[78:79], 0
                                        ; implicit-def: $sgpr88_sgpr89
                                        ; implicit-def: $sgpr90_sgpr91
	s_branch .LBB2_1649
.LBB2_1648:                             ;   in Loop: Header=BB2_1649 Depth=2
	s_or_b64 exec, exec, s[94:95]
	s_and_b64 s[92:93], exec, vcc
	s_or_b64 s[78:79], s[92:93], s[78:79]
	s_andn2_b64 s[88:89], s[88:89], exec
	s_and_b64 s[92:93], s[90:91], exec
	s_or_b64 s[88:89], s[88:89], s[92:93]
	s_andn2_b64 exec, exec, s[78:79]
	s_cbranch_execz .LBB2_1653
.LBB2_1649:                             ;   Parent Loop BB2_49 Depth=1
                                        ; =>  This Inner Loop Header: Depth=2
	s_add_i32 s30, s30, 1
	s_cmpk_lg_i32 s30, 0x2710
	s_cselect_b64 s[92:93], -1, 0
	s_and_b64 vcc, exec, s[92:93]
	s_cbranch_vccz .LBB2_1651
; %bb.1650:                             ;   in Loop: Header=BB2_1649 Depth=2
	s_mov_b64 vcc, -1
	s_or_b64 s[90:91], s[90:91], exec
	s_and_saveexec_b64 s[94:95], s[92:93]
	s_cbranch_execz .LBB2_1648
	s_branch .LBB2_1652
.LBB2_1651:                             ;   in Loop: Header=BB2_1649 Depth=2
	s_trap 2
	ds_read_b64 v[11:12], v0
	s_andn2_b64 s[92:93], s[92:93], exec
	s_mov_b32 s30, 0
	s_waitcnt lgkmcnt(0)
	flat_load_dword v1, v[11:12] glc
	s_waitcnt vmcnt(0) lgkmcnt(0)
	buffer_wbinvl1_vol
	v_cmp_eq_u32_e32 vcc, 0, v1
	s_and_b64 s[94:95], vcc, exec
	s_or_b64 s[92:93], s[92:93], s[94:95]
	s_mov_b64 vcc, -1
	s_or_b64 s[90:91], s[90:91], exec
	s_and_saveexec_b64 s[94:95], s[92:93]
	s_cbranch_execz .LBB2_1648
.LBB2_1652:                             ;   in Loop: Header=BB2_1649 Depth=2
	s_sleep 1
	s_trap 2
	ds_read_b64 v[11:12], v0
	s_waitcnt lgkmcnt(0)
	s_andn2_b64 s[90:91], s[90:91], exec
	v_cmp_ge_u64_e32 vcc, v[11:12], v[26:27]
	s_orn2_b64 vcc, vcc, exec
	s_branch .LBB2_1648
.LBB2_1653:                             ;   in Loop: Header=BB2_49 Depth=1
	s_or_b64 exec, exec, s[78:79]
	s_and_saveexec_b64 s[78:79], s[88:89]
	s_xor_b64 s[78:79], exec, s[78:79]
	s_cbranch_execz .LBB2_1655
; %bb.1654:                             ;   in Loop: Header=BB2_49 Depth=1
	ds_write_b32 v0, v43
	s_trap 2
.LBB2_1655:                             ;   in Loop: Header=BB2_49 Depth=1
	s_or_b64 exec, exec, s[76:77]
	;;#ASMSTART
	s_wakeup
	;;#ASMEND
.LBB2_1656:                             ;   in Loop: Header=BB2_49 Depth=1
	s_or_b64 exec, exec, s[74:75]
.LBB2_1657:                             ;   in Loop: Header=BB2_49 Depth=1
	s_andn2_saveexec_b64 s[24:25], s[24:25]
	s_cbranch_execz .LBB2_1659
; %bb.1658:                             ;   in Loop: Header=BB2_49 Depth=1
	s_waitcnt vmcnt(0) lgkmcnt(0)
	buffer_wbinvl1_vol
	s_barrier
.LBB2_1659:                             ;   in Loop: Header=BB2_49 Depth=1
	s_or_b64 exec, exec, s[24:25]
.LBB2_1660:                             ;   in Loop: Header=BB2_49 Depth=1
	s_or_b64 exec, exec, s[20:21]
	s_trap 2
	ds_read_b32 v3, v0
	v_cmp_lt_i32_e32 vcc, 0, v10
	v_and_b32_e32 v1, 16, v60
	s_waitcnt lgkmcnt(0)
	v_readfirstlane_b32 s20, v3
	s_cmp_eq_u32 s20, 0
	s_cselect_b64 s[20:21], -1, 0
	s_and_b64 s[20:21], vcc, s[20:21]
	v_cmp_ne_u32_e32 vcc, 0, v1
	s_and_b64 s[24:25], vcc, s[20:21]
	s_and_saveexec_b64 s[20:21], s[24:25]
	s_cbranch_execz .LBB2_1662
; %bb.1661:                             ;   in Loop: Header=BB2_49 Depth=1
	s_waitcnt vmcnt(0)
	buffer_wbinvl1_vol
.LBB2_1662:                             ;   in Loop: Header=BB2_49 Depth=1
	s_or_b64 exec, exec, s[20:21]
	v_cmp_ne_u32_e32 vcc, 0, v1
	s_xor_b64 s[20:21], s[18:19], -1
	s_and_b64 s[24:25], vcc, s[20:21]
	s_and_saveexec_b64 s[20:21], s[24:25]
	s_cbranch_execz .LBB2_1664
; %bb.1663:                             ;   in Loop: Header=BB2_49 Depth=1
	flat_store_dword v[52:53], v43
.LBB2_1664:                             ;   in Loop: Header=BB2_49 Depth=1
	s_or_b64 exec, exec, s[20:21]
	v_and_b32_e32 v1, 48, v60
	v_cmp_ne_u32_e32 vcc, 0, v1
	s_and_saveexec_b64 s[20:21], vcc
	s_cbranch_execz .LBB2_47
; %bb.1665:                             ;   in Loop: Header=BB2_49 Depth=1
	v_add_co_u32_e32 v8, vcc, 1, v8
	v_addc_co_u32_e32 v9, vcc, 0, v9, vcc
	flat_store_dwordx2 v[22:23], v[8:9]
	s_branch .LBB2_47
.LBB2_1666:
	s_or_b64 exec, exec, s[46:47]
	buffer_load_dword v19, off, s[0:3], s33 offset:140 ; 4-byte Folded Reload
	buffer_load_dword v58, off, s[0:3], s33 offset:152 ; 4-byte Folded Reload
	;; [unrolled: 1-line block ×3, first 2 shown]
.LBB2_1667:
	s_or_b64 exec, exec, s[42:43]
                                        ; implicit-def: $vgpr54_vgpr55
                                        ; implicit-def: $vgpr4_vgpr5
                                        ; implicit-def: $vgpr40
                                        ; implicit-def: $vgpr28_vgpr29
                                        ; implicit-def: $vgpr61_vgpr62
                                        ; implicit-def: $vgpr22_vgpr23
                                        ; implicit-def: $vgpr46
                                        ; implicit-def: $vgpr18
                                        ; implicit-def: $vgpr32
.LBB2_1668:
	s_andn2_saveexec_b64 s[24:25], s[40:41]
	s_cbranch_execz .LBB2_3284
; %bb.1669:
	v_mov_b32_e32 v26, 0
	v_cmp_ne_u64_e32 vcc, 0, v[4:5]
	v_mov_b32_e32 v27, 0
	s_and_saveexec_b64 s[40:41], vcc
	s_cbranch_execz .LBB2_3283
; %bb.1670:
	v_and_b32_e32 v0, 63, v31
	v_cmp_eq_u32_e64 s[12:13], 0, v0
	v_ashrrev_i32_e32 v0, 31, v46
	v_lshrrev_b32_e32 v0, 26, v0
	v_add_u32_e32 v0, v46, v0
	v_and_b32_e32 v1, 0xffffffc0, v0
	v_ashrrev_i32_e32 v0, 6, v0
	v_sub_u32_e32 v1, v46, v1
	v_sub_u32_e32 v0, 0, v0
	s_waitcnt lgkmcnt(0)
	buffer_store_dword v61, off, s[0:3], s33 offset:68 ; 4-byte Folded Spill
	s_nop 0
	buffer_store_dword v62, off, s[0:3], s33 offset:72 ; 4-byte Folded Spill
	s_waitcnt vmcnt(0)
	buffer_store_dword v58, off, s[0:3], s33 offset:152 ; 4-byte Folded Spill
	s_nop 0
	buffer_store_dword v59, off, s[0:3], s33 offset:156 ; 4-byte Folded Spill
	s_trap 2
	buffer_store_dword v45, off, s[0:3], s33 offset:104 ; 4-byte Folded Spill
	buffer_store_dword v31, off, s[0:3], s33 offset:120 ; 4-byte Folded Spill
	buffer_store_dword v1, off, s[0:3], s33 offset:172 ; 4-byte Folded Spill
	buffer_store_dword v0, off, s[0:3], s33 offset:168 ; 4-byte Folded Spill
	buffer_store_dword v46, off, s[0:3], s33 offset:84 ; 4-byte Folded Spill
	v_lshlrev_b32_e32 v0, 4, v46
	s_ashr_i32 s6, s48, 31
	v_lshrrev_b32_e32 v2, 6, v19
	buffer_store_dword v0, off, s[0:3], s33 offset:124 ; 4-byte Folded Spill
	v_ashrrev_i32_e32 v0, 31, v0
	s_lshr_b32 s6, s6, 24
	buffer_store_dword v0, off, s[0:3], s33 offset:176 ; 4-byte Folded Spill
	v_lshlrev_b32_e32 v0, 10, v2
	s_add_i32 s6, s48, s6
	v_cmp_eq_u32_e32 vcc, 64, v19
	buffer_store_dword v0, off, s[0:3], s33 offset:60 ; 4-byte Folded Spill
	v_lshlrev_b32_e32 v0, 9, v2
	v_mov_b32_e32 v36, 0
	v_mov_b32_e32 v26, 0
	s_mov_b32 s56, -1
	s_ashr_i32 s38, s6, 8
	v_cmp_ge_i32_e64 s[6:7], v46, v19
	v_cmp_ne_u32_e64 s[10:11], 64, v19
	v_cmp_ne_u32_sdwa s[42:43], v19, v45 src0_sel:DWORD src1_sel:WORD_0
	v_mov_b32_e32 v3, 0
	s_movk_i32 s39, 0xffc0
	v_cmp_le_i32_e64 s[14:15], v1, v18
	v_cmp_gt_i32_e64 s[16:17], 1, v1
	v_mov_b32_e32 v62, v2
	buffer_store_dword v0, off, s[0:3], s33 offset:64 ; 4-byte Folded Spill
	buffer_store_dword v19, off, s[0:3], s33 offset:140 ; 4-byte Folded Spill
	v_and_b32_e32 v34, 0x3fc0, v19
	s_mov_b64 s[44:45], 0
	v_mov_b32_e32 v37, 0
	v_mov_b32_e32 v27, 0
	s_xor_b64 s[46:47], vcc, -1
	s_movk_i32 s49, 0xff80
	s_movk_i32 s50, 0x7c
	s_brev_b32 s51, 1
	s_mov_b32 s57, 0xffffff
	s_movk_i32 s52, 0x7f
	s_movk_i32 s53, 0x80
	s_mov_b64 s[58:59], 0x7f800000
	s_mov_b64 s[60:61], 0x47600001
	s_movk_i32 s54, 0x72
	s_mov_b64 s[62:63], 0xffffff
	s_mov_b32 s55, 0x7c0000
	s_brev_b32 s64, 62
	s_mov_b32 s65, 0x3ffffc00
	v_mov_b32_e32 v56, -1
	v_mov_b32_e32 v57, 0xff800000
	v_mov_b32_e32 v58, 0x7f800000
	;; [unrolled: 1-line block ×4, first 2 shown]
	v_bfrev_b32_e32 v31, 0.5
	v_mov_b32_e32 v18, 0x7c
	v_bfrev_b32_e32 v19, 1
	buffer_store_dword v54, off, s[0:3], s33 offset:76 ; 4-byte Folded Spill
	s_nop 0
	buffer_store_dword v55, off, s[0:3], s33 offset:80 ; 4-byte Folded Spill
	buffer_store_dword v40, off, s[0:3], s33 offset:100 ; 4-byte Folded Spill
	;; [unrolled: 1-line block ×3, first 2 shown]
	s_branch .LBB2_1673
.LBB2_1671:                             ;   in Loop: Header=BB2_1673 Depth=1
	s_or_b64 exec, exec, s[18:19]
.LBB2_1672:                             ;   in Loop: Header=BB2_1673 Depth=1
	s_or_b64 exec, exec, s[20:21]
	v_add_co_u32_e32 v36, vcc, v36, v32
	v_addc_co_u32_e32 v37, vcc, 0, v37, vcc
	v_cmp_ge_u64_e32 vcc, v[36:37], v[4:5]
	s_or_b64 s[44:45], vcc, s[44:45]
	s_andn2_b64 exec, exec, s[44:45]
	s_cbranch_execz .LBB2_3282
.LBB2_1673:                             ; =>This Loop Header: Depth=1
                                        ;     Child Loop BB2_1682 Depth 2
                                        ;     Child Loop BB2_1706 Depth 2
	;; [unrolled: 1-line block ×10, first 2 shown]
	v_sub_co_u32_e32 v0, vcc, v4, v36
	s_waitcnt vmcnt(0)
	v_subb_co_u32_e32 v1, vcc, v5, v37, vcc
	v_cmp_lt_u64_e32 vcc, v[32:33], v[0:1]
	v_cndmask_b32_e64 v39, v1, 0, vcc
	v_cndmask_b32_e32 v38, v0, v32, vcc
	v_cmp_eq_u64_e32 vcc, 0, v[38:39]
	v_add_u32_e32 v0, 15, v38
	v_and_b32_e32 v0, 0x7ffffff0, v0
	s_or_b64 s[72:73], s[6:7], vcc
	v_max_i32_e32 v35, s38, v0
	s_xor_b64 s[18:19], s[72:73], -1
	v_mov_b32_e32 v0, v3
	s_and_saveexec_b64 s[74:75], s[18:19]
	s_cbranch_execz .LBB2_3236
; %bb.1674:                             ;   in Loop: Header=BB2_1673 Depth=1
	s_and_saveexec_b64 s[18:19], s[4:5]
	s_cbranch_execz .LBB2_1676
; %bb.1675:                             ;   in Loop: Header=BB2_1673 Depth=1
	s_trap 2
	ds_read2_b64 v[10:13], v0 offset1:1
	ds_read_b64 v[0:1], v0
	v_add_co_u32_e32 v2, vcc, v36, v54
	v_addc_co_u32_e32 v14, vcc, v37, v55, vcc
	s_waitcnt lgkmcnt(0)
	v_add_co_u32_e32 v10, vcc, v10, v2
	v_addc_co_u32_e32 v11, vcc, v11, v14, vcc
	s_waitcnt lgkmcnt(0)
	ds_write_b64 v0, v[10:11]
	v_add_co_u32_e32 v10, vcc, v12, v2
	v_addc_co_u32_e32 v11, vcc, v13, v14, vcc
	v_add_co_u32_e32 v2, vcc, v0, v2
	ds_write_b64 v0, v[10:11]
	v_addc_co_u32_e32 v10, vcc, v1, v14, vcc
	v_cmp_ne_u64_e32 vcc, 0, v[0:1]
	v_cndmask_b32_e32 v1, 0, v10, vcc
	v_cndmask_b32_e32 v0, 0, v2, vcc
	ds_write_b64 v0, v[0:1]
.LBB2_1676:                             ;   in Loop: Header=BB2_1673 Depth=1
	s_or_b64 exec, exec, s[18:19]
	v_and_b32_e32 v0, 4, v60
	v_cmp_ne_u32_e32 vcc, 0, v0
	s_and_saveexec_b64 s[20:21], vcc
	s_cbranch_execz .LBB2_1698
; %bb.1677:                             ;   in Loop: Header=BB2_1673 Depth=1
	v_add_co_u32_e32 v10, vcc, 1, v8
	v_addc_co_u32_e32 v11, vcc, 0, v9, vcc
	v_cmp_lt_u64_e32 vcc, v[28:29], v[10:11]
	s_and_saveexec_b64 s[22:23], vcc
	s_cbranch_execz .LBB2_1689
; %bb.1678:                             ;   in Loop: Header=BB2_1673 Depth=1
	v_and_b32_e32 v0, 64, v60
	s_mov_b32 s66, 0
	v_cmp_eq_u32_e32 vcc, 0, v0
	s_mov_b64 s[76:77], 0
                                        ; implicit-def: $sgpr78_sgpr79
                                        ; implicit-def: $sgpr88_sgpr89
                                        ; implicit-def: $sgpr90_sgpr91
	s_branch .LBB2_1682
.LBB2_1679:                             ;   in Loop: Header=BB2_1682 Depth=2
	s_waitcnt vmcnt(0) lgkmcnt(0)
	v_cmp_ge_u64_e64 s[18:19], v[28:29], v[10:11]
	s_or_b64 s[30:31], s[30:31], exec
	s_orn2_b64 s[94:95], s[18:19], exec
.LBB2_1680:                             ;   in Loop: Header=BB2_1682 Depth=2
	s_or_b64 exec, exec, s[36:37]
	s_andn2_b64 s[18:19], s[90:91], exec
	s_and_b64 s[90:91], s[30:31], exec
	s_or_b64 s[90:91], s[18:19], s[90:91]
	s_andn2_b64 s[18:19], s[88:89], exec
	s_and_b64 s[88:89], s[94:95], exec
	s_or_b64 s[88:89], s[18:19], s[88:89]
.LBB2_1681:                             ;   in Loop: Header=BB2_1682 Depth=2
	s_or_b64 exec, exec, s[92:93]
	s_and_b64 s[18:19], exec, s[88:89]
	s_or_b64 s[76:77], s[18:19], s[76:77]
	s_andn2_b64 s[18:19], s[78:79], exec
	s_and_b64 s[78:79], s[90:91], exec
	s_or_b64 s[78:79], s[18:19], s[78:79]
	s_andn2_b64 exec, exec, s[76:77]
	s_cbranch_execz .LBB2_1686
.LBB2_1682:                             ;   Parent Loop BB2_1673 Depth=1
                                        ; =>  This Inner Loop Header: Depth=2
	s_sleep 1
	s_waitcnt vmcnt(0) lgkmcnt(0)
	flat_load_dwordx2 v[28:29], v[22:23] glc
	s_or_b64 s[90:91], s[90:91], exec
	s_or_b64 s[88:89], s[88:89], exec
                                        ; implicit-def: $vgpr0
	s_and_saveexec_b64 s[92:93], vcc
	s_cbranch_execz .LBB2_1681
; %bb.1683:                             ;   in Loop: Header=BB2_1682 Depth=2
	s_cmpk_lt_i32 s66, 0x270f
	s_cselect_b64 s[34:35], -1, 0
	s_cmpk_gt_i32 s66, 0x270e
	s_mov_b64 s[94:95], -1
	s_cbranch_scc0 .LBB2_1685
; %bb.1684:                             ;   in Loop: Header=BB2_1682 Depth=2
	s_trap 2
	ds_read_b64 v[0:1], v0
	s_andn2_b64 s[34:35], s[34:35], exec
	s_mov_b32 s66, 0
	s_mov_b64 s[30:31], 0
	s_waitcnt vmcnt(0) lgkmcnt(0)
	flat_load_dword v0, v[0:1] glc
	s_waitcnt vmcnt(0) lgkmcnt(0)
	buffer_wbinvl1_vol
	v_cmp_eq_u32_e64 s[18:19], 0, v0
	s_and_b64 s[18:19], s[18:19], exec
	s_or_b64 s[34:35], s[34:35], s[18:19]
	s_and_saveexec_b64 s[36:37], s[34:35]
	s_cbranch_execz .LBB2_1680
	s_branch .LBB2_1679
.LBB2_1685:                             ;   in Loop: Header=BB2_1682 Depth=2
	s_add_i32 s66, s66, 1
	s_mov_b64 s[30:31], -1
                                        ; implicit-def: $vgpr0
	s_and_saveexec_b64 s[36:37], s[34:35]
	s_cbranch_execz .LBB2_1680
	s_branch .LBB2_1679
.LBB2_1686:                             ;   in Loop: Header=BB2_1673 Depth=1
	s_or_b64 exec, exec, s[76:77]
	s_xor_b64 s[18:19], s[78:79], -1
	s_and_saveexec_b64 s[76:77], s[18:19]
	s_xor_b64 s[18:19], exec, s[76:77]
	s_cbranch_execz .LBB2_1688
; %bb.1687:                             ;   in Loop: Header=BB2_1673 Depth=1
	v_or_b32_e32 v60, 64, v60
	s_waitcnt lgkmcnt(0)
	ds_write_b32 v0, v0
	s_trap 2
.LBB2_1688:                             ;   in Loop: Header=BB2_1673 Depth=1
	s_or_b64 exec, exec, s[18:19]
.LBB2_1689:                             ;   in Loop: Header=BB2_1673 Depth=1
	s_or_b64 exec, exec, s[22:23]
	v_and_b32_e32 v0, 0x100, v60
	v_cmp_ne_u32_e32 vcc, 0, v0
	v_and_b32_e32 v0, 7, v8
	s_mov_b64 s[18:19], -1
	;;#ASMSTART
	s_wakeup
	;;#ASMEND
                                        ; implicit-def: $vgpr8_vgpr9
	s_and_saveexec_b64 s[22:23], vcc
	s_cbranch_execz .LBB2_1693
; %bb.1690:                             ;   in Loop: Header=BB2_1673 Depth=1
	v_mad_u64_u32 v[12:13], s[18:19], v0, 24, v[6:7]
                                        ; implicit-def: $vgpr8_vgpr9
	flat_load_dword v1, v[12:13]
	s_waitcnt vmcnt(0) lgkmcnt(0)
	v_cmp_ne_u32_e32 vcc, 1, v1
	v_cmp_eq_u32_e64 s[18:19], 1, v1
	s_and_saveexec_b64 s[76:77], s[18:19]
	s_cbranch_execz .LBB2_1692
; %bb.1691:                             ;   in Loop: Header=BB2_1673 Depth=1
	flat_load_dword v8, v[12:13] offset:4 glc
	s_waitcnt vmcnt(0) lgkmcnt(0)
	v_ashrrev_i32_e32 v9, 31, v8
.LBB2_1692:                             ;   in Loop: Header=BB2_1673 Depth=1
	s_or_b64 exec, exec, s[76:77]
	s_orn2_b64 s[18:19], vcc, exec
.LBB2_1693:                             ;   in Loop: Header=BB2_1673 Depth=1
	s_or_b64 exec, exec, s[22:23]
	s_and_saveexec_b64 s[22:23], s[18:19]
; %bb.1694:                             ;   in Loop: Header=BB2_1673 Depth=1
	v_mad_i64_i32 v[8:9], s[18:19], v0, v40, 0
; %bb.1695:                             ;   in Loop: Header=BB2_1673 Depth=1
	s_or_b64 exec, exec, s[22:23]
	buffer_load_dword v0, off, s[0:3], s33 offset:68 ; 4-byte Folded Reload
	buffer_load_dword v1, off, s[0:3], s33 offset:72 ; 4-byte Folded Reload
	s_waitcnt vmcnt(0)
	v_add_co_u32_e32 v0, vcc, v0, v8
	v_addc_co_u32_e32 v1, vcc, v1, v9, vcc
	ds_write_b64 v0, v[0:1] offset:728
	v_and_b32_e32 v0, 0x2000, v60
	v_cmp_ne_u32_e32 vcc, 0, v0
	s_and_saveexec_b64 s[18:19], vcc
	s_cbranch_execz .LBB2_1697
; %bb.1696:                             ;   in Loop: Header=BB2_1673 Depth=1
	ds_read_b64 v[0:1], v0 offset:872
	s_waitcnt lgkmcnt(0)
	v_add_co_u32_e32 v0, vcc, 1, v0
	v_addc_co_u32_e32 v1, vcc, 0, v1, vcc
	ds_write_b64 v0, v[0:1] offset:872
.LBB2_1697:                             ;   in Loop: Header=BB2_1673 Depth=1
	s_or_b64 exec, exec, s[18:19]
	v_mov_b32_e32 v8, v10
	v_mov_b32_e32 v9, v11
.LBB2_1698:                             ;   in Loop: Header=BB2_1673 Depth=1
	s_or_b64 exec, exec, s[20:21]
	s_and_saveexec_b64 s[18:19], s[10:11]
	s_cbranch_execz .LBB2_1717
; %bb.1699:                             ;   in Loop: Header=BB2_1673 Depth=1
	s_and_saveexec_b64 s[20:21], s[42:43]
	s_xor_b64 s[20:21], exec, s[20:21]
	s_cbranch_execz .LBB2_1714
; %bb.1700:                             ;   in Loop: Header=BB2_1673 Depth=1
	s_and_saveexec_b64 s[22:23], s[12:13]
	s_cbranch_execz .LBB2_1713
; %bb.1701:                             ;   in Loop: Header=BB2_1673 Depth=1
	s_mov_b64 s[78:79], exec
	v_mbcnt_lo_u32_b32 v0, s78, 0
	v_mbcnt_hi_u32_b32 v0, s79, v0
	v_cmp_eq_u32_e32 vcc, 0, v0
	s_waitcnt vmcnt(0) lgkmcnt(0)
	buffer_wbinvl1_vol
	s_and_saveexec_b64 s[76:77], vcc
	s_cbranch_execz .LBB2_1703
; %bb.1702:                             ;   in Loop: Header=BB2_1673 Depth=1
	s_bcnt1_i32_b64 s78, s[78:79]
	v_mov_b32_e32 v2, s78
	ds_add_u64 v0, v[2:3]
	s_trap 2
.LBB2_1703:                             ;   in Loop: Header=BB2_1673 Depth=1
	s_or_b64 exec, exec, s[76:77]
	s_trap 2
	ds_read_b64 v[0:1], v0
	s_waitcnt lgkmcnt(0)
	v_add_co_u32_e32 v26, vcc, v26, v62
	v_addc_co_u32_e32 v27, vcc, 0, v27, vcc
	v_cmp_lt_u64_e32 vcc, v[0:1], v[26:27]
	s_and_saveexec_b64 s[76:77], vcc
	s_cbranch_execz .LBB2_1712
; %bb.1704:                             ;   in Loop: Header=BB2_1673 Depth=1
	s_mov_b32 s30, 0
	s_mov_b64 s[78:79], 0
                                        ; implicit-def: $sgpr88_sgpr89
                                        ; implicit-def: $sgpr90_sgpr91
	s_branch .LBB2_1706
.LBB2_1705:                             ;   in Loop: Header=BB2_1706 Depth=2
	s_or_b64 exec, exec, s[94:95]
	s_and_b64 s[92:93], exec, vcc
	s_or_b64 s[78:79], s[92:93], s[78:79]
	s_andn2_b64 s[88:89], s[88:89], exec
	s_and_b64 s[92:93], s[90:91], exec
	s_or_b64 s[88:89], s[88:89], s[92:93]
	s_andn2_b64 exec, exec, s[78:79]
	s_cbranch_execz .LBB2_1710
.LBB2_1706:                             ;   Parent Loop BB2_1673 Depth=1
                                        ; =>  This Inner Loop Header: Depth=2
	s_add_i32 s30, s30, 1
	s_cmpk_lg_i32 s30, 0x2710
	s_cselect_b64 s[92:93], -1, 0
	s_and_b64 vcc, exec, s[92:93]
	s_cbranch_vccz .LBB2_1708
; %bb.1707:                             ;   in Loop: Header=BB2_1706 Depth=2
	s_mov_b64 vcc, -1
	s_or_b64 s[90:91], s[90:91], exec
	s_and_saveexec_b64 s[94:95], s[92:93]
	s_cbranch_execz .LBB2_1705
	s_branch .LBB2_1709
.LBB2_1708:                             ;   in Loop: Header=BB2_1706 Depth=2
	s_trap 2
	ds_read_b64 v[0:1], v0
	s_andn2_b64 s[92:93], s[92:93], exec
	s_mov_b32 s30, 0
	s_waitcnt lgkmcnt(0)
	flat_load_dword v0, v[0:1] glc
	s_waitcnt vmcnt(0) lgkmcnt(0)
	buffer_wbinvl1_vol
	v_cmp_eq_u32_e32 vcc, 0, v0
	s_and_b64 s[94:95], vcc, exec
	s_or_b64 s[92:93], s[92:93], s[94:95]
	s_mov_b64 vcc, -1
	s_or_b64 s[90:91], s[90:91], exec
	s_and_saveexec_b64 s[94:95], s[92:93]
	s_cbranch_execz .LBB2_1705
.LBB2_1709:                             ;   in Loop: Header=BB2_1706 Depth=2
	s_sleep 1
	s_trap 2
	ds_read_b64 v[0:1], v0
	s_waitcnt lgkmcnt(0)
	s_andn2_b64 s[90:91], s[90:91], exec
	v_cmp_ge_u64_e32 vcc, v[0:1], v[26:27]
	s_orn2_b64 vcc, vcc, exec
	s_branch .LBB2_1705
.LBB2_1710:                             ;   in Loop: Header=BB2_1673 Depth=1
	s_or_b64 exec, exec, s[78:79]
	s_and_saveexec_b64 s[78:79], s[88:89]
	s_xor_b64 s[78:79], exec, s[78:79]
	s_cbranch_execz .LBB2_1712
; %bb.1711:                             ;   in Loop: Header=BB2_1673 Depth=1
	v_mov_b32_e32 v0, 1
	ds_write_b32 v0, v0
	s_trap 2
.LBB2_1712:                             ;   in Loop: Header=BB2_1673 Depth=1
	s_or_b64 exec, exec, s[76:77]
	;;#ASMSTART
	s_wakeup
	;;#ASMEND
.LBB2_1713:                             ;   in Loop: Header=BB2_1673 Depth=1
	s_or_b64 exec, exec, s[22:23]
.LBB2_1714:                             ;   in Loop: Header=BB2_1673 Depth=1
	s_andn2_saveexec_b64 s[20:21], s[20:21]
	s_cbranch_execz .LBB2_1716
; %bb.1715:                             ;   in Loop: Header=BB2_1673 Depth=1
	s_waitcnt vmcnt(0) lgkmcnt(0)
	buffer_wbinvl1_vol
	s_barrier
.LBB2_1716:                             ;   in Loop: Header=BB2_1673 Depth=1
	s_or_b64 exec, exec, s[20:21]
.LBB2_1717:                             ;   in Loop: Header=BB2_1673 Depth=1
	s_or_b64 exec, exec, s[18:19]
	s_trap 2
	ds_read_b32 v0, v0
	v_and_b32_e32 v1, 0x4000, v60
	v_cmp_ne_u32_e32 vcc, 0, v1
	s_and_b64 s[20:21], s[46:47], vcc
	s_and_saveexec_b64 s[18:19], s[20:21]
	s_cbranch_execz .LBB2_1736
; %bb.1718:                             ;   in Loop: Header=BB2_1673 Depth=1
	s_and_saveexec_b64 s[20:21], s[42:43]
	s_xor_b64 s[20:21], exec, s[20:21]
	s_cbranch_execz .LBB2_1733
; %bb.1719:                             ;   in Loop: Header=BB2_1673 Depth=1
	s_and_saveexec_b64 s[22:23], s[12:13]
	s_cbranch_execz .LBB2_1732
; %bb.1720:                             ;   in Loop: Header=BB2_1673 Depth=1
	s_mov_b64 s[78:79], exec
	v_mbcnt_lo_u32_b32 v1, s78, 0
	v_mbcnt_hi_u32_b32 v1, s79, v1
	v_cmp_eq_u32_e32 vcc, 0, v1
	s_waitcnt vmcnt(0) lgkmcnt(0)
	buffer_wbinvl1_vol
	s_and_saveexec_b64 s[76:77], vcc
	s_cbranch_execz .LBB2_1722
; %bb.1721:                             ;   in Loop: Header=BB2_1673 Depth=1
	s_bcnt1_i32_b64 s78, s[78:79]
	v_mov_b32_e32 v2, s78
	ds_add_u64 v0, v[2:3]
	s_trap 2
.LBB2_1722:                             ;   in Loop: Header=BB2_1673 Depth=1
	s_or_b64 exec, exec, s[76:77]
	s_trap 2
	ds_read_b64 v[10:11], v0
	s_waitcnt lgkmcnt(0)
	v_add_co_u32_e32 v26, vcc, v26, v62
	v_addc_co_u32_e32 v27, vcc, 0, v27, vcc
	v_cmp_lt_u64_e32 vcc, v[10:11], v[26:27]
	s_and_saveexec_b64 s[76:77], vcc
	s_cbranch_execz .LBB2_1731
; %bb.1723:                             ;   in Loop: Header=BB2_1673 Depth=1
	s_mov_b32 s30, 0
	s_mov_b64 s[78:79], 0
                                        ; implicit-def: $sgpr88_sgpr89
                                        ; implicit-def: $sgpr90_sgpr91
	s_branch .LBB2_1725
.LBB2_1724:                             ;   in Loop: Header=BB2_1725 Depth=2
	s_or_b64 exec, exec, s[94:95]
	s_and_b64 s[92:93], exec, vcc
	s_or_b64 s[78:79], s[92:93], s[78:79]
	s_andn2_b64 s[88:89], s[88:89], exec
	s_and_b64 s[92:93], s[90:91], exec
	s_or_b64 s[88:89], s[88:89], s[92:93]
	s_andn2_b64 exec, exec, s[78:79]
	s_cbranch_execz .LBB2_1729
.LBB2_1725:                             ;   Parent Loop BB2_1673 Depth=1
                                        ; =>  This Inner Loop Header: Depth=2
	s_add_i32 s30, s30, 1
	s_cmpk_lg_i32 s30, 0x2710
	s_cselect_b64 s[92:93], -1, 0
	s_and_b64 vcc, exec, s[92:93]
	s_cbranch_vccz .LBB2_1727
; %bb.1726:                             ;   in Loop: Header=BB2_1725 Depth=2
	s_mov_b64 vcc, -1
	s_or_b64 s[90:91], s[90:91], exec
	s_and_saveexec_b64 s[94:95], s[92:93]
	s_cbranch_execz .LBB2_1724
	s_branch .LBB2_1728
.LBB2_1727:                             ;   in Loop: Header=BB2_1725 Depth=2
	s_trap 2
	ds_read_b64 v[10:11], v0
	s_andn2_b64 s[92:93], s[92:93], exec
	s_mov_b32 s30, 0
	s_waitcnt lgkmcnt(0)
	flat_load_dword v1, v[10:11] glc
	s_waitcnt vmcnt(0) lgkmcnt(0)
	buffer_wbinvl1_vol
	v_cmp_eq_u32_e32 vcc, 0, v1
	s_and_b64 s[94:95], vcc, exec
	s_or_b64 s[92:93], s[92:93], s[94:95]
	s_mov_b64 vcc, -1
	s_or_b64 s[90:91], s[90:91], exec
	s_and_saveexec_b64 s[94:95], s[92:93]
	s_cbranch_execz .LBB2_1724
.LBB2_1728:                             ;   in Loop: Header=BB2_1725 Depth=2
	s_sleep 1
	s_trap 2
	ds_read_b64 v[10:11], v0
	s_waitcnt lgkmcnt(0)
	s_andn2_b64 s[90:91], s[90:91], exec
	v_cmp_ge_u64_e32 vcc, v[10:11], v[26:27]
	s_orn2_b64 vcc, vcc, exec
	s_branch .LBB2_1724
.LBB2_1729:                             ;   in Loop: Header=BB2_1673 Depth=1
	s_or_b64 exec, exec, s[78:79]
	s_and_saveexec_b64 s[78:79], s[88:89]
	s_xor_b64 s[78:79], exec, s[78:79]
	s_cbranch_execz .LBB2_1731
; %bb.1730:                             ;   in Loop: Header=BB2_1673 Depth=1
	v_mov_b32_e32 v1, 1
	ds_write_b32 v0, v1
	s_trap 2
.LBB2_1731:                             ;   in Loop: Header=BB2_1673 Depth=1
	s_or_b64 exec, exec, s[76:77]
	;;#ASMSTART
	s_wakeup
	;;#ASMEND
.LBB2_1732:                             ;   in Loop: Header=BB2_1673 Depth=1
	s_or_b64 exec, exec, s[22:23]
.LBB2_1733:                             ;   in Loop: Header=BB2_1673 Depth=1
	s_andn2_saveexec_b64 s[20:21], s[20:21]
	s_cbranch_execz .LBB2_1735
; %bb.1734:                             ;   in Loop: Header=BB2_1673 Depth=1
	s_waitcnt vmcnt(0) lgkmcnt(0)
	buffer_wbinvl1_vol
	s_barrier
.LBB2_1735:                             ;   in Loop: Header=BB2_1673 Depth=1
	s_or_b64 exec, exec, s[20:21]
.LBB2_1736:                             ;   in Loop: Header=BB2_1673 Depth=1
	s_or_b64 exec, exec, s[18:19]
	s_trap 2
	s_waitcnt lgkmcnt(0)
	ds_read_b64 v[16:17], v0
	v_min_u32_e32 v35, v35, v38
	s_waitcnt lgkmcnt(0)
	v_cmp_eq_u64_e32 vcc, 0, v[16:17]
	s_cbranch_vccnz .LBB2_1744
; %bb.1737:                             ;   in Loop: Header=BB2_1673 Depth=1
	s_trap 2
	ds_read_b64 v[14:15], v0
	s_waitcnt lgkmcnt(0)
	v_cmp_eq_u64_e32 vcc, 0, v[14:15]
	s_cbranch_vccnz .LBB2_1744
; %bb.1738:                             ;   in Loop: Header=BB2_1673 Depth=1
	s_mov_b64 s[18:19], -1
	s_and_saveexec_b64 s[20:21], s[14:15]
	s_cbranch_execz .LBB2_1740
; %bb.1739:                             ;   in Loop: Header=BB2_1673 Depth=1
	ds_read_b32 v1, v0 offset:720
	s_waitcnt lgkmcnt(0)
	v_and_b32_e32 v1, 15, v1
	v_cmp_eq_u32_e32 vcc, 0, v1
	s_orn2_b64 s[18:19], vcc, exec
.LBB2_1740:                             ;   in Loop: Header=BB2_1673 Depth=1
	s_or_b64 exec, exec, s[20:21]
	s_and_saveexec_b64 s[20:21], s[16:17]
	s_cbranch_execz .LBB2_1742
; %bb.1741:                             ;   in Loop: Header=BB2_1673 Depth=1
	ds_read_b32 v1, v0 offset:784
	s_waitcnt lgkmcnt(0)
	v_and_b32_e32 v1, 15, v1
	v_cmp_eq_u32_e32 vcc, 0, v1
	s_and_b64 s[22:23], s[18:19], vcc
	s_andn2_b64 s[18:19], s[18:19], exec
	s_and_b64 s[22:23], s[22:23], exec
	s_or_b64 s[18:19], s[18:19], s[22:23]
.LBB2_1742:                             ;   in Loop: Header=BB2_1673 Depth=1
	s_or_b64 exec, exec, s[20:21]
	buffer_load_dword v1, off, s[0:3], s33 offset:84 ; 4-byte Folded Reload
	v_cmp_eq_u32_e32 vcc, 0, v0
	s_xor_b64 s[18:19], s[18:19], -1
	v_cndmask_b32_e32 v39, 0, v35, vcc
	v_cndmask_b32_e64 v0, 0, 1, s[18:19]
	s_mov_b64 s[76:77], -1
	v_cmp_ne_u32_e32 vcc, 0, v0
	v_mov_b32_e32 v10, 0
	v_mov_b32_e32 v2, v39
	s_cbranch_vccz .LBB2_1745
; %bb.1743:                             ;   in Loop: Header=BB2_1673 Depth=1
	buffer_store_dword v10, off, s[0:3], s33 offset:88 ; 4-byte Folded Spill
	s_and_saveexec_b64 s[20:21], s[76:77]
	s_cbranch_execnz .LBB2_2844
	s_branch .LBB2_3212
.LBB2_1744:                             ;   in Loop: Header=BB2_1673 Depth=1
	s_mov_b64 s[18:19], 0
	s_and_saveexec_b64 s[20:21], s[10:11]
	s_cbranch_execnz .LBB2_3213
	s_branch .LBB2_3231
.LBB2_1745:                             ;   in Loop: Header=BB2_1673 Depth=1
	buffer_load_dword v0, off, s[0:3], s33 offset:124 ; 4-byte Folded Reload
	buffer_load_dword v1, off, s[0:3], s33 offset:168 ; 4-byte Folded Reload
	v_and_b32_e32 v2, 0x3ff, v39
	v_cmp_lt_u32_e32 vcc, 15, v2
	s_waitcnt vmcnt(1)
	v_sub_u32_e32 v46, v39, v0
	v_lshrrev_b32_e32 v0, 10, v39
	s_waitcnt vmcnt(0)
	v_addc_co_u32_e64 v45, s[18:19], v0, v1, vcc
	v_cmp_lt_i32_e64 s[18:19], 15, v46
	s_and_saveexec_b64 s[76:77], s[18:19]
	s_cbranch_execz .LBB2_2293
; %bb.1746:                             ;   in Loop: Header=BB2_1673 Depth=1
	buffer_store_dword v2, off, s[0:3], s33 offset:88 ; 4-byte Folded Spill
	buffer_store_dword v39, off, s[0:3], s33 offset:112 ; 4-byte Folded Spill
	buffer_store_dword v35, off, s[0:3], s33 offset:108 ; 4-byte Folded Spill
	s_trap 2
	buffer_load_dword v2, off, s[0:3], s33 offset:124 ; 4-byte Folded Reload
	buffer_load_dword v10, off, s[0:3], s33 offset:176 ; 4-byte Folded Reload
	ds_read_b64 v[0:1], v0
	s_mov_b64 s[78:79], 0
	s_waitcnt vmcnt(1)
	v_add_co_u32_e64 v52, s[18:19], v16, v2
	buffer_store_dword v16, off, s[0:3], s33 offset:160 ; 4-byte Folded Spill
	s_nop 0
	buffer_store_dword v17, off, s[0:3], s33 offset:164 ; 4-byte Folded Spill
	s_waitcnt vmcnt(2)
	v_addc_co_u32_e64 v53, s[18:19], v17, v10, s[18:19]
	s_waitcnt lgkmcnt(0)
	v_add_co_u32_e64 v54, s[18:19], v0, v2
	v_addc_co_u32_e64 v55, s[18:19], v1, v10, s[18:19]
	v_add_co_u32_e64 v39, s[18:19], v14, v2
	buffer_store_dword v14, off, s[0:3], s33 offset:132 ; 4-byte Folded Spill
	s_nop 0
	buffer_store_dword v15, off, s[0:3], s33 offset:136 ; 4-byte Folded Spill
	v_addc_co_u32_e64 v40, s[18:19], v15, v10, s[18:19]
	s_branch .LBB2_1749
.LBB2_1747:                             ;   in Loop: Header=BB2_1749 Depth=2
	s_or_b64 exec, exec, s[22:23]
.LBB2_1748:                             ;   in Loop: Header=BB2_1749 Depth=2
	s_or_b64 exec, exec, s[20:21]
	v_lshl_or_b32 v2, v21, 8, v44
	v_lshlrev_b32_e32 v11, 16, v43
	v_lshlrev_b32_e32 v12, 24, v30
	v_or3_b32 v12, v2, v11, v12
	v_lshl_or_b32 v1, v1, 8, v47
	v_lshlrev_b32_e32 v2, 16, v48
	v_lshlrev_b32_e32 v11, 24, v49
	v_or3_b32 v11, v1, v2, v11
	;; [unrolled: 4-line block ×3, first 2 shown]
	v_lshlrev_b32_e32 v0, 24, v10
	v_lshlrev_b32_e32 v1, 16, v14
	v_lshl_or_b32 v2, v41, 8, v25
	v_or3_b32 v14, v2, v1, v0
	buffer_load_dword v0, off, s[0:3], s33 offset:60 ; 4-byte Folded Reload
	v_sub_u32_e32 v45, v45, v62
	global_store_dwordx4 v[39:40], v[11:14], off glc slc
	s_waitcnt vmcnt(1)
	v_add_co_u32_e64 v52, s[18:19], v52, v0
	v_addc_co_u32_e64 v53, s[18:19], 0, v53, s[18:19]
	v_add_co_u32_e64 v54, s[18:19], v54, v0
	v_addc_co_u32_e64 v55, s[18:19], 0, v55, s[18:19]
	;; [unrolled: 2-line block ×3, first 2 shown]
	v_sub_u32_e32 v46, v46, v0
	v_cmp_gt_i32_e64 s[18:19], 16, v46
	s_or_b64 s[78:79], s[18:19], s[78:79]
	s_andn2_b64 exec, exec, s[78:79]
	s_cbranch_execz .LBB2_2292
.LBB2_1749:                             ;   Parent Loop BB2_1673 Depth=1
                                        ; =>  This Inner Loop Header: Depth=2
	global_load_dwordx4 v[14:17], v[52:53], off glc slc
	global_load_dwordx4 v[10:13], v[54:55], off glc slc
	v_mov_b32_e32 v0, 0
	s_waitcnt vmcnt(1)
	v_cmp_ne_u16_sdwa s[18:19], v14, v3 src0_sel:BYTE_0 src1_sel:DWORD
	s_and_saveexec_b64 s[20:21], s[18:19]
	s_cbranch_execz .LBB2_1757
; %bb.1750:                             ;   in Loop: Header=BB2_1749 Depth=2
	v_cmp_ne_u16_sdwa s[18:19], sext(v14), s49 src0_sel:BYTE_0 src1_sel:DWORD
	v_bfrev_b32_e32 v0, 1
	s_and_saveexec_b64 s[22:23], s[18:19]
	s_cbranch_execz .LBB2_1756
; %bb.1751:                             ;   in Loop: Header=BB2_1749 Depth=2
	v_and_b32_e32 v0, 0x7c, v14
	v_and_b32_e32 v1, 3, v14
	v_cmp_ne_u32_e64 s[18:19], s50, v0
                                        ; implicit-def: $vgpr0
	s_and_saveexec_b64 s[88:89], s[18:19]
	s_xor_b64 s[88:89], exec, s[88:89]
	s_cbranch_execz .LBB2_1753
; %bb.1752:                             ;   in Loop: Header=BB2_1749 Depth=2
	v_ffbh_u32_e32 v2, v1
	v_min_u32_e32 v2, 32, v2
	v_bfe_u32 v0, v14, 2, 5
	v_subrev_u32_e32 v20, 29, v2
	v_lshlrev_b64 v[20:21], v20, v[14:15]
	v_sub_u32_e32 v2, 30, v2
	v_cmp_eq_u32_e64 s[18:19], 0, v0
	v_cndmask_b32_e64 v0, v0, v2, s[18:19]
	v_lshlrev_b32_e32 v2, 24, v14
	v_and_b32_e32 v20, 3, v20
	v_and_b32_e32 v2, 0x80000000, v2
	v_cndmask_b32_e64 v1, v1, v20, s[18:19]
	v_lshl_add_u32 v0, v0, 23, v2
	v_lshl_or_b32 v0, v1, 21, v0
	v_add_u32_e32 v0, 0x38000000, v0
                                        ; implicit-def: $vgpr1
.LBB2_1753:                             ;   in Loop: Header=BB2_1749 Depth=2
	s_andn2_saveexec_b64 s[88:89], s[88:89]
; %bb.1754:                             ;   in Loop: Header=BB2_1749 Depth=2
	v_cmp_gt_i16_sdwa s[18:19], sext(v14), v56 src0_sel:BYTE_0 src1_sel:DWORD
	v_cndmask_b32_e64 v0, v57, v58, s[18:19]
	v_cmp_eq_u32_e64 s[18:19], 0, v1
	v_cndmask_b32_e64 v0, v59, v0, s[18:19]
; %bb.1755:                             ;   in Loop: Header=BB2_1749 Depth=2
	s_or_b64 exec, exec, s[88:89]
.LBB2_1756:                             ;   in Loop: Header=BB2_1749 Depth=2
	s_or_b64 exec, exec, s[22:23]
.LBB2_1757:                             ;   in Loop: Header=BB2_1749 Depth=2
	s_or_b64 exec, exec, s[20:21]
	s_waitcnt vmcnt(0)
	v_cmp_gt_i16_sdwa s[20:21], v10, s52 src0_sel:BYTE_0 src1_sel:DWORD
	s_mov_b64 s[18:19], 0
	s_and_saveexec_b64 s[22:23], s[20:21]
	s_xor_b64 s[20:21], exec, s[22:23]
	s_cbranch_execz .LBB2_2272
; %bb.1758:                             ;   in Loop: Header=BB2_1749 Depth=2
	v_cmp_eq_u16_sdwa s[88:89], v10, s53 src0_sel:BYTE_0 src1_sel:DWORD
	s_mov_b64 s[18:19], -1
	s_and_saveexec_b64 s[22:23], s[88:89]
; %bb.1759:                             ;   in Loop: Header=BB2_1749 Depth=2
	s_xor_b64 s[18:19], exec, -1
; %bb.1760:                             ;   in Loop: Header=BB2_1749 Depth=2
	s_or_b64 exec, exec, s[22:23]
	s_and_b64 s[18:19], s[18:19], exec
	s_or_saveexec_b64 s[20:21], s[20:21]
	v_bfrev_b32_e32 v1, 1
	s_xor_b64 exec, exec, s[20:21]
	s_cbranch_execnz .LBB2_2273
.LBB2_1761:                             ;   in Loop: Header=BB2_1749 Depth=2
	s_or_b64 exec, exec, s[20:21]
	s_and_saveexec_b64 s[88:89], s[18:19]
	s_cbranch_execz .LBB2_1763
.LBB2_1762:                             ;   in Loop: Header=BB2_1749 Depth=2
	v_and_b32_e32 v1, 3, v10
	v_and_b32_e32 v20, 0x7c, v10
	v_cmp_eq_u32_e64 s[18:19], s50, v20
	v_ffbh_u32_e32 v20, v1
	v_min_u32_e32 v24, 32, v20
	v_subrev_u32_e32 v20, 29, v24
	v_bfe_u32 v2, v10, 2, 5
	v_lshlrev_b64 v[20:21], v20, v[10:11]
	v_cmp_eq_u32_e64 s[20:21], 0, v2
	v_sub_u32_e32 v21, 30, v24
	v_cndmask_b32_e64 v2, v2, v21, s[20:21]
	v_lshlrev_b32_e32 v21, 24, v10
	v_and_b32_e32 v20, 3, v20
	v_and_b32_e32 v21, 0x80000000, v21
	v_cndmask_b32_e64 v20, v1, v20, s[20:21]
	v_lshl_add_u32 v2, v2, 23, v21
	v_cmp_gt_i16_sdwa s[22:23], sext(v10), v56 src0_sel:BYTE_0 src1_sel:DWORD
	v_lshl_or_b32 v2, v20, 21, v2
	v_cmp_eq_u32_e64 s[20:21], 0, v1
	v_cndmask_b32_e64 v1, v57, v58, s[22:23]
	v_add_u32_e32 v2, 0x38000000, v2
	v_cndmask_b32_e64 v1, v59, v1, s[20:21]
	v_cndmask_b32_e64 v1, v2, v1, s[18:19]
.LBB2_1763:                             ;   in Loop: Header=BB2_1749 Depth=2
	s_or_b64 exec, exec, s[88:89]
	v_mul_f32_e32 v1, v0, v1
	v_and_b32_e32 v20, 0x7f800000, v1
	v_mov_b32_e32 v21, v3
	v_cmp_ne_u64_e64 s[18:19], s[58:59], v[20:21]
	v_and_b32_e32 v2, 0x7fffff, v1
                                        ; implicit-def: $vgpr47
	s_and_saveexec_b64 s[20:21], s[18:19]
	s_xor_b64 s[22:23], exec, s[20:21]
	s_cbranch_execz .LBB2_1777
; %bb.1764:                             ;   in Loop: Header=BB2_1749 Depth=2
	v_and_b32_e32 v20, 0x7fffffff, v1
	v_mov_b32_e32 v21, v3
	v_cmp_gt_u64_e64 s[18:19], s[60:61], v[20:21]
	v_and_b32_sdwa v0, v1, s53 dst_sel:DWORD dst_unused:UNUSED_PAD src0_sel:BYTE_3 src1_sel:DWORD
                                        ; implicit-def: $vgpr47
	s_and_saveexec_b64 s[20:21], s[18:19]
	s_xor_b64 s[88:89], exec, s[20:21]
	s_cbranch_execz .LBB2_1774
; %bb.1765:                             ;   in Loop: Header=BB2_1749 Depth=2
	v_mov_b32_e32 v47, 0
	v_cmp_ne_u32_e64 s[18:19], 0, v1
	s_and_saveexec_b64 s[90:91], s[18:19]
	s_cbranch_execz .LBB2_1773
; %bb.1766:                             ;   in Loop: Header=BB2_1749 Depth=2
	v_bfe_u32 v1, v1, 23, 8
	v_cmp_gt_u32_e64 s[20:21], s54, v1
	v_sub_u32_e32 v20, 0x71, v1
	v_cmp_eq_u32_e64 s[18:19], 0, v1
	v_cndmask_b32_e64 v20, 0, v20, s[20:21]
	v_mov_b32_e32 v24, 0x70
	v_or_b32_e32 v21, 0x800000, v2
	v_cndmask_b32_e64 v20, v20, v24, s[18:19]
	v_cndmask_b32_e64 v2, v21, v2, s[18:19]
	v_add_u32_e32 v21, 21, v20
	v_lshlrev_b64 v[24:25], v21, -1
	v_add_u32_e32 v21, 20, v20
	v_lshlrev_b64 v[48:49], v21, 1
	v_lshrrev_b64 v[41:42], v20, v[2:3]
	v_bfi_b32 v25, v25, 0, 0
	v_bfi_b32 v24, v24, 0, v2
	v_cmp_eq_u64_e64 s[20:21], v[24:25], v[48:49]
	v_mov_b32_e32 v43, v42
	v_mov_b32_e32 v42, v41
	s_and_saveexec_b64 s[92:93], s[20:21]
; %bb.1767:                             ;   in Loop: Header=BB2_1749 Depth=2
	v_bfe_u32 v2, v41, 21, 1
	v_add_co_u32_e64 v2, s[20:21], v41, v2
	v_add_co_u32_e64 v42, s[20:21], -1, v2
; %bb.1768:                             ;   in Loop: Header=BB2_1749 Depth=2
	s_or_b64 exec, exec, s[92:93]
	v_add_u32_e32 v1, 0xffffff81, v1
	v_cndmask_b32_e64 v1, v1, v61, s[18:19]
	v_lshrrev_b32_e32 v2, 23, v41
	v_add3_u32 v21, v20, v1, v2
	v_add_u32_e32 v20, 14, v21
	v_and_b32_e32 v1, 0x1fffff, v42
	v_add_u32_e32 v2, v1, v41
	v_cmp_ne_u32_e64 s[18:19], 0, v20
                                        ; implicit-def: $vgpr41_vgpr42
                                        ; implicit-def: $vgpr1
	s_and_saveexec_b64 s[20:21], s[18:19]
	s_xor_b64 s[20:21], exec, s[20:21]
; %bb.1769:                             ;   in Loop: Header=BB2_1749 Depth=2
	v_cmp_lt_u64_e64 s[18:19], s[62:63], v[2:3]
	v_add_u32_e32 v1, 15, v21
	v_cndmask_b32_e64 v1, v20, v1, s[18:19]
	v_cndmask_b32_e64 v20, 0, 1, s[18:19]
	v_lshrrev_b64 v[41:42], v20, v[2:3]
; %bb.1770:                             ;   in Loop: Header=BB2_1749 Depth=2
	s_andn2_saveexec_b64 s[18:19], s[20:21]
; %bb.1771:                             ;   in Loop: Header=BB2_1749 Depth=2
	v_mov_b32_e32 v42, v3
	v_bfe_u32 v1, v2, 23, 1
	v_mov_b32_e32 v41, v2
; %bb.1772:                             ;   in Loop: Header=BB2_1749 Depth=2
	s_or_b64 exec, exec, s[18:19]
	v_lshrrev_b64 v[20:21], 21, v[41:42]
	v_cmp_gt_i32_e64 s[18:19], 32, v1
	v_cndmask_b32_e64 v21, 0, v21, s[18:19]
	v_cndmask_b32_e64 v20, 3, v20, s[18:19]
	v_cmp_eq_u32_e64 s[18:19], 0, v1
	v_min_i32_e32 v1, 31, v1
	v_cmp_eq_u64_e64 s[20:21], 0, v[20:21]
	v_lshlrev_b32_e32 v1, 2, v1
	v_and_b32_e32 v1, 0xfc, v1
	v_and_or_b32 v1, v20, 3, v1
	s_and_b64 s[18:19], s[18:19], s[20:21]
	v_cndmask_b32_e64 v1, v1, 0, s[18:19]
	v_or_b32_e32 v47, v1, v0
.LBB2_1773:                             ;   in Loop: Header=BB2_1749 Depth=2
	s_or_b64 exec, exec, s[90:91]
                                        ; implicit-def: $vgpr0
.LBB2_1774:                             ;   in Loop: Header=BB2_1749 Depth=2
	s_andn2_saveexec_b64 s[18:19], s[88:89]
; %bb.1775:                             ;   in Loop: Header=BB2_1749 Depth=2
	v_or_b32_e32 v47, 0x7b, v0
; %bb.1776:                             ;   in Loop: Header=BB2_1749 Depth=2
	s_or_b64 exec, exec, s[18:19]
                                        ; implicit-def: $vgpr1
.LBB2_1777:                             ;   in Loop: Header=BB2_1749 Depth=2
	s_andn2_saveexec_b64 s[20:21], s[22:23]
	s_cbranch_execz .LBB2_1783
; %bb.1778:                             ;   in Loop: Header=BB2_1749 Depth=2
	v_cmp_ne_u64_e64 s[18:19], 0, v[2:3]
                                        ; implicit-def: $vgpr47
	s_and_saveexec_b64 s[22:23], s[18:19]
	s_xor_b64 s[18:19], exec, s[22:23]
; %bb.1779:                             ;   in Loop: Header=BB2_1749 Depth=2
	v_or_b32_sdwa v47, v1, s52 dst_sel:DWORD dst_unused:UNUSED_PAD src0_sel:BYTE_3 src1_sel:DWORD
                                        ; implicit-def: $vgpr1
; %bb.1780:                             ;   in Loop: Header=BB2_1749 Depth=2
	s_andn2_saveexec_b64 s[22:23], s[18:19]
; %bb.1781:                             ;   in Loop: Header=BB2_1749 Depth=2
	v_cmp_lt_i32_e64 s[18:19], -1, v1
	v_cndmask_b32_e64 v47, v31, v18, s[18:19]
; %bb.1782:                             ;   in Loop: Header=BB2_1749 Depth=2
	s_or_b64 exec, exec, s[22:23]
.LBB2_1783:                             ;   in Loop: Header=BB2_1749 Depth=2
	s_or_b64 exec, exec, s[20:21]
	v_lshrrev_b16_e32 v2, 8, v14
	v_cmp_ne_u16_e64 s[18:19], 0, v2
	v_mov_b32_e32 v0, 0
	s_and_saveexec_b64 s[20:21], s[18:19]
	s_cbranch_execz .LBB2_1791
; %bb.1784:                             ;   in Loop: Header=BB2_1749 Depth=2
	v_cmp_ne_u16_e64 s[18:19], s53, v2
	v_bfrev_b32_e32 v0, 1
	s_and_saveexec_b64 s[22:23], s[18:19]
	s_cbranch_execz .LBB2_1790
; %bb.1785:                             ;   in Loop: Header=BB2_1749 Depth=2
	v_and_b32_e32 v0, 0x7c, v2
	v_and_b32_e32 v1, 3, v2
	v_cmp_ne_u32_e64 s[18:19], s50, v0
                                        ; implicit-def: $vgpr0
	s_and_saveexec_b64 s[88:89], s[18:19]
	s_xor_b64 s[88:89], exec, s[88:89]
	s_cbranch_execz .LBB2_1787
; %bb.1786:                             ;   in Loop: Header=BB2_1749 Depth=2
	v_ffbh_u32_e32 v20, v1
	v_min_u32_e32 v24, 32, v20
	v_bfe_u32 v0, v2, 2, 5
	v_subrev_u32_e32 v20, 29, v24
	v_lshlrev_b64 v[20:21], v20, v[2:3]
	v_sub_u32_e32 v2, 30, v24
	v_cmp_eq_u32_e64 s[18:19], 0, v0
	v_cndmask_b32_e64 v0, v0, v2, s[18:19]
	v_lshlrev_b32_e32 v2, 16, v14
	v_and_b32_e32 v20, 3, v20
	v_and_b32_e32 v2, 0x80000000, v2
	v_cndmask_b32_e64 v1, v1, v20, s[18:19]
	v_lshl_add_u32 v0, v0, 23, v2
	v_lshl_or_b32 v0, v1, 21, v0
	v_add_u32_e32 v0, 0x38000000, v0
                                        ; implicit-def: $vgpr1
.LBB2_1787:                             ;   in Loop: Header=BB2_1749 Depth=2
	s_andn2_saveexec_b64 s[88:89], s[88:89]
; %bb.1788:                             ;   in Loop: Header=BB2_1749 Depth=2
	v_cmp_lt_i16_e64 s[18:19], -1, v14
	v_cndmask_b32_e64 v0, v57, v58, s[18:19]
	v_cmp_eq_u32_e64 s[18:19], 0, v1
	v_cndmask_b32_e64 v0, v59, v0, s[18:19]
; %bb.1789:                             ;   in Loop: Header=BB2_1749 Depth=2
	s_or_b64 exec, exec, s[88:89]
.LBB2_1790:                             ;   in Loop: Header=BB2_1749 Depth=2
	s_or_b64 exec, exec, s[22:23]
.LBB2_1791:                             ;   in Loop: Header=BB2_1749 Depth=2
	s_or_b64 exec, exec, s[20:21]
	v_lshrrev_b16_e32 v2, 8, v10
	v_cmp_lt_i16_e64 s[18:19], s52, v2
	s_mov_b64 s[20:21], 0
	s_and_saveexec_b64 s[22:23], s[18:19]
	s_xor_b64 s[22:23], exec, s[22:23]
	s_cbranch_execz .LBB2_2274
; %bb.1792:                             ;   in Loop: Header=BB2_1749 Depth=2
	v_cmp_eq_u16_e64 s[18:19], s53, v2
	s_mov_b64 s[20:21], -1
	s_and_saveexec_b64 s[88:89], s[18:19]
; %bb.1793:                             ;   in Loop: Header=BB2_1749 Depth=2
	s_xor_b64 s[20:21], exec, -1
; %bb.1794:                             ;   in Loop: Header=BB2_1749 Depth=2
	s_or_b64 exec, exec, s[88:89]
	s_and_b64 s[20:21], s[20:21], exec
	s_or_saveexec_b64 s[22:23], s[22:23]
	v_bfrev_b32_e32 v1, 1
	s_xor_b64 exec, exec, s[22:23]
	s_cbranch_execnz .LBB2_2275
.LBB2_1795:                             ;   in Loop: Header=BB2_1749 Depth=2
	s_or_b64 exec, exec, s[22:23]
	s_and_saveexec_b64 s[88:89], s[20:21]
	s_cbranch_execz .LBB2_1797
.LBB2_1796:                             ;   in Loop: Header=BB2_1749 Depth=2
	v_and_b32_e32 v1, 3, v2
	v_and_b32_e32 v20, 0x7c, v2
	v_cmp_eq_u32_e64 s[18:19], s50, v20
	v_ffbh_u32_e32 v20, v1
	v_min_u32_e32 v25, 32, v20
	v_subrev_u32_e32 v20, 29, v25
	v_bfe_u32 v24, v2, 2, 5
	v_lshlrev_b64 v[20:21], v20, v[2:3]
	v_cmp_eq_u32_e64 s[20:21], 0, v24
	v_sub_u32_e32 v21, 30, v25
	v_lshlrev_b32_e32 v2, 24, v2
	v_and_b32_e32 v20, 3, v20
	v_cndmask_b32_e64 v21, v24, v21, s[20:21]
	v_and_b32_e32 v2, 0x80000000, v2
	v_cndmask_b32_e64 v20, v1, v20, s[20:21]
	v_lshl_add_u32 v2, v21, 23, v2
	v_cmp_lt_i16_e64 s[22:23], -1, v10
	v_lshl_or_b32 v2, v20, 21, v2
	v_cmp_eq_u32_e64 s[20:21], 0, v1
	v_cndmask_b32_e64 v1, v57, v58, s[22:23]
	v_add_u32_e32 v2, 0x38000000, v2
	v_cndmask_b32_e64 v1, v59, v1, s[20:21]
	v_cndmask_b32_e64 v1, v2, v1, s[18:19]
.LBB2_1797:                             ;   in Loop: Header=BB2_1749 Depth=2
	s_or_b64 exec, exec, s[88:89]
	v_mul_f32_e32 v21, v0, v1
	v_and_b32_e32 v0, 0x7f800000, v21
	v_mov_b32_e32 v1, v3
	v_cmp_ne_u64_e64 s[18:19], s[58:59], v[0:1]
	v_and_b32_e32 v2, 0x7fffff, v21
                                        ; implicit-def: $vgpr1
	s_and_saveexec_b64 s[20:21], s[18:19]
	s_xor_b64 s[22:23], exec, s[20:21]
	s_cbranch_execz .LBB2_1811
; %bb.1798:                             ;   in Loop: Header=BB2_1749 Depth=2
	v_and_b32_e32 v0, 0x7fffffff, v21
	v_mov_b32_e32 v1, v3
	v_cmp_gt_u64_e64 s[18:19], s[60:61], v[0:1]
	v_and_b32_sdwa v0, v21, s53 dst_sel:DWORD dst_unused:UNUSED_PAD src0_sel:BYTE_3 src1_sel:DWORD
                                        ; implicit-def: $vgpr1
	s_and_saveexec_b64 s[20:21], s[18:19]
	s_xor_b64 s[88:89], exec, s[20:21]
	s_cbranch_execz .LBB2_1808
; %bb.1799:                             ;   in Loop: Header=BB2_1749 Depth=2
	v_mov_b32_e32 v1, 0
	v_cmp_ne_u32_e64 s[18:19], 0, v21
	s_and_saveexec_b64 s[90:91], s[18:19]
	s_cbranch_execz .LBB2_1807
; %bb.1800:                             ;   in Loop: Header=BB2_1749 Depth=2
	v_bfe_u32 v1, v21, 23, 8
	v_cmp_gt_u32_e64 s[20:21], s54, v1
	v_sub_u32_e32 v20, 0x71, v1
	v_cmp_eq_u32_e64 s[18:19], 0, v1
	v_cndmask_b32_e64 v20, 0, v20, s[20:21]
	v_mov_b32_e32 v24, 0x70
	v_or_b32_e32 v21, 0x800000, v2
	v_cndmask_b32_e64 v20, v20, v24, s[18:19]
	v_cndmask_b32_e64 v2, v21, v2, s[18:19]
	v_add_u32_e32 v21, 21, v20
	v_lshlrev_b64 v[24:25], v21, -1
	v_add_u32_e32 v21, 20, v20
	v_lshlrev_b64 v[48:49], v21, 1
	v_lshrrev_b64 v[41:42], v20, v[2:3]
	v_bfi_b32 v25, v25, 0, 0
	v_bfi_b32 v24, v24, 0, v2
	v_cmp_eq_u64_e64 s[20:21], v[24:25], v[48:49]
	v_mov_b32_e32 v43, v42
	v_mov_b32_e32 v42, v41
	s_and_saveexec_b64 s[92:93], s[20:21]
; %bb.1801:                             ;   in Loop: Header=BB2_1749 Depth=2
	v_bfe_u32 v2, v41, 21, 1
	v_add_co_u32_e64 v2, s[20:21], v41, v2
	v_add_co_u32_e64 v42, s[20:21], -1, v2
; %bb.1802:                             ;   in Loop: Header=BB2_1749 Depth=2
	s_or_b64 exec, exec, s[92:93]
	v_add_u32_e32 v1, 0xffffff81, v1
	v_cndmask_b32_e64 v1, v1, v61, s[18:19]
	v_lshrrev_b32_e32 v2, 23, v41
	v_add3_u32 v21, v20, v1, v2
	v_add_u32_e32 v20, 14, v21
	v_and_b32_e32 v1, 0x1fffff, v42
	v_add_u32_e32 v2, v1, v41
	v_cmp_ne_u32_e64 s[18:19], 0, v20
                                        ; implicit-def: $vgpr41_vgpr42
                                        ; implicit-def: $vgpr1
	s_and_saveexec_b64 s[20:21], s[18:19]
	s_xor_b64 s[20:21], exec, s[20:21]
; %bb.1803:                             ;   in Loop: Header=BB2_1749 Depth=2
	v_cmp_lt_u64_e64 s[18:19], s[62:63], v[2:3]
	v_add_u32_e32 v1, 15, v21
	v_cndmask_b32_e64 v1, v20, v1, s[18:19]
	v_cndmask_b32_e64 v20, 0, 1, s[18:19]
	v_lshrrev_b64 v[41:42], v20, v[2:3]
; %bb.1804:                             ;   in Loop: Header=BB2_1749 Depth=2
	s_andn2_saveexec_b64 s[18:19], s[20:21]
; %bb.1805:                             ;   in Loop: Header=BB2_1749 Depth=2
	v_mov_b32_e32 v42, v3
	v_bfe_u32 v1, v2, 23, 1
	v_mov_b32_e32 v41, v2
; %bb.1806:                             ;   in Loop: Header=BB2_1749 Depth=2
	s_or_b64 exec, exec, s[18:19]
	v_lshrrev_b64 v[20:21], 21, v[41:42]
	v_cmp_gt_i32_e64 s[18:19], 32, v1
	v_cndmask_b32_e64 v21, 0, v21, s[18:19]
	v_cndmask_b32_e64 v20, 3, v20, s[18:19]
	v_cmp_eq_u32_e64 s[18:19], 0, v1
	v_min_i32_e32 v1, 31, v1
	v_cmp_eq_u64_e64 s[20:21], 0, v[20:21]
	v_lshlrev_b32_e32 v1, 2, v1
	v_and_b32_e32 v1, 0xfc, v1
	v_and_or_b32 v1, v20, 3, v1
	s_and_b64 s[18:19], s[18:19], s[20:21]
	v_cndmask_b32_e64 v1, v1, 0, s[18:19]
	v_or_b32_e32 v1, v1, v0
.LBB2_1807:                             ;   in Loop: Header=BB2_1749 Depth=2
	s_or_b64 exec, exec, s[90:91]
                                        ; implicit-def: $vgpr0
.LBB2_1808:                             ;   in Loop: Header=BB2_1749 Depth=2
	s_andn2_saveexec_b64 s[18:19], s[88:89]
; %bb.1809:                             ;   in Loop: Header=BB2_1749 Depth=2
	v_or_b32_e32 v1, 0x7b, v0
; %bb.1810:                             ;   in Loop: Header=BB2_1749 Depth=2
	s_or_b64 exec, exec, s[18:19]
                                        ; implicit-def: $vgpr21
.LBB2_1811:                             ;   in Loop: Header=BB2_1749 Depth=2
	s_andn2_saveexec_b64 s[20:21], s[22:23]
	s_cbranch_execz .LBB2_1817
; %bb.1812:                             ;   in Loop: Header=BB2_1749 Depth=2
	v_cmp_ne_u64_e64 s[18:19], 0, v[2:3]
                                        ; implicit-def: $vgpr1
	s_and_saveexec_b64 s[22:23], s[18:19]
	s_xor_b64 s[18:19], exec, s[22:23]
; %bb.1813:                             ;   in Loop: Header=BB2_1749 Depth=2
	v_or_b32_sdwa v1, v21, s52 dst_sel:DWORD dst_unused:UNUSED_PAD src0_sel:BYTE_3 src1_sel:DWORD
                                        ; implicit-def: $vgpr21
; %bb.1814:                             ;   in Loop: Header=BB2_1749 Depth=2
	s_andn2_saveexec_b64 s[22:23], s[18:19]
; %bb.1815:                             ;   in Loop: Header=BB2_1749 Depth=2
	v_cmp_lt_i32_e64 s[18:19], -1, v21
	v_cndmask_b32_e64 v1, v31, v18, s[18:19]
; %bb.1816:                             ;   in Loop: Header=BB2_1749 Depth=2
	s_or_b64 exec, exec, s[22:23]
.LBB2_1817:                             ;   in Loop: Header=BB2_1749 Depth=2
	s_or_b64 exec, exec, s[20:21]
	v_lshrrev_b32_e32 v30, 16, v14
	v_cmp_ne_u16_sdwa s[18:19], v30, v3 src0_sel:BYTE_0 src1_sel:DWORD
	v_mov_b32_e32 v0, 0
	s_and_saveexec_b64 s[20:21], s[18:19]
	s_cbranch_execz .LBB2_1825
; %bb.1818:                             ;   in Loop: Header=BB2_1749 Depth=2
	v_cmp_ne_u16_sdwa s[18:19], v30, s53 src0_sel:BYTE_0 src1_sel:DWORD
	v_bfrev_b32_e32 v0, 1
	s_and_saveexec_b64 s[22:23], s[18:19]
	s_cbranch_execz .LBB2_1824
; %bb.1819:                             ;   in Loop: Header=BB2_1749 Depth=2
	v_and_b32_e32 v0, 0x7c0000, v14
	v_bfe_u32 v20, v14, 16, 2
	v_cmp_ne_u32_e64 s[18:19], s55, v0
                                        ; implicit-def: $vgpr0
	s_and_saveexec_b64 s[88:89], s[18:19]
	s_xor_b64 s[88:89], exec, s[88:89]
	s_cbranch_execz .LBB2_1821
; %bb.1820:                             ;   in Loop: Header=BB2_1749 Depth=2
	v_ffbh_u32_e32 v2, v20
	v_min_u32_e32 v2, 32, v2
	v_subrev_u32_e32 v21, 29, v2
	v_lshlrev_b64 v[24:25], v21, v[30:31]
	v_bfe_u32 v0, v14, 18, 5
	v_sub_u32_e32 v2, 30, v2
	v_and_b32_e32 v21, 3, v24
	v_cmp_eq_u32_e64 s[18:19], 0, v0
	v_cndmask_b32_e64 v0, v0, v2, s[18:19]
	v_cndmask_b32_e64 v2, v20, v21, s[18:19]
	v_lshlrev_b32_e32 v20, 8, v14
	v_and_b32_e32 v20, 0x80000000, v20
	v_lshl_add_u32 v0, v0, 23, v20
	v_lshl_or_b32 v0, v2, 21, v0
	v_add_u32_e32 v0, 0x38000000, v0
                                        ; implicit-def: $vgpr20
                                        ; implicit-def: $vgpr30
.LBB2_1821:                             ;   in Loop: Header=BB2_1749 Depth=2
	s_andn2_saveexec_b64 s[88:89], s[88:89]
; %bb.1822:                             ;   in Loop: Header=BB2_1749 Depth=2
	v_cmp_gt_i16_sdwa s[18:19], sext(v30), v56 src0_sel:BYTE_0 src1_sel:DWORD
	v_cndmask_b32_e64 v0, v57, v58, s[18:19]
	v_cmp_eq_u32_e64 s[18:19], 0, v20
	v_cndmask_b32_e64 v0, v59, v0, s[18:19]
; %bb.1823:                             ;   in Loop: Header=BB2_1749 Depth=2
	s_or_b64 exec, exec, s[88:89]
.LBB2_1824:                             ;   in Loop: Header=BB2_1749 Depth=2
	s_or_b64 exec, exec, s[22:23]
.LBB2_1825:                             ;   in Loop: Header=BB2_1749 Depth=2
	s_or_b64 exec, exec, s[20:21]
	v_lshrrev_b32_e32 v30, 16, v10
	v_cmp_gt_i16_sdwa s[20:21], v30, s52 src0_sel:BYTE_0 src1_sel:DWORD
	s_mov_b64 s[18:19], 0
	s_and_saveexec_b64 s[22:23], s[20:21]
	s_xor_b64 s[20:21], exec, s[22:23]
	s_cbranch_execz .LBB2_2276
; %bb.1826:                             ;   in Loop: Header=BB2_1749 Depth=2
	v_cmp_eq_u16_sdwa s[88:89], v30, s53 src0_sel:BYTE_0 src1_sel:DWORD
	s_mov_b64 s[18:19], -1
	s_and_saveexec_b64 s[22:23], s[88:89]
; %bb.1827:                             ;   in Loop: Header=BB2_1749 Depth=2
	s_xor_b64 s[18:19], exec, -1
; %bb.1828:                             ;   in Loop: Header=BB2_1749 Depth=2
	s_or_b64 exec, exec, s[22:23]
	s_and_b64 s[18:19], s[18:19], exec
	s_or_saveexec_b64 s[20:21], s[20:21]
	v_bfrev_b32_e32 v20, 1
	s_xor_b64 exec, exec, s[20:21]
	s_cbranch_execnz .LBB2_2277
.LBB2_1829:                             ;   in Loop: Header=BB2_1749 Depth=2
	s_or_b64 exec, exec, s[20:21]
	s_and_saveexec_b64 s[88:89], s[18:19]
	s_cbranch_execz .LBB2_1831
.LBB2_1830:                             ;   in Loop: Header=BB2_1749 Depth=2
	v_and_b32_e32 v2, 3, v30
	v_and_b32_e32 v20, 0x7c0000, v10
	v_cmp_eq_u32_e64 s[18:19], s55, v20
	v_ffbh_u32_e32 v20, v2
	v_min_u32_e32 v25, 32, v20
	v_subrev_u32_e32 v20, 29, v25
	v_bfe_u32 v24, v10, 18, 5
	v_lshlrev_b64 v[20:21], v20, v[30:31]
	v_cmp_eq_u32_e64 s[20:21], 0, v24
	v_sub_u32_e32 v21, 30, v25
	v_cndmask_b32_e64 v21, v24, v21, s[20:21]
	v_lshlrev_b32_e32 v24, 24, v30
	v_and_b32_e32 v20, 3, v20
	v_and_b32_e32 v24, 0x80000000, v24
	v_cndmask_b32_e64 v20, v2, v20, s[20:21]
	v_lshl_add_u32 v21, v21, 23, v24
	v_cmp_gt_i16_sdwa s[22:23], sext(v30), v56 src0_sel:BYTE_0 src1_sel:DWORD
	v_lshl_or_b32 v20, v20, 21, v21
	v_cmp_eq_u32_e64 s[20:21], 0, v2
	v_cndmask_b32_e64 v2, v57, v58, s[22:23]
	v_add_u32_e32 v20, 0x38000000, v20
	v_cndmask_b32_e64 v2, v59, v2, s[20:21]
	v_cndmask_b32_e64 v20, v20, v2, s[18:19]
.LBB2_1831:                             ;   in Loop: Header=BB2_1749 Depth=2
	s_or_b64 exec, exec, s[88:89]
	v_mul_f32_e32 v21, v0, v20
	v_and_b32_e32 v24, 0x7f800000, v21
	v_mov_b32_e32 v25, v3
	v_cmp_ne_u64_e64 s[18:19], s[58:59], v[24:25]
	v_and_b32_e32 v2, 0x7fffff, v21
                                        ; implicit-def: $vgpr48
	s_and_saveexec_b64 s[20:21], s[18:19]
	s_xor_b64 s[22:23], exec, s[20:21]
	s_cbranch_execz .LBB2_1845
; %bb.1832:                             ;   in Loop: Header=BB2_1749 Depth=2
	v_and_b32_e32 v24, 0x7fffffff, v21
	v_mov_b32_e32 v25, v3
	v_cmp_gt_u64_e64 s[18:19], s[60:61], v[24:25]
	v_and_b32_sdwa v0, v21, s53 dst_sel:DWORD dst_unused:UNUSED_PAD src0_sel:BYTE_3 src1_sel:DWORD
                                        ; implicit-def: $vgpr48
	s_and_saveexec_b64 s[20:21], s[18:19]
	s_xor_b64 s[88:89], exec, s[20:21]
	s_cbranch_execz .LBB2_1842
; %bb.1833:                             ;   in Loop: Header=BB2_1749 Depth=2
	v_mov_b32_e32 v48, 0
	v_cmp_ne_u32_e64 s[18:19], 0, v21
	s_and_saveexec_b64 s[90:91], s[18:19]
	s_cbranch_execz .LBB2_1841
; %bb.1834:                             ;   in Loop: Header=BB2_1749 Depth=2
	v_bfe_u32 v21, v21, 23, 8
	v_cmp_gt_u32_e64 s[20:21], s54, v21
	v_sub_u32_e32 v20, 0x71, v21
	v_cmp_eq_u32_e64 s[18:19], 0, v21
	v_cndmask_b32_e64 v20, 0, v20, s[20:21]
	v_mov_b32_e32 v25, 0x70
	v_or_b32_e32 v24, 0x800000, v2
	v_cndmask_b32_e64 v20, v20, v25, s[18:19]
	v_cndmask_b32_e64 v2, v24, v2, s[18:19]
	v_add_u32_e32 v24, 21, v20
	v_lshlrev_b64 v[24:25], v24, -1
	v_add_u32_e32 v30, 20, v20
	v_lshlrev_b64 v[48:49], v30, 1
	v_lshrrev_b64 v[41:42], v20, v[2:3]
	v_bfi_b32 v25, v25, 0, 0
	v_bfi_b32 v24, v24, 0, v2
	v_cmp_eq_u64_e64 s[20:21], v[24:25], v[48:49]
	v_mov_b32_e32 v43, v42
	v_mov_b32_e32 v42, v41
	s_and_saveexec_b64 s[92:93], s[20:21]
; %bb.1835:                             ;   in Loop: Header=BB2_1749 Depth=2
	v_bfe_u32 v2, v41, 21, 1
	v_add_co_u32_e64 v2, s[20:21], v41, v2
	v_add_co_u32_e64 v42, s[20:21], -1, v2
; %bb.1836:                             ;   in Loop: Header=BB2_1749 Depth=2
	s_or_b64 exec, exec, s[92:93]
	v_add_u32_e32 v2, 0xffffff81, v21
	v_cndmask_b32_e64 v2, v2, v61, s[18:19]
	v_lshrrev_b32_e32 v21, 23, v41
	v_add3_u32 v24, v20, v2, v21
	v_add_u32_e32 v21, 14, v24
	v_and_b32_e32 v2, 0x1fffff, v42
	v_add_u32_e32 v2, v2, v41
	v_cmp_ne_u32_e64 s[18:19], 0, v21
                                        ; implicit-def: $vgpr41_vgpr42
                                        ; implicit-def: $vgpr20
	s_and_saveexec_b64 s[20:21], s[18:19]
	s_xor_b64 s[20:21], exec, s[20:21]
; %bb.1837:                             ;   in Loop: Header=BB2_1749 Depth=2
	v_cmp_lt_u64_e64 s[18:19], s[62:63], v[2:3]
	v_add_u32_e32 v20, 15, v24
	v_cndmask_b32_e64 v20, v21, v20, s[18:19]
	v_cndmask_b32_e64 v21, 0, 1, s[18:19]
	v_lshrrev_b64 v[41:42], v21, v[2:3]
; %bb.1838:                             ;   in Loop: Header=BB2_1749 Depth=2
	s_andn2_saveexec_b64 s[18:19], s[20:21]
; %bb.1839:                             ;   in Loop: Header=BB2_1749 Depth=2
	v_mov_b32_e32 v42, v3
	v_bfe_u32 v20, v2, 23, 1
	v_mov_b32_e32 v41, v2
; %bb.1840:                             ;   in Loop: Header=BB2_1749 Depth=2
	s_or_b64 exec, exec, s[18:19]
	v_lshrrev_b64 v[24:25], 21, v[41:42]
	v_cmp_gt_i32_e64 s[18:19], 32, v20
	v_cndmask_b32_e64 v25, 0, v25, s[18:19]
	v_cndmask_b32_e64 v24, 3, v24, s[18:19]
	v_min_i32_e32 v2, 31, v20
	v_cmp_eq_u64_e64 s[20:21], 0, v[24:25]
	v_lshlrev_b32_e32 v2, 2, v2
	v_cmp_eq_u32_e64 s[18:19], 0, v20
	v_and_b32_e32 v2, 0xfc, v2
	v_and_or_b32 v2, v24, 3, v2
	s_and_b64 s[18:19], s[18:19], s[20:21]
	v_cndmask_b32_e64 v2, v2, 0, s[18:19]
	v_or_b32_e32 v48, v2, v0
.LBB2_1841:                             ;   in Loop: Header=BB2_1749 Depth=2
	s_or_b64 exec, exec, s[90:91]
                                        ; implicit-def: $vgpr0
.LBB2_1842:                             ;   in Loop: Header=BB2_1749 Depth=2
	s_andn2_saveexec_b64 s[18:19], s[88:89]
; %bb.1843:                             ;   in Loop: Header=BB2_1749 Depth=2
	v_or_b32_e32 v48, 0x7b, v0
; %bb.1844:                             ;   in Loop: Header=BB2_1749 Depth=2
	s_or_b64 exec, exec, s[18:19]
                                        ; implicit-def: $vgpr21
.LBB2_1845:                             ;   in Loop: Header=BB2_1749 Depth=2
	s_andn2_saveexec_b64 s[20:21], s[22:23]
	s_cbranch_execz .LBB2_1851
; %bb.1846:                             ;   in Loop: Header=BB2_1749 Depth=2
	v_cmp_ne_u64_e64 s[18:19], 0, v[2:3]
                                        ; implicit-def: $vgpr48
	s_and_saveexec_b64 s[22:23], s[18:19]
	s_xor_b64 s[18:19], exec, s[22:23]
; %bb.1847:                             ;   in Loop: Header=BB2_1749 Depth=2
	v_or_b32_sdwa v48, v21, s52 dst_sel:DWORD dst_unused:UNUSED_PAD src0_sel:BYTE_3 src1_sel:DWORD
                                        ; implicit-def: $vgpr21
; %bb.1848:                             ;   in Loop: Header=BB2_1749 Depth=2
	s_andn2_saveexec_b64 s[22:23], s[18:19]
; %bb.1849:                             ;   in Loop: Header=BB2_1749 Depth=2
	v_cmp_lt_i32_e64 s[18:19], -1, v21
	v_cndmask_b32_e64 v48, v31, v18, s[18:19]
; %bb.1850:                             ;   in Loop: Header=BB2_1749 Depth=2
	s_or_b64 exec, exec, s[22:23]
.LBB2_1851:                             ;   in Loop: Header=BB2_1749 Depth=2
	s_or_b64 exec, exec, s[20:21]
	v_cmp_lt_u32_e64 s[18:19], s57, v14
	v_mov_b32_e32 v0, 0
	s_and_saveexec_b64 s[20:21], s[18:19]
	s_cbranch_execz .LBB2_1859
; %bb.1852:                             ;   in Loop: Header=BB2_1749 Depth=2
	v_lshrrev_b32_e32 v30, 24, v14
	v_cmp_ne_u32_e64 s[18:19], s53, v30
	v_bfrev_b32_e32 v0, 1
	s_and_saveexec_b64 s[22:23], s[18:19]
	s_cbranch_execz .LBB2_1858
; %bb.1853:                             ;   in Loop: Header=BB2_1749 Depth=2
	v_and_b32_e32 v0, 0x7c000000, v14
	v_bfe_u32 v20, v14, 24, 2
	v_cmp_ne_u32_e64 s[18:19], s64, v0
                                        ; implicit-def: $vgpr0
	s_and_saveexec_b64 s[88:89], s[18:19]
	s_xor_b64 s[88:89], exec, s[88:89]
	s_cbranch_execz .LBB2_1855
; %bb.1854:                             ;   in Loop: Header=BB2_1749 Depth=2
	v_ffbh_u32_e32 v2, v20
	v_min_u32_e32 v2, 32, v2
	v_subrev_u32_e32 v21, 29, v2
	v_lshlrev_b64 v[24:25], v21, v[30:31]
	v_bfe_u32 v0, v14, 26, 5
	v_sub_u32_e32 v2, 30, v2
	v_and_b32_e32 v21, 3, v24
	v_cmp_eq_u32_e64 s[18:19], 0, v0
	v_cndmask_b32_e64 v0, v0, v2, s[18:19]
	v_cndmask_b32_e64 v2, v20, v21, s[18:19]
	v_and_b32_e32 v20, 0x80000000, v14
	v_lshl_add_u32 v0, v0, 23, v20
	v_lshl_or_b32 v0, v2, 21, v0
	v_add_u32_e32 v0, 0x38000000, v0
                                        ; implicit-def: $vgpr20
.LBB2_1855:                             ;   in Loop: Header=BB2_1749 Depth=2
	s_andn2_saveexec_b64 s[88:89], s[88:89]
; %bb.1856:                             ;   in Loop: Header=BB2_1749 Depth=2
	v_cmp_lt_i32_e64 s[18:19], -1, v14
	v_cndmask_b32_e64 v0, v57, v58, s[18:19]
	v_cmp_eq_u32_e64 s[18:19], 0, v20
	v_cndmask_b32_e64 v0, v59, v0, s[18:19]
; %bb.1857:                             ;   in Loop: Header=BB2_1749 Depth=2
	s_or_b64 exec, exec, s[88:89]
.LBB2_1858:                             ;   in Loop: Header=BB2_1749 Depth=2
	s_or_b64 exec, exec, s[22:23]
.LBB2_1859:                             ;   in Loop: Header=BB2_1749 Depth=2
	s_or_b64 exec, exec, s[20:21]
	v_bfe_u32 v2, v10, 24, 2
	v_and_b32_e32 v24, 0x7c000000, v10
	v_cmp_eq_u32_e64 s[18:19], s64, v24
	v_ffbh_u32_e32 v24, v2
	v_min_u32_e32 v30, 32, v24
	v_lshrrev_b32_e32 v20, 24, v10
	v_bfe_u32 v21, v10, 26, 5
	v_subrev_u32_e32 v24, 29, v30
	v_lshlrev_b64 v[24:25], v24, v[20:21]
	v_cmp_eq_u32_e64 s[20:21], 0, v21
	v_sub_u32_e32 v25, 30, v30
	v_and_b32_e32 v24, 3, v24
	v_cndmask_b32_e64 v21, v21, v25, s[20:21]
	v_and_b32_e32 v25, 0x80000000, v10
	v_cndmask_b32_e64 v24, v2, v24, s[20:21]
	v_lshl_add_u32 v21, v21, 23, v25
	v_cmp_lt_i32_e64 s[22:23], -1, v10
	v_lshl_or_b32 v21, v24, 21, v21
	v_cmp_eq_u32_e64 s[20:21], 0, v2
	v_cndmask_b32_e64 v2, v57, v58, s[22:23]
	v_add_u32_e32 v21, 0x38000000, v21
	v_cndmask_b32_e64 v2, v59, v2, s[20:21]
	v_cndmask_b32_e64 v2, v21, v2, s[18:19]
	v_cmp_ne_u32_e64 s[18:19], s53, v20
	v_cndmask_b32_e64 v2, v19, v2, s[18:19]
	v_cmp_lt_u32_e64 s[18:19], s57, v10
	v_cndmask_b32_e64 v2, 0, v2, s[18:19]
	v_mul_f32_e32 v21, v2, v0
	v_and_b32_e32 v24, 0x7f800000, v21
	v_mov_b32_e32 v25, v3
	v_cmp_ne_u64_e64 s[18:19], s[58:59], v[24:25]
	v_and_b32_e32 v2, 0x7fffff, v21
                                        ; implicit-def: $vgpr49
	s_and_saveexec_b64 s[20:21], s[18:19]
	s_xor_b64 s[22:23], exec, s[20:21]
	s_cbranch_execz .LBB2_1873
; %bb.1860:                             ;   in Loop: Header=BB2_1749 Depth=2
	v_and_b32_e32 v24, 0x7fffffff, v21
	v_mov_b32_e32 v25, v3
	v_cmp_gt_u64_e64 s[18:19], s[60:61], v[24:25]
	v_and_b32_sdwa v0, v21, s53 dst_sel:DWORD dst_unused:UNUSED_PAD src0_sel:BYTE_3 src1_sel:DWORD
                                        ; implicit-def: $vgpr49
	s_and_saveexec_b64 s[20:21], s[18:19]
	s_xor_b64 s[88:89], exec, s[20:21]
	s_cbranch_execz .LBB2_1870
; %bb.1861:                             ;   in Loop: Header=BB2_1749 Depth=2
	v_mov_b32_e32 v49, 0
	v_cmp_ne_u32_e64 s[18:19], 0, v21
	s_and_saveexec_b64 s[90:91], s[18:19]
	s_cbranch_execz .LBB2_1869
; %bb.1862:                             ;   in Loop: Header=BB2_1749 Depth=2
	v_bfe_u32 v21, v21, 23, 8
	v_cmp_gt_u32_e64 s[20:21], s54, v21
	v_sub_u32_e32 v20, 0x71, v21
	v_cmp_eq_u32_e64 s[18:19], 0, v21
	v_cndmask_b32_e64 v20, 0, v20, s[20:21]
	v_mov_b32_e32 v25, 0x70
	v_or_b32_e32 v24, 0x800000, v2
	v_cndmask_b32_e64 v20, v20, v25, s[18:19]
	v_cndmask_b32_e64 v2, v24, v2, s[18:19]
	v_add_u32_e32 v24, 21, v20
	v_lshlrev_b64 v[24:25], v24, -1
	v_add_u32_e32 v30, 20, v20
	v_lshlrev_b64 v[49:50], v30, 1
	v_lshrrev_b64 v[41:42], v20, v[2:3]
	v_bfi_b32 v25, v25, 0, 0
	v_bfi_b32 v24, v24, 0, v2
	v_cmp_eq_u64_e64 s[20:21], v[24:25], v[49:50]
	v_mov_b32_e32 v43, v42
	v_mov_b32_e32 v42, v41
	s_and_saveexec_b64 s[92:93], s[20:21]
; %bb.1863:                             ;   in Loop: Header=BB2_1749 Depth=2
	v_bfe_u32 v2, v41, 21, 1
	v_add_co_u32_e64 v2, s[20:21], v41, v2
	v_add_co_u32_e64 v42, s[20:21], -1, v2
; %bb.1864:                             ;   in Loop: Header=BB2_1749 Depth=2
	s_or_b64 exec, exec, s[92:93]
	v_add_u32_e32 v2, 0xffffff81, v21
	v_cndmask_b32_e64 v2, v2, v61, s[18:19]
	v_lshrrev_b32_e32 v21, 23, v41
	v_add3_u32 v24, v20, v2, v21
	v_add_u32_e32 v21, 14, v24
	v_and_b32_e32 v2, 0x1fffff, v42
	v_add_u32_e32 v2, v2, v41
	v_cmp_ne_u32_e64 s[18:19], 0, v21
                                        ; implicit-def: $vgpr41_vgpr42
                                        ; implicit-def: $vgpr20
	s_and_saveexec_b64 s[20:21], s[18:19]
	s_xor_b64 s[20:21], exec, s[20:21]
; %bb.1865:                             ;   in Loop: Header=BB2_1749 Depth=2
	v_cmp_lt_u64_e64 s[18:19], s[62:63], v[2:3]
	v_add_u32_e32 v20, 15, v24
	v_cndmask_b32_e64 v20, v21, v20, s[18:19]
	v_cndmask_b32_e64 v21, 0, 1, s[18:19]
	v_lshrrev_b64 v[41:42], v21, v[2:3]
; %bb.1866:                             ;   in Loop: Header=BB2_1749 Depth=2
	s_andn2_saveexec_b64 s[18:19], s[20:21]
; %bb.1867:                             ;   in Loop: Header=BB2_1749 Depth=2
	v_mov_b32_e32 v42, v3
	v_bfe_u32 v20, v2, 23, 1
	v_mov_b32_e32 v41, v2
; %bb.1868:                             ;   in Loop: Header=BB2_1749 Depth=2
	s_or_b64 exec, exec, s[18:19]
	v_lshrrev_b64 v[24:25], 21, v[41:42]
	v_cmp_gt_i32_e64 s[18:19], 32, v20
	v_cndmask_b32_e64 v25, 0, v25, s[18:19]
	v_cndmask_b32_e64 v24, 3, v24, s[18:19]
	v_min_i32_e32 v2, 31, v20
	v_cmp_eq_u64_e64 s[20:21], 0, v[24:25]
	v_lshlrev_b32_e32 v2, 2, v2
	v_cmp_eq_u32_e64 s[18:19], 0, v20
	v_and_b32_e32 v2, 0xfc, v2
	v_and_or_b32 v2, v24, 3, v2
	s_and_b64 s[18:19], s[18:19], s[20:21]
	v_cndmask_b32_e64 v2, v2, 0, s[18:19]
	v_or_b32_e32 v49, v2, v0
.LBB2_1869:                             ;   in Loop: Header=BB2_1749 Depth=2
	s_or_b64 exec, exec, s[90:91]
                                        ; implicit-def: $vgpr0
.LBB2_1870:                             ;   in Loop: Header=BB2_1749 Depth=2
	s_andn2_saveexec_b64 s[18:19], s[88:89]
; %bb.1871:                             ;   in Loop: Header=BB2_1749 Depth=2
	v_or_b32_e32 v49, 0x7b, v0
; %bb.1872:                             ;   in Loop: Header=BB2_1749 Depth=2
	s_or_b64 exec, exec, s[18:19]
                                        ; implicit-def: $vgpr21
.LBB2_1873:                             ;   in Loop: Header=BB2_1749 Depth=2
	s_andn2_saveexec_b64 s[20:21], s[22:23]
	s_cbranch_execz .LBB2_1879
; %bb.1874:                             ;   in Loop: Header=BB2_1749 Depth=2
	v_cmp_ne_u64_e64 s[18:19], 0, v[2:3]
                                        ; implicit-def: $vgpr49
	s_and_saveexec_b64 s[22:23], s[18:19]
	s_xor_b64 s[18:19], exec, s[22:23]
; %bb.1875:                             ;   in Loop: Header=BB2_1749 Depth=2
	v_or_b32_sdwa v49, v21, s52 dst_sel:DWORD dst_unused:UNUSED_PAD src0_sel:BYTE_3 src1_sel:DWORD
                                        ; implicit-def: $vgpr21
; %bb.1876:                             ;   in Loop: Header=BB2_1749 Depth=2
	s_andn2_saveexec_b64 s[22:23], s[18:19]
; %bb.1877:                             ;   in Loop: Header=BB2_1749 Depth=2
	v_cmp_lt_i32_e64 s[18:19], -1, v21
	v_cndmask_b32_e64 v49, v31, v18, s[18:19]
; %bb.1878:                             ;   in Loop: Header=BB2_1749 Depth=2
	s_or_b64 exec, exec, s[22:23]
.LBB2_1879:                             ;   in Loop: Header=BB2_1749 Depth=2
	s_or_b64 exec, exec, s[20:21]
	v_mov_b32_e32 v2, v15
	v_cmp_ne_u16_sdwa s[18:19], v15, v3 src0_sel:BYTE_0 src1_sel:DWORD
	v_mov_b32_e32 v0, 0
	s_and_saveexec_b64 s[20:21], s[18:19]
	s_cbranch_execz .LBB2_1887
; %bb.1880:                             ;   in Loop: Header=BB2_1749 Depth=2
	v_cmp_ne_u16_sdwa s[18:19], v15, s53 src0_sel:BYTE_0 src1_sel:DWORD
	v_bfrev_b32_e32 v0, 1
	s_and_saveexec_b64 s[22:23], s[18:19]
	s_cbranch_execz .LBB2_1886
; %bb.1881:                             ;   in Loop: Header=BB2_1749 Depth=2
	v_and_b32_e32 v0, 0x7c, v15
	v_and_b32_e32 v20, 3, v15
	v_cmp_ne_u32_e64 s[18:19], s50, v0
                                        ; implicit-def: $vgpr0
	s_and_saveexec_b64 s[88:89], s[18:19]
	s_xor_b64 s[88:89], exec, s[88:89]
	s_cbranch_execz .LBB2_1883
; %bb.1882:                             ;   in Loop: Header=BB2_1749 Depth=2
	v_ffbh_u32_e32 v21, v20
	v_min_u32_e32 v21, 32, v21
	v_bfe_u32 v0, v15, 2, 5
	v_subrev_u32_e32 v24, 29, v21
	v_lshlrev_b64 v[24:25], v24, v[2:3]
	v_sub_u32_e32 v21, 30, v21
	v_cmp_eq_u32_e64 s[18:19], 0, v0
	v_cndmask_b32_e64 v0, v0, v21, s[18:19]
	v_lshlrev_b32_e32 v21, 24, v15
	v_and_b32_e32 v24, 3, v24
	v_and_b32_e32 v21, 0x80000000, v21
	v_cndmask_b32_e64 v20, v20, v24, s[18:19]
	v_lshl_add_u32 v0, v0, 23, v21
	v_lshl_or_b32 v0, v20, 21, v0
	v_add_u32_e32 v0, 0x38000000, v0
                                        ; implicit-def: $vgpr20
.LBB2_1883:                             ;   in Loop: Header=BB2_1749 Depth=2
	s_andn2_saveexec_b64 s[88:89], s[88:89]
; %bb.1884:                             ;   in Loop: Header=BB2_1749 Depth=2
	v_cmp_gt_i16_sdwa s[18:19], sext(v15), v56 src0_sel:BYTE_0 src1_sel:DWORD
	v_cndmask_b32_e64 v0, v57, v58, s[18:19]
	v_cmp_eq_u32_e64 s[18:19], 0, v20
	v_cndmask_b32_e64 v0, v59, v0, s[18:19]
; %bb.1885:                             ;   in Loop: Header=BB2_1749 Depth=2
	s_or_b64 exec, exec, s[88:89]
.LBB2_1886:                             ;   in Loop: Header=BB2_1749 Depth=2
	s_or_b64 exec, exec, s[22:23]
.LBB2_1887:                             ;   in Loop: Header=BB2_1749 Depth=2
	s_or_b64 exec, exec, s[20:21]
	v_cmp_gt_i16_sdwa s[20:21], v11, s52 src0_sel:BYTE_0 src1_sel:DWORD
	s_mov_b64 s[18:19], 0
	s_and_saveexec_b64 s[22:23], s[20:21]
	s_xor_b64 s[20:21], exec, s[22:23]
	s_cbranch_execz .LBB2_1891
; %bb.1888:                             ;   in Loop: Header=BB2_1749 Depth=2
	v_cmp_eq_u16_sdwa s[88:89], v11, s53 src0_sel:BYTE_0 src1_sel:DWORD
	s_mov_b64 s[18:19], -1
	s_and_saveexec_b64 s[22:23], s[88:89]
; %bb.1889:                             ;   in Loop: Header=BB2_1749 Depth=2
	s_xor_b64 s[18:19], exec, -1
; %bb.1890:                             ;   in Loop: Header=BB2_1749 Depth=2
	s_or_b64 exec, exec, s[22:23]
	s_and_b64 s[18:19], s[18:19], exec
.LBB2_1891:                             ;   in Loop: Header=BB2_1749 Depth=2
	s_or_saveexec_b64 s[20:21], s[20:21]
	v_bfrev_b32_e32 v20, 1
	s_xor_b64 exec, exec, s[20:21]
; %bb.1892:                             ;   in Loop: Header=BB2_1749 Depth=2
	v_cmp_ne_u16_sdwa s[22:23], v11, v3 src0_sel:BYTE_0 src1_sel:DWORD
	s_andn2_b64 s[18:19], s[18:19], exec
	s_and_b64 s[22:23], s[22:23], exec
	v_mov_b32_e32 v20, 0
	s_or_b64 s[18:19], s[18:19], s[22:23]
; %bb.1893:                             ;   in Loop: Header=BB2_1749 Depth=2
	s_or_b64 exec, exec, s[20:21]
	v_mov_b32_e32 v41, v11
	v_mov_b32_e32 v42, v3
	s_and_saveexec_b64 s[88:89], s[18:19]
	s_cbranch_execz .LBB2_1895
; %bb.1894:                             ;   in Loop: Header=BB2_1749 Depth=2
	v_and_b32_e32 v24, 3, v11
	v_and_b32_e32 v20, 0x7c, v11
	v_cmp_eq_u32_e64 s[18:19], s50, v20
	v_ffbh_u32_e32 v20, v24
	v_min_u32_e32 v30, 32, v20
	v_subrev_u32_e32 v20, 29, v30
	v_bfe_u32 v25, v11, 2, 5
	v_lshlrev_b64 v[20:21], v20, v[41:42]
	v_cmp_eq_u32_e64 s[20:21], 0, v25
	v_sub_u32_e32 v21, 30, v30
	v_cndmask_b32_e64 v21, v25, v21, s[20:21]
	v_lshlrev_b32_e32 v25, 24, v11
	v_and_b32_e32 v20, 3, v20
	v_and_b32_e32 v25, 0x80000000, v25
	v_cndmask_b32_e64 v20, v24, v20, s[20:21]
	v_lshl_add_u32 v21, v21, 23, v25
	v_cmp_gt_i16_sdwa s[22:23], sext(v11), v56 src0_sel:BYTE_0 src1_sel:DWORD
	v_lshl_or_b32 v20, v20, 21, v21
	v_cmp_eq_u32_e64 s[20:21], 0, v24
	v_cndmask_b32_e64 v21, v57, v58, s[22:23]
	v_add_u32_e32 v20, 0x38000000, v20
	v_cndmask_b32_e64 v21, v59, v21, s[20:21]
	v_cndmask_b32_e64 v20, v20, v21, s[18:19]
.LBB2_1895:                             ;   in Loop: Header=BB2_1749 Depth=2
	s_or_b64 exec, exec, s[88:89]
	v_mul_f32_e32 v21, v0, v20
	v_and_b32_e32 v24, 0x7f800000, v21
	v_mov_b32_e32 v25, v3
	v_cmp_ne_u64_e64 s[18:19], s[58:59], v[24:25]
	v_and_b32_e32 v42, 0x7fffff, v21
	v_mov_b32_e32 v43, v3
                                        ; implicit-def: $vgpr44
	s_and_saveexec_b64 s[20:21], s[18:19]
	s_xor_b64 s[22:23], exec, s[20:21]
	s_cbranch_execz .LBB2_1909
; %bb.1896:                             ;   in Loop: Header=BB2_1749 Depth=2
	v_and_b32_e32 v24, 0x7fffffff, v21
	v_mov_b32_e32 v25, v3
	v_cmp_gt_u64_e64 s[18:19], s[60:61], v[24:25]
	v_and_b32_sdwa v0, v21, s53 dst_sel:DWORD dst_unused:UNUSED_PAD src0_sel:BYTE_3 src1_sel:DWORD
                                        ; implicit-def: $vgpr44
	s_and_saveexec_b64 s[20:21], s[18:19]
	s_xor_b64 s[88:89], exec, s[20:21]
	s_cbranch_execz .LBB2_1906
; %bb.1897:                             ;   in Loop: Header=BB2_1749 Depth=2
	v_mov_b32_e32 v44, 0
	v_cmp_ne_u32_e64 s[18:19], 0, v21
	s_and_saveexec_b64 s[90:91], s[18:19]
	s_cbranch_execz .LBB2_1905
; %bb.1898:                             ;   in Loop: Header=BB2_1749 Depth=2
	v_bfe_u32 v21, v21, 23, 8
	v_cmp_gt_u32_e64 s[20:21], s54, v21
	v_sub_u32_e32 v20, 0x71, v21
	v_cmp_eq_u32_e64 s[18:19], 0, v21
	v_cndmask_b32_e64 v20, 0, v20, s[20:21]
	v_mov_b32_e32 v25, 0x70
	v_or_b32_e32 v24, 0x800000, v42
	v_cndmask_b32_e64 v20, v20, v25, s[18:19]
	v_cndmask_b32_e64 v42, v24, v42, s[18:19]
	v_add_u32_e32 v24, 21, v20
	v_lshlrev_b64 v[24:25], v24, -1
	v_add_u32_e32 v30, 20, v20
	v_bfi_b32 v24, v24, 0, v42
	v_lshlrev_b64 v[50:51], v30, 1
	v_lshrrev_b64 v[42:43], v20, v[42:43]
	v_bfi_b32 v25, v25, 0, 0
	v_cmp_eq_u64_e64 s[20:21], v[24:25], v[50:51]
	v_mov_b32_e32 v44, v43
	v_mov_b32_e32 v43, v42
	s_and_saveexec_b64 s[92:93], s[20:21]
; %bb.1899:                             ;   in Loop: Header=BB2_1749 Depth=2
	v_bfe_u32 v24, v42, 21, 1
	v_add_co_u32_e64 v24, s[20:21], v42, v24
	v_add_co_u32_e64 v43, s[20:21], -1, v24
; %bb.1900:                             ;   in Loop: Header=BB2_1749 Depth=2
	s_or_b64 exec, exec, s[92:93]
	v_add_u32_e32 v21, 0xffffff81, v21
	v_cndmask_b32_e64 v21, v21, v61, s[18:19]
	v_lshrrev_b32_e32 v24, 23, v42
	v_add3_u32 v24, v20, v21, v24
	v_add_u32_e32 v21, 14, v24
	v_and_b32_e32 v20, 0x1fffff, v43
	v_add_u32_e32 v42, v20, v42
	v_mov_b32_e32 v43, v3
	v_cmp_ne_u32_e64 s[18:19], 0, v21
                                        ; implicit-def: $vgpr20
	s_and_saveexec_b64 s[20:21], s[18:19]
	s_xor_b64 s[20:21], exec, s[20:21]
; %bb.1901:                             ;   in Loop: Header=BB2_1749 Depth=2
	v_cmp_lt_u64_e64 s[18:19], s[62:63], v[42:43]
	v_add_u32_e32 v20, 15, v24
	v_cndmask_b32_e64 v20, v21, v20, s[18:19]
	v_cndmask_b32_e64 v21, 0, 1, s[18:19]
	v_lshrrev_b64 v[42:43], v21, v[42:43]
; %bb.1902:                             ;   in Loop: Header=BB2_1749 Depth=2
	s_andn2_saveexec_b64 s[18:19], s[20:21]
; %bb.1903:                             ;   in Loop: Header=BB2_1749 Depth=2
	v_bfe_u32 v20, v42, 23, 1
; %bb.1904:                             ;   in Loop: Header=BB2_1749 Depth=2
	s_or_b64 exec, exec, s[18:19]
	v_lshrrev_b64 v[24:25], 21, v[42:43]
	v_cmp_gt_i32_e64 s[18:19], 32, v20
	v_cndmask_b32_e64 v25, 0, v25, s[18:19]
	v_cndmask_b32_e64 v24, 3, v24, s[18:19]
	v_cmp_eq_u32_e64 s[18:19], 0, v20
	v_min_i32_e32 v20, 31, v20
	v_cmp_eq_u64_e64 s[20:21], 0, v[24:25]
	v_lshlrev_b32_e32 v20, 2, v20
	v_and_b32_e32 v20, 0xfc, v20
	v_and_or_b32 v20, v24, 3, v20
	s_and_b64 s[18:19], s[18:19], s[20:21]
	v_cndmask_b32_e64 v20, v20, 0, s[18:19]
	v_or_b32_e32 v44, v20, v0
.LBB2_1905:                             ;   in Loop: Header=BB2_1749 Depth=2
	s_or_b64 exec, exec, s[90:91]
                                        ; implicit-def: $vgpr0
.LBB2_1906:                             ;   in Loop: Header=BB2_1749 Depth=2
	s_andn2_saveexec_b64 s[18:19], s[88:89]
; %bb.1907:                             ;   in Loop: Header=BB2_1749 Depth=2
	v_or_b32_e32 v44, 0x7b, v0
; %bb.1908:                             ;   in Loop: Header=BB2_1749 Depth=2
	s_or_b64 exec, exec, s[18:19]
                                        ; implicit-def: $vgpr21
                                        ; implicit-def: $vgpr42_vgpr43
.LBB2_1909:                             ;   in Loop: Header=BB2_1749 Depth=2
	s_andn2_saveexec_b64 s[20:21], s[22:23]
	s_cbranch_execz .LBB2_1915
; %bb.1910:                             ;   in Loop: Header=BB2_1749 Depth=2
	v_cmp_ne_u64_e64 s[18:19], 0, v[42:43]
                                        ; implicit-def: $vgpr44
	s_and_saveexec_b64 s[22:23], s[18:19]
	s_xor_b64 s[18:19], exec, s[22:23]
; %bb.1911:                             ;   in Loop: Header=BB2_1749 Depth=2
	v_or_b32_sdwa v44, v21, s52 dst_sel:DWORD dst_unused:UNUSED_PAD src0_sel:BYTE_3 src1_sel:DWORD
                                        ; implicit-def: $vgpr21
; %bb.1912:                             ;   in Loop: Header=BB2_1749 Depth=2
	s_andn2_saveexec_b64 s[22:23], s[18:19]
; %bb.1913:                             ;   in Loop: Header=BB2_1749 Depth=2
	v_cmp_lt_i32_e64 s[18:19], -1, v21
	v_cndmask_b32_e64 v44, v31, v18, s[18:19]
; %bb.1914:                             ;   in Loop: Header=BB2_1749 Depth=2
	s_or_b64 exec, exec, s[22:23]
.LBB2_1915:                             ;   in Loop: Header=BB2_1749 Depth=2
	s_or_b64 exec, exec, s[20:21]
	v_lshrrev_b16_e32 v42, 8, v2
	v_cmp_ne_u16_e64 s[18:19], 0, v42
	v_mov_b32_e32 v0, 0
	s_and_saveexec_b64 s[20:21], s[18:19]
	s_cbranch_execz .LBB2_1923
; %bb.1916:                             ;   in Loop: Header=BB2_1749 Depth=2
	v_cmp_ne_u16_e64 s[18:19], s53, v42
	v_bfrev_b32_e32 v0, 1
	s_and_saveexec_b64 s[22:23], s[18:19]
	s_cbranch_execz .LBB2_1922
; %bb.1917:                             ;   in Loop: Header=BB2_1749 Depth=2
	v_and_b32_e32 v0, 0x7c, v42
	v_and_b32_e32 v20, 3, v42
	v_cmp_ne_u32_e64 s[18:19], s50, v0
                                        ; implicit-def: $vgpr0
	s_and_saveexec_b64 s[88:89], s[18:19]
	s_xor_b64 s[88:89], exec, s[88:89]
	s_cbranch_execz .LBB2_1919
; %bb.1918:                             ;   in Loop: Header=BB2_1749 Depth=2
	v_ffbh_u32_e32 v21, v20
	v_min_u32_e32 v21, 32, v21
	v_mov_b32_e32 v43, v3
	v_subrev_u32_e32 v24, 29, v21
	v_bfe_u32 v0, v42, 2, 5
	v_lshlrev_b64 v[24:25], v24, v[42:43]
	v_sub_u32_e32 v21, 30, v21
	v_cmp_eq_u32_e64 s[18:19], 0, v0
	v_lshlrev_b32_e32 v2, 16, v2
	v_and_b32_e32 v24, 3, v24
	v_cndmask_b32_e64 v0, v0, v21, s[18:19]
	v_and_b32_e32 v2, 0x80000000, v2
	v_cndmask_b32_e64 v20, v20, v24, s[18:19]
	v_lshl_add_u32 v0, v0, 23, v2
	v_lshl_or_b32 v0, v20, 21, v0
	v_add_u32_e32 v0, 0x38000000, v0
                                        ; implicit-def: $vgpr20
.LBB2_1919:                             ;   in Loop: Header=BB2_1749 Depth=2
	s_andn2_saveexec_b64 s[88:89], s[88:89]
; %bb.1920:                             ;   in Loop: Header=BB2_1749 Depth=2
	v_cmp_lt_i16_e64 s[18:19], -1, v2
	v_cndmask_b32_e64 v0, v57, v58, s[18:19]
	v_cmp_eq_u32_e64 s[18:19], 0, v20
	v_cndmask_b32_e64 v0, v59, v0, s[18:19]
; %bb.1921:                             ;   in Loop: Header=BB2_1749 Depth=2
	s_or_b64 exec, exec, s[88:89]
.LBB2_1922:                             ;   in Loop: Header=BB2_1749 Depth=2
	s_or_b64 exec, exec, s[22:23]
.LBB2_1923:                             ;   in Loop: Header=BB2_1749 Depth=2
	s_or_b64 exec, exec, s[20:21]
	v_lshrrev_b16_e32 v2, 8, v41
	v_cmp_lt_i16_e64 s[18:19], s52, v2
	s_mov_b64 s[20:21], 0
	s_and_saveexec_b64 s[22:23], s[18:19]
	s_xor_b64 s[22:23], exec, s[22:23]
	s_cbranch_execz .LBB2_2278
; %bb.1924:                             ;   in Loop: Header=BB2_1749 Depth=2
	v_cmp_eq_u16_e64 s[18:19], s53, v2
	s_mov_b64 s[20:21], -1
	s_and_saveexec_b64 s[88:89], s[18:19]
; %bb.1925:                             ;   in Loop: Header=BB2_1749 Depth=2
	s_xor_b64 s[20:21], exec, -1
; %bb.1926:                             ;   in Loop: Header=BB2_1749 Depth=2
	s_or_b64 exec, exec, s[88:89]
	s_and_b64 s[20:21], s[20:21], exec
	s_or_saveexec_b64 s[22:23], s[22:23]
	v_bfrev_b32_e32 v20, 1
	s_xor_b64 exec, exec, s[22:23]
	s_cbranch_execnz .LBB2_2279
.LBB2_1927:                             ;   in Loop: Header=BB2_1749 Depth=2
	s_or_b64 exec, exec, s[22:23]
	s_and_saveexec_b64 s[88:89], s[20:21]
	s_cbranch_execz .LBB2_1929
.LBB2_1928:                             ;   in Loop: Header=BB2_1749 Depth=2
	v_and_b32_e32 v24, 3, v2
	v_and_b32_e32 v20, 0x7c, v2
	v_cmp_eq_u32_e64 s[18:19], s50, v20
	v_ffbh_u32_e32 v20, v24
	v_min_u32_e32 v30, 32, v20
	v_subrev_u32_e32 v20, 29, v30
	v_bfe_u32 v25, v2, 2, 5
	v_lshlrev_b64 v[20:21], v20, v[2:3]
	v_cmp_eq_u32_e64 s[20:21], 0, v25
	v_sub_u32_e32 v21, 30, v30
	v_lshlrev_b32_e32 v2, 24, v2
	v_and_b32_e32 v20, 3, v20
	v_cndmask_b32_e64 v21, v25, v21, s[20:21]
	v_and_b32_e32 v2, 0x80000000, v2
	v_cndmask_b32_e64 v20, v24, v20, s[20:21]
	v_lshl_add_u32 v2, v21, 23, v2
	v_cmp_lt_i16_e64 s[22:23], -1, v41
	v_lshl_or_b32 v2, v20, 21, v2
	v_cmp_eq_u32_e64 s[20:21], 0, v24
	v_cndmask_b32_e64 v20, v57, v58, s[22:23]
	v_add_u32_e32 v2, 0x38000000, v2
	v_cndmask_b32_e64 v20, v59, v20, s[20:21]
	v_cndmask_b32_e64 v20, v2, v20, s[18:19]
.LBB2_1929:                             ;   in Loop: Header=BB2_1749 Depth=2
	s_or_b64 exec, exec, s[88:89]
	v_mul_f32_e32 v24, v0, v20
	v_and_b32_e32 v20, 0x7f800000, v24
	v_mov_b32_e32 v21, v3
	v_cmp_ne_u64_e64 s[18:19], s[58:59], v[20:21]
	v_and_b32_e32 v2, 0x7fffff, v24
                                        ; implicit-def: $vgpr21
	s_and_saveexec_b64 s[20:21], s[18:19]
	s_xor_b64 s[22:23], exec, s[20:21]
	s_cbranch_execz .LBB2_1943
; %bb.1930:                             ;   in Loop: Header=BB2_1749 Depth=2
	v_and_b32_e32 v20, 0x7fffffff, v24
	v_mov_b32_e32 v21, v3
	v_cmp_gt_u64_e64 s[18:19], s[60:61], v[20:21]
	v_and_b32_sdwa v0, v24, s53 dst_sel:DWORD dst_unused:UNUSED_PAD src0_sel:BYTE_3 src1_sel:DWORD
                                        ; implicit-def: $vgpr21
	s_and_saveexec_b64 s[20:21], s[18:19]
	s_xor_b64 s[88:89], exec, s[20:21]
	s_cbranch_execz .LBB2_1940
; %bb.1931:                             ;   in Loop: Header=BB2_1749 Depth=2
	v_mov_b32_e32 v21, 0
	v_cmp_ne_u32_e64 s[18:19], 0, v24
	s_and_saveexec_b64 s[90:91], s[18:19]
	s_cbranch_execz .LBB2_1939
; %bb.1932:                             ;   in Loop: Header=BB2_1749 Depth=2
	v_bfe_u32 v21, v24, 23, 8
	v_cmp_gt_u32_e64 s[20:21], s54, v21
	v_sub_u32_e32 v20, 0x71, v21
	v_cmp_eq_u32_e64 s[18:19], 0, v21
	v_cndmask_b32_e64 v20, 0, v20, s[20:21]
	v_mov_b32_e32 v25, 0x70
	v_or_b32_e32 v24, 0x800000, v2
	v_cndmask_b32_e64 v20, v20, v25, s[18:19]
	v_cndmask_b32_e64 v2, v24, v2, s[18:19]
	v_add_u32_e32 v24, 21, v20
	v_lshlrev_b64 v[24:25], v24, -1
	v_add_u32_e32 v30, 20, v20
	v_lshlrev_b64 v[50:51], v30, 1
	v_lshrrev_b64 v[41:42], v20, v[2:3]
	v_bfi_b32 v25, v25, 0, 0
	v_bfi_b32 v24, v24, 0, v2
	v_cmp_eq_u64_e64 s[20:21], v[24:25], v[50:51]
	v_mov_b32_e32 v43, v42
	v_mov_b32_e32 v42, v41
	s_and_saveexec_b64 s[92:93], s[20:21]
; %bb.1933:                             ;   in Loop: Header=BB2_1749 Depth=2
	v_bfe_u32 v2, v41, 21, 1
	v_add_co_u32_e64 v2, s[20:21], v41, v2
	v_add_co_u32_e64 v42, s[20:21], -1, v2
; %bb.1934:                             ;   in Loop: Header=BB2_1749 Depth=2
	s_or_b64 exec, exec, s[92:93]
	v_add_u32_e32 v2, 0xffffff81, v21
	v_cndmask_b32_e64 v2, v2, v61, s[18:19]
	v_lshrrev_b32_e32 v21, 23, v41
	v_add3_u32 v24, v20, v2, v21
	v_add_u32_e32 v21, 14, v24
	v_and_b32_e32 v2, 0x1fffff, v42
	v_add_u32_e32 v2, v2, v41
	v_cmp_ne_u32_e64 s[18:19], 0, v21
                                        ; implicit-def: $vgpr41_vgpr42
                                        ; implicit-def: $vgpr20
	s_and_saveexec_b64 s[20:21], s[18:19]
	s_xor_b64 s[20:21], exec, s[20:21]
; %bb.1935:                             ;   in Loop: Header=BB2_1749 Depth=2
	v_cmp_lt_u64_e64 s[18:19], s[62:63], v[2:3]
	v_add_u32_e32 v20, 15, v24
	v_cndmask_b32_e64 v20, v21, v20, s[18:19]
	v_cndmask_b32_e64 v21, 0, 1, s[18:19]
	v_lshrrev_b64 v[41:42], v21, v[2:3]
; %bb.1936:                             ;   in Loop: Header=BB2_1749 Depth=2
	s_andn2_saveexec_b64 s[18:19], s[20:21]
; %bb.1937:                             ;   in Loop: Header=BB2_1749 Depth=2
	v_mov_b32_e32 v42, v3
	v_bfe_u32 v20, v2, 23, 1
	v_mov_b32_e32 v41, v2
; %bb.1938:                             ;   in Loop: Header=BB2_1749 Depth=2
	s_or_b64 exec, exec, s[18:19]
	v_lshrrev_b64 v[24:25], 21, v[41:42]
	v_cmp_gt_i32_e64 s[18:19], 32, v20
	v_cndmask_b32_e64 v25, 0, v25, s[18:19]
	v_cndmask_b32_e64 v24, 3, v24, s[18:19]
	v_min_i32_e32 v2, 31, v20
	v_cmp_eq_u64_e64 s[20:21], 0, v[24:25]
	v_lshlrev_b32_e32 v2, 2, v2
	v_cmp_eq_u32_e64 s[18:19], 0, v20
	v_and_b32_e32 v2, 0xfc, v2
	v_and_or_b32 v2, v24, 3, v2
	s_and_b64 s[18:19], s[18:19], s[20:21]
	v_cndmask_b32_e64 v2, v2, 0, s[18:19]
	v_or_b32_e32 v21, v2, v0
.LBB2_1939:                             ;   in Loop: Header=BB2_1749 Depth=2
	s_or_b64 exec, exec, s[90:91]
                                        ; implicit-def: $vgpr0
.LBB2_1940:                             ;   in Loop: Header=BB2_1749 Depth=2
	s_andn2_saveexec_b64 s[18:19], s[88:89]
; %bb.1941:                             ;   in Loop: Header=BB2_1749 Depth=2
	v_or_b32_e32 v21, 0x7b, v0
; %bb.1942:                             ;   in Loop: Header=BB2_1749 Depth=2
	s_or_b64 exec, exec, s[18:19]
                                        ; implicit-def: $vgpr24
.LBB2_1943:                             ;   in Loop: Header=BB2_1749 Depth=2
	s_andn2_saveexec_b64 s[20:21], s[22:23]
	s_cbranch_execz .LBB2_1949
; %bb.1944:                             ;   in Loop: Header=BB2_1749 Depth=2
	v_cmp_ne_u64_e64 s[18:19], 0, v[2:3]
                                        ; implicit-def: $vgpr21
	s_and_saveexec_b64 s[22:23], s[18:19]
	s_xor_b64 s[18:19], exec, s[22:23]
; %bb.1945:                             ;   in Loop: Header=BB2_1749 Depth=2
	v_or_b32_sdwa v21, v24, s52 dst_sel:DWORD dst_unused:UNUSED_PAD src0_sel:BYTE_3 src1_sel:DWORD
                                        ; implicit-def: $vgpr24
; %bb.1946:                             ;   in Loop: Header=BB2_1749 Depth=2
	s_andn2_saveexec_b64 s[22:23], s[18:19]
; %bb.1947:                             ;   in Loop: Header=BB2_1749 Depth=2
	v_cmp_lt_i32_e64 s[18:19], -1, v24
	v_cndmask_b32_e64 v21, v31, v18, s[18:19]
; %bb.1948:                             ;   in Loop: Header=BB2_1749 Depth=2
	s_or_b64 exec, exec, s[22:23]
.LBB2_1949:                             ;   in Loop: Header=BB2_1749 Depth=2
	s_or_b64 exec, exec, s[20:21]
	v_lshrrev_b32_e32 v30, 16, v15
	v_cmp_ne_u16_sdwa s[18:19], v30, v3 src0_sel:BYTE_0 src1_sel:DWORD
	v_mov_b32_e32 v0, 0
	s_and_saveexec_b64 s[20:21], s[18:19]
	s_cbranch_execz .LBB2_1957
; %bb.1950:                             ;   in Loop: Header=BB2_1749 Depth=2
	v_cmp_ne_u16_sdwa s[18:19], v30, s53 src0_sel:BYTE_0 src1_sel:DWORD
	v_bfrev_b32_e32 v0, 1
	s_and_saveexec_b64 s[22:23], s[18:19]
	s_cbranch_execz .LBB2_1956
; %bb.1951:                             ;   in Loop: Header=BB2_1749 Depth=2
	v_and_b32_e32 v0, 0x7c0000, v15
	v_bfe_u32 v20, v15, 16, 2
	v_cmp_ne_u32_e64 s[18:19], s55, v0
                                        ; implicit-def: $vgpr0
	s_and_saveexec_b64 s[88:89], s[18:19]
	s_xor_b64 s[88:89], exec, s[88:89]
	s_cbranch_execz .LBB2_1953
; %bb.1952:                             ;   in Loop: Header=BB2_1749 Depth=2
	v_ffbh_u32_e32 v2, v20
	v_min_u32_e32 v2, 32, v2
	v_subrev_u32_e32 v24, 29, v2
	v_lshlrev_b64 v[24:25], v24, v[30:31]
	v_bfe_u32 v0, v15, 18, 5
	v_sub_u32_e32 v2, 30, v2
	v_and_b32_e32 v24, 3, v24
	v_cmp_eq_u32_e64 s[18:19], 0, v0
	v_cndmask_b32_e64 v0, v0, v2, s[18:19]
	v_cndmask_b32_e64 v2, v20, v24, s[18:19]
	v_lshlrev_b32_e32 v20, 8, v15
	v_and_b32_e32 v20, 0x80000000, v20
	v_lshl_add_u32 v0, v0, 23, v20
	v_lshl_or_b32 v0, v2, 21, v0
	v_add_u32_e32 v0, 0x38000000, v0
                                        ; implicit-def: $vgpr20
                                        ; implicit-def: $vgpr30
.LBB2_1953:                             ;   in Loop: Header=BB2_1749 Depth=2
	s_andn2_saveexec_b64 s[88:89], s[88:89]
; %bb.1954:                             ;   in Loop: Header=BB2_1749 Depth=2
	v_cmp_gt_i16_sdwa s[18:19], sext(v30), v56 src0_sel:BYTE_0 src1_sel:DWORD
	v_cndmask_b32_e64 v0, v57, v58, s[18:19]
	v_cmp_eq_u32_e64 s[18:19], 0, v20
	v_cndmask_b32_e64 v0, v59, v0, s[18:19]
; %bb.1955:                             ;   in Loop: Header=BB2_1749 Depth=2
	s_or_b64 exec, exec, s[88:89]
.LBB2_1956:                             ;   in Loop: Header=BB2_1749 Depth=2
	s_or_b64 exec, exec, s[22:23]
.LBB2_1957:                             ;   in Loop: Header=BB2_1749 Depth=2
	s_or_b64 exec, exec, s[20:21]
	v_lshrrev_b32_e32 v30, 16, v11
	v_cmp_gt_i16_sdwa s[20:21], v30, s52 src0_sel:BYTE_0 src1_sel:DWORD
	s_mov_b64 s[18:19], 0
	s_and_saveexec_b64 s[22:23], s[20:21]
	s_xor_b64 s[20:21], exec, s[22:23]
	s_cbranch_execz .LBB2_2280
; %bb.1958:                             ;   in Loop: Header=BB2_1749 Depth=2
	v_cmp_eq_u16_sdwa s[88:89], v30, s53 src0_sel:BYTE_0 src1_sel:DWORD
	s_mov_b64 s[18:19], -1
	s_and_saveexec_b64 s[22:23], s[88:89]
; %bb.1959:                             ;   in Loop: Header=BB2_1749 Depth=2
	s_xor_b64 s[18:19], exec, -1
; %bb.1960:                             ;   in Loop: Header=BB2_1749 Depth=2
	s_or_b64 exec, exec, s[22:23]
	s_and_b64 s[18:19], s[18:19], exec
	s_or_saveexec_b64 s[20:21], s[20:21]
	v_bfrev_b32_e32 v20, 1
	s_xor_b64 exec, exec, s[20:21]
	s_cbranch_execnz .LBB2_2281
.LBB2_1961:                             ;   in Loop: Header=BB2_1749 Depth=2
	s_or_b64 exec, exec, s[20:21]
	s_and_saveexec_b64 s[88:89], s[18:19]
	s_cbranch_execz .LBB2_1963
.LBB2_1962:                             ;   in Loop: Header=BB2_1749 Depth=2
	v_and_b32_e32 v2, 3, v30
	v_and_b32_e32 v24, 0x7c0000, v11
	v_cmp_eq_u32_e64 s[18:19], s55, v24
	v_ffbh_u32_e32 v24, v2
	v_min_u32_e32 v34, 32, v24
	v_subrev_u32_e32 v24, 29, v34
	v_bfe_u32 v20, v11, 18, 5
	v_lshlrev_b64 v[24:25], v24, v[30:31]
	v_cmp_eq_u32_e64 s[20:21], 0, v20
	v_sub_u32_e32 v25, 30, v34
	v_cndmask_b32_e64 v20, v20, v25, s[20:21]
	v_lshlrev_b32_e32 v25, 24, v30
	v_and_b32_e32 v24, 3, v24
	v_and_b32_e32 v25, 0x80000000, v25
	v_cndmask_b32_e64 v24, v2, v24, s[20:21]
	v_lshl_add_u32 v20, v20, 23, v25
	v_cmp_gt_i16_sdwa s[22:23], sext(v30), v56 src0_sel:BYTE_0 src1_sel:DWORD
	v_lshl_or_b32 v20, v24, 21, v20
	v_cmp_eq_u32_e64 s[20:21], 0, v2
	v_cndmask_b32_e64 v2, v57, v58, s[22:23]
	v_add_u32_e32 v20, 0x38000000, v20
	v_cndmask_b32_e64 v2, v59, v2, s[20:21]
	v_cndmask_b32_e64 v20, v20, v2, s[18:19]
.LBB2_1963:                             ;   in Loop: Header=BB2_1749 Depth=2
	s_or_b64 exec, exec, s[88:89]
	v_mul_f32_e32 v24, v0, v20
	v_and_b32_e32 v50, 0x7f800000, v24
	v_mov_b32_e32 v51, v3
	v_cmp_ne_u64_e64 s[18:19], s[58:59], v[50:51]
	v_and_b32_e32 v2, 0x7fffff, v24
                                        ; implicit-def: $vgpr43
	s_and_saveexec_b64 s[20:21], s[18:19]
	s_xor_b64 s[22:23], exec, s[20:21]
	s_cbranch_execz .LBB2_1977
; %bb.1964:                             ;   in Loop: Header=BB2_1749 Depth=2
	v_and_b32_e32 v50, 0x7fffffff, v24
	v_mov_b32_e32 v51, v3
	v_cmp_gt_u64_e64 s[18:19], s[60:61], v[50:51]
	v_and_b32_sdwa v0, v24, s53 dst_sel:DWORD dst_unused:UNUSED_PAD src0_sel:BYTE_3 src1_sel:DWORD
                                        ; implicit-def: $vgpr43
	s_and_saveexec_b64 s[20:21], s[18:19]
	s_xor_b64 s[88:89], exec, s[20:21]
	s_cbranch_execz .LBB2_1974
; %bb.1965:                             ;   in Loop: Header=BB2_1749 Depth=2
	v_mov_b32_e32 v43, 0
	v_cmp_ne_u32_e64 s[18:19], 0, v24
	s_and_saveexec_b64 s[90:91], s[18:19]
	s_cbranch_execz .LBB2_1973
; %bb.1966:                             ;   in Loop: Header=BB2_1749 Depth=2
	v_bfe_u32 v24, v24, 23, 8
	v_cmp_gt_u32_e64 s[20:21], s54, v24
	v_sub_u32_e32 v20, 0x71, v24
	v_cmp_eq_u32_e64 s[18:19], 0, v24
	v_cndmask_b32_e64 v20, 0, v20, s[20:21]
	v_mov_b32_e32 v30, 0x70
	v_or_b32_e32 v25, 0x800000, v2
	v_cndmask_b32_e64 v20, v20, v30, s[18:19]
	v_cndmask_b32_e64 v2, v25, v2, s[18:19]
	v_add_u32_e32 v25, 21, v20
	v_lshlrev_b64 v[50:51], v25, -1
	v_add_u32_e32 v25, 20, v20
	v_lshlrev_b64 v[41:42], v25, 1
	v_bfi_b32 v51, v51, 0, 0
	v_bfi_b32 v50, v50, 0, v2
	v_cmp_eq_u64_e64 s[20:21], v[50:51], v[41:42]
	v_lshrrev_b64 v[41:42], v20, v[2:3]
	v_mov_b32_e32 v43, v42
	v_mov_b32_e32 v42, v41
	s_and_saveexec_b64 s[92:93], s[20:21]
; %bb.1967:                             ;   in Loop: Header=BB2_1749 Depth=2
	v_bfe_u32 v2, v41, 21, 1
	v_add_co_u32_e64 v2, s[20:21], v41, v2
	v_add_co_u32_e64 v42, s[20:21], -1, v2
; %bb.1968:                             ;   in Loop: Header=BB2_1749 Depth=2
	s_or_b64 exec, exec, s[92:93]
	v_add_u32_e32 v2, 0xffffff81, v24
	v_cndmask_b32_e64 v2, v2, v61, s[18:19]
	v_lshrrev_b32_e32 v24, 23, v41
	v_add3_u32 v25, v20, v2, v24
	v_add_u32_e32 v24, 14, v25
	v_and_b32_e32 v2, 0x1fffff, v42
	v_add_u32_e32 v2, v2, v41
	v_cmp_ne_u32_e64 s[18:19], 0, v24
                                        ; implicit-def: $vgpr41_vgpr42
                                        ; implicit-def: $vgpr20
	s_and_saveexec_b64 s[20:21], s[18:19]
	s_xor_b64 s[20:21], exec, s[20:21]
; %bb.1969:                             ;   in Loop: Header=BB2_1749 Depth=2
	v_cmp_lt_u64_e64 s[18:19], s[62:63], v[2:3]
	v_add_u32_e32 v20, 15, v25
	v_cndmask_b32_e64 v20, v24, v20, s[18:19]
	v_cndmask_b32_e64 v24, 0, 1, s[18:19]
	v_lshrrev_b64 v[41:42], v24, v[2:3]
; %bb.1970:                             ;   in Loop: Header=BB2_1749 Depth=2
	s_andn2_saveexec_b64 s[18:19], s[20:21]
; %bb.1971:                             ;   in Loop: Header=BB2_1749 Depth=2
	v_mov_b32_e32 v42, v3
	v_bfe_u32 v20, v2, 23, 1
	v_mov_b32_e32 v41, v2
; %bb.1972:                             ;   in Loop: Header=BB2_1749 Depth=2
	s_or_b64 exec, exec, s[18:19]
	v_lshrrev_b64 v[24:25], 21, v[41:42]
	v_cmp_gt_i32_e64 s[18:19], 32, v20
	v_cndmask_b32_e64 v25, 0, v25, s[18:19]
	v_cndmask_b32_e64 v24, 3, v24, s[18:19]
	v_min_i32_e32 v2, 31, v20
	v_cmp_eq_u64_e64 s[20:21], 0, v[24:25]
	v_lshlrev_b32_e32 v2, 2, v2
	v_cmp_eq_u32_e64 s[18:19], 0, v20
	v_and_b32_e32 v2, 0xfc, v2
	v_and_or_b32 v2, v24, 3, v2
	s_and_b64 s[18:19], s[18:19], s[20:21]
	v_cndmask_b32_e64 v2, v2, 0, s[18:19]
	v_or_b32_e32 v43, v2, v0
.LBB2_1973:                             ;   in Loop: Header=BB2_1749 Depth=2
	s_or_b64 exec, exec, s[90:91]
                                        ; implicit-def: $vgpr0
.LBB2_1974:                             ;   in Loop: Header=BB2_1749 Depth=2
	s_andn2_saveexec_b64 s[18:19], s[88:89]
; %bb.1975:                             ;   in Loop: Header=BB2_1749 Depth=2
	v_or_b32_e32 v43, 0x7b, v0
; %bb.1976:                             ;   in Loop: Header=BB2_1749 Depth=2
	s_or_b64 exec, exec, s[18:19]
                                        ; implicit-def: $vgpr24
.LBB2_1977:                             ;   in Loop: Header=BB2_1749 Depth=2
	s_andn2_saveexec_b64 s[20:21], s[22:23]
	s_cbranch_execz .LBB2_1983
; %bb.1978:                             ;   in Loop: Header=BB2_1749 Depth=2
	v_cmp_ne_u64_e64 s[18:19], 0, v[2:3]
                                        ; implicit-def: $vgpr43
	s_and_saveexec_b64 s[22:23], s[18:19]
	s_xor_b64 s[18:19], exec, s[22:23]
; %bb.1979:                             ;   in Loop: Header=BB2_1749 Depth=2
	v_or_b32_sdwa v43, v24, s52 dst_sel:DWORD dst_unused:UNUSED_PAD src0_sel:BYTE_3 src1_sel:DWORD
                                        ; implicit-def: $vgpr24
; %bb.1980:                             ;   in Loop: Header=BB2_1749 Depth=2
	s_andn2_saveexec_b64 s[22:23], s[18:19]
; %bb.1981:                             ;   in Loop: Header=BB2_1749 Depth=2
	v_cmp_lt_i32_e64 s[18:19], -1, v24
	v_cndmask_b32_e64 v43, v31, v18, s[18:19]
; %bb.1982:                             ;   in Loop: Header=BB2_1749 Depth=2
	s_or_b64 exec, exec, s[22:23]
.LBB2_1983:                             ;   in Loop: Header=BB2_1749 Depth=2
	s_or_b64 exec, exec, s[20:21]
	v_cmp_lt_u64_e64 s[18:19], s[56:57], v[14:15]
	v_mov_b32_e32 v0, 0
	s_and_saveexec_b64 s[20:21], s[18:19]
	s_cbranch_execz .LBB2_1991
; %bb.1984:                             ;   in Loop: Header=BB2_1749 Depth=2
	v_lshrrev_b32_e32 v30, 24, v15
	v_cmp_ne_u32_e64 s[18:19], s53, v30
	v_bfrev_b32_e32 v0, 1
	s_and_saveexec_b64 s[22:23], s[18:19]
	s_cbranch_execz .LBB2_1990
; %bb.1985:                             ;   in Loop: Header=BB2_1749 Depth=2
	v_and_b32_e32 v0, 0x7c000000, v15
	v_bfe_u32 v20, v15, 24, 2
	v_cmp_ne_u32_e64 s[18:19], s64, v0
                                        ; implicit-def: $vgpr0
	s_and_saveexec_b64 s[88:89], s[18:19]
	s_xor_b64 s[88:89], exec, s[88:89]
	s_cbranch_execz .LBB2_1987
; %bb.1986:                             ;   in Loop: Header=BB2_1749 Depth=2
	v_ffbh_u32_e32 v2, v20
	v_min_u32_e32 v2, 32, v2
	v_subrev_u32_e32 v24, 29, v2
	v_lshlrev_b64 v[24:25], v24, v[30:31]
	v_bfe_u32 v0, v15, 26, 5
	v_sub_u32_e32 v2, 30, v2
	v_and_b32_e32 v24, 3, v24
	v_cmp_eq_u32_e64 s[18:19], 0, v0
	v_cndmask_b32_e64 v0, v0, v2, s[18:19]
	v_cndmask_b32_e64 v2, v20, v24, s[18:19]
	v_and_b32_e32 v20, 0x80000000, v15
	v_lshl_add_u32 v0, v0, 23, v20
	v_lshl_or_b32 v0, v2, 21, v0
	v_add_u32_e32 v0, 0x38000000, v0
                                        ; implicit-def: $vgpr20
.LBB2_1987:                             ;   in Loop: Header=BB2_1749 Depth=2
	s_andn2_saveexec_b64 s[88:89], s[88:89]
; %bb.1988:                             ;   in Loop: Header=BB2_1749 Depth=2
	v_cmp_lt_i64_e64 s[18:19], -1, v[14:15]
	v_cndmask_b32_e64 v0, v57, v58, s[18:19]
	v_cmp_eq_u32_e64 s[18:19], 0, v20
	v_cndmask_b32_e64 v0, v59, v0, s[18:19]
; %bb.1989:                             ;   in Loop: Header=BB2_1749 Depth=2
	s_or_b64 exec, exec, s[88:89]
.LBB2_1990:                             ;   in Loop: Header=BB2_1749 Depth=2
	s_or_b64 exec, exec, s[22:23]
.LBB2_1991:                             ;   in Loop: Header=BB2_1749 Depth=2
	s_or_b64 exec, exec, s[20:21]
	v_bfe_u32 v2, v11, 24, 2
	v_and_b32_e32 v20, 0x7c000000, v11
	v_cmp_eq_u32_e64 s[18:19], s64, v20
	v_ffbh_u32_e32 v20, v2
	v_min_u32_e32 v20, 32, v20
	v_lshrrev_b32_e32 v14, 24, v11
	v_bfe_u32 v15, v11, 26, 5
	v_subrev_u32_e32 v24, 29, v20
	v_lshlrev_b64 v[24:25], v24, v[14:15]
	v_cmp_eq_u32_e64 s[20:21], 0, v15
	v_sub_u32_e32 v20, 30, v20
	v_and_b32_e32 v24, 3, v24
	v_cndmask_b32_e64 v15, v15, v20, s[20:21]
	v_cndmask_b32_e64 v20, v2, v24, s[20:21]
	v_and_b32_e32 v24, 0x80000000, v11
	v_cmp_lt_i64_e64 s[22:23], -1, v[10:11]
	v_lshl_add_u32 v15, v15, 23, v24
	v_lshl_or_b32 v15, v20, 21, v15
	v_cmp_eq_u32_e64 s[20:21], 0, v2
	v_cndmask_b32_e64 v2, v57, v58, s[22:23]
	v_add_u32_e32 v15, 0x38000000, v15
	v_cndmask_b32_e64 v2, v59, v2, s[20:21]
	v_cndmask_b32_e64 v2, v15, v2, s[18:19]
	v_cmp_ne_u32_e64 s[18:19], s53, v14
	v_cndmask_b32_e64 v2, v19, v2, s[18:19]
	v_cmp_lt_u64_e64 s[18:19], s[56:57], v[10:11]
	v_mov_b32_e32 v15, v3
	v_cndmask_b32_e64 v2, 0, v2, s[18:19]
	v_mul_f32_e32 v10, v2, v0
	v_and_b32_e32 v14, 0x7f800000, v10
	v_cmp_ne_u64_e64 s[18:19], s[58:59], v[14:15]
	v_and_b32_e32 v2, 0x7fffff, v10
                                        ; implicit-def: $vgpr30
	s_and_saveexec_b64 s[20:21], s[18:19]
	s_xor_b64 s[22:23], exec, s[20:21]
	s_cbranch_execz .LBB2_2005
; %bb.1992:                             ;   in Loop: Header=BB2_1749 Depth=2
	v_and_b32_e32 v14, 0x7fffffff, v10
	v_mov_b32_e32 v15, v3
	v_cmp_gt_u64_e64 s[18:19], s[60:61], v[14:15]
	v_and_b32_sdwa v0, v10, s53 dst_sel:DWORD dst_unused:UNUSED_PAD src0_sel:BYTE_3 src1_sel:DWORD
                                        ; implicit-def: $vgpr30
	s_and_saveexec_b64 s[20:21], s[18:19]
	s_xor_b64 s[88:89], exec, s[20:21]
	s_cbranch_execz .LBB2_2002
; %bb.1993:                             ;   in Loop: Header=BB2_1749 Depth=2
	v_mov_b32_e32 v30, 0
	v_cmp_ne_u32_e64 s[18:19], 0, v10
	s_and_saveexec_b64 s[90:91], s[18:19]
	s_cbranch_execz .LBB2_2001
; %bb.1994:                             ;   in Loop: Header=BB2_1749 Depth=2
	v_bfe_u32 v24, v10, 23, 8
	v_cmp_gt_u32_e64 s[20:21], s54, v24
	v_sub_u32_e32 v10, 0x71, v24
	v_cmp_eq_u32_e64 s[18:19], 0, v24
	v_cndmask_b32_e64 v10, 0, v10, s[20:21]
	v_mov_b32_e32 v14, 0x70
	v_cndmask_b32_e64 v20, v10, v14, s[18:19]
	v_or_b32_e32 v11, 0x800000, v2
	v_add_u32_e32 v10, 21, v20
	v_cndmask_b32_e64 v2, v11, v2, s[18:19]
	v_lshlrev_b64 v[10:11], v10, -1
	v_add_u32_e32 v14, 20, v20
	v_lshlrev_b64 v[14:15], v14, 1
	v_bfi_b32 v11, v11, 0, 0
	v_bfi_b32 v10, v10, 0, v2
	v_cmp_eq_u64_e64 s[20:21], v[10:11], v[14:15]
	v_lshrrev_b64 v[10:11], v20, v[2:3]
	v_mov_b32_e32 v15, v11
	v_mov_b32_e32 v14, v10
	s_and_saveexec_b64 s[92:93], s[20:21]
; %bb.1995:                             ;   in Loop: Header=BB2_1749 Depth=2
	v_bfe_u32 v2, v10, 21, 1
	v_add_co_u32_e64 v2, s[20:21], v10, v2
	v_add_co_u32_e64 v14, s[20:21], -1, v2
; %bb.1996:                             ;   in Loop: Header=BB2_1749 Depth=2
	s_or_b64 exec, exec, s[92:93]
	v_add_u32_e32 v2, 0xffffff81, v24
	v_cndmask_b32_e64 v2, v2, v61, s[18:19]
	v_lshrrev_b32_e32 v11, 23, v10
	v_add3_u32 v20, v20, v2, v11
	v_add_u32_e32 v15, 14, v20
	v_and_b32_e32 v2, 0x1fffff, v14
	v_add_u32_e32 v2, v2, v10
	v_cmp_ne_u32_e64 s[18:19], 0, v15
                                        ; implicit-def: $vgpr10_vgpr11
                                        ; implicit-def: $vgpr14
	s_and_saveexec_b64 s[20:21], s[18:19]
	s_xor_b64 s[20:21], exec, s[20:21]
; %bb.1997:                             ;   in Loop: Header=BB2_1749 Depth=2
	v_cmp_lt_u64_e64 s[18:19], s[62:63], v[2:3]
	v_add_u32_e32 v10, 15, v20
	v_cndmask_b32_e64 v14, v15, v10, s[18:19]
	v_cndmask_b32_e64 v10, 0, 1, s[18:19]
	v_lshrrev_b64 v[10:11], v10, v[2:3]
; %bb.1998:                             ;   in Loop: Header=BB2_1749 Depth=2
	s_andn2_saveexec_b64 s[18:19], s[20:21]
; %bb.1999:                             ;   in Loop: Header=BB2_1749 Depth=2
	v_mov_b32_e32 v11, v3
	v_bfe_u32 v14, v2, 23, 1
	v_mov_b32_e32 v10, v2
; %bb.2000:                             ;   in Loop: Header=BB2_1749 Depth=2
	s_or_b64 exec, exec, s[18:19]
	v_lshrrev_b64 v[10:11], 21, v[10:11]
	v_cmp_gt_i32_e64 s[18:19], 32, v14
	v_cndmask_b32_e64 v11, 0, v11, s[18:19]
	v_cndmask_b32_e64 v10, 3, v10, s[18:19]
	v_min_i32_e32 v2, 31, v14
	v_cmp_eq_u64_e64 s[20:21], 0, v[10:11]
	v_lshlrev_b32_e32 v2, 2, v2
	v_cmp_eq_u32_e64 s[18:19], 0, v14
	v_and_b32_e32 v2, 0xfc, v2
	v_and_or_b32 v2, v10, 3, v2
	s_and_b64 s[18:19], s[18:19], s[20:21]
	v_cndmask_b32_e64 v2, v2, 0, s[18:19]
	v_or_b32_e32 v30, v2, v0
.LBB2_2001:                             ;   in Loop: Header=BB2_1749 Depth=2
	s_or_b64 exec, exec, s[90:91]
                                        ; implicit-def: $vgpr0
.LBB2_2002:                             ;   in Loop: Header=BB2_1749 Depth=2
	s_andn2_saveexec_b64 s[18:19], s[88:89]
; %bb.2003:                             ;   in Loop: Header=BB2_1749 Depth=2
	v_or_b32_e32 v30, 0x7b, v0
; %bb.2004:                             ;   in Loop: Header=BB2_1749 Depth=2
	s_or_b64 exec, exec, s[18:19]
                                        ; implicit-def: $vgpr10
.LBB2_2005:                             ;   in Loop: Header=BB2_1749 Depth=2
	s_andn2_saveexec_b64 s[20:21], s[22:23]
	s_cbranch_execz .LBB2_2011
; %bb.2006:                             ;   in Loop: Header=BB2_1749 Depth=2
	v_cmp_ne_u64_e64 s[18:19], 0, v[2:3]
                                        ; implicit-def: $vgpr30
	s_and_saveexec_b64 s[22:23], s[18:19]
	s_xor_b64 s[18:19], exec, s[22:23]
; %bb.2007:                             ;   in Loop: Header=BB2_1749 Depth=2
	v_or_b32_sdwa v30, v10, s52 dst_sel:DWORD dst_unused:UNUSED_PAD src0_sel:BYTE_3 src1_sel:DWORD
                                        ; implicit-def: $vgpr10
; %bb.2008:                             ;   in Loop: Header=BB2_1749 Depth=2
	s_andn2_saveexec_b64 s[22:23], s[18:19]
; %bb.2009:                             ;   in Loop: Header=BB2_1749 Depth=2
	v_cmp_lt_i32_e64 s[18:19], -1, v10
	v_cndmask_b32_e64 v30, v31, v18, s[18:19]
; %bb.2010:                             ;   in Loop: Header=BB2_1749 Depth=2
	s_or_b64 exec, exec, s[22:23]
.LBB2_2011:                             ;   in Loop: Header=BB2_1749 Depth=2
	s_or_b64 exec, exec, s[20:21]
	v_cmp_ne_u16_sdwa s[18:19], v16, v3 src0_sel:BYTE_0 src1_sel:DWORD
	v_mov_b32_e32 v0, 0
	s_and_saveexec_b64 s[20:21], s[18:19]
	s_cbranch_execz .LBB2_2019
; %bb.2012:                             ;   in Loop: Header=BB2_1749 Depth=2
	v_cmp_ne_u16_sdwa s[18:19], sext(v16), s49 src0_sel:BYTE_0 src1_sel:DWORD
	v_bfrev_b32_e32 v0, 1
	s_and_saveexec_b64 s[22:23], s[18:19]
	s_cbranch_execz .LBB2_2018
; %bb.2013:                             ;   in Loop: Header=BB2_1749 Depth=2
	v_and_b32_e32 v0, 0x7c, v16
	v_and_b32_e32 v10, 3, v16
	v_cmp_ne_u32_e64 s[18:19], s50, v0
                                        ; implicit-def: $vgpr0
	s_and_saveexec_b64 s[88:89], s[18:19]
	s_xor_b64 s[88:89], exec, s[88:89]
	s_cbranch_execz .LBB2_2015
; %bb.2014:                             ;   in Loop: Header=BB2_1749 Depth=2
	v_ffbh_u32_e32 v2, v10
	v_min_u32_e32 v2, 32, v2
	v_subrev_u32_e32 v11, 29, v2
	v_lshlrev_b64 v[14:15], v11, v[16:17]
	v_bfe_u32 v0, v16, 2, 5
	v_sub_u32_e32 v2, 30, v2
	v_and_b32_e32 v11, 3, v14
	v_cmp_eq_u32_e64 s[18:19], 0, v0
	v_cndmask_b32_e64 v0, v0, v2, s[18:19]
	v_cndmask_b32_e64 v2, v10, v11, s[18:19]
	v_lshlrev_b32_e32 v10, 24, v16
	v_and_b32_e32 v10, 0x80000000, v10
	v_lshl_add_u32 v0, v0, 23, v10
	v_lshl_or_b32 v0, v2, 21, v0
	v_add_u32_e32 v0, 0x38000000, v0
                                        ; implicit-def: $vgpr10
.LBB2_2015:                             ;   in Loop: Header=BB2_1749 Depth=2
	s_andn2_saveexec_b64 s[88:89], s[88:89]
; %bb.2016:                             ;   in Loop: Header=BB2_1749 Depth=2
	v_cmp_gt_i16_sdwa s[18:19], sext(v16), v56 src0_sel:BYTE_0 src1_sel:DWORD
	v_cndmask_b32_e64 v0, v57, v58, s[18:19]
	v_cmp_eq_u32_e64 s[18:19], 0, v10
	v_cndmask_b32_e64 v0, v59, v0, s[18:19]
; %bb.2017:                             ;   in Loop: Header=BB2_1749 Depth=2
	s_or_b64 exec, exec, s[88:89]
.LBB2_2018:                             ;   in Loop: Header=BB2_1749 Depth=2
	s_or_b64 exec, exec, s[22:23]
.LBB2_2019:                             ;   in Loop: Header=BB2_1749 Depth=2
	s_or_b64 exec, exec, s[20:21]
	v_cmp_gt_i16_sdwa s[20:21], v12, s52 src0_sel:BYTE_0 src1_sel:DWORD
	s_mov_b64 s[18:19], 0
	s_and_saveexec_b64 s[22:23], s[20:21]
	s_xor_b64 s[20:21], exec, s[22:23]
	s_cbranch_execz .LBB2_2282
; %bb.2020:                             ;   in Loop: Header=BB2_1749 Depth=2
	v_cmp_eq_u16_sdwa s[88:89], v12, s53 src0_sel:BYTE_0 src1_sel:DWORD
	s_mov_b64 s[18:19], -1
	s_and_saveexec_b64 s[22:23], s[88:89]
; %bb.2021:                             ;   in Loop: Header=BB2_1749 Depth=2
	s_xor_b64 s[18:19], exec, -1
; %bb.2022:                             ;   in Loop: Header=BB2_1749 Depth=2
	s_or_b64 exec, exec, s[22:23]
	s_and_b64 s[18:19], s[18:19], exec
	s_or_saveexec_b64 s[20:21], s[20:21]
	v_bfrev_b32_e32 v10, 1
	s_xor_b64 exec, exec, s[20:21]
	s_cbranch_execnz .LBB2_2283
.LBB2_2023:                             ;   in Loop: Header=BB2_1749 Depth=2
	s_or_b64 exec, exec, s[20:21]
	s_and_saveexec_b64 s[88:89], s[18:19]
	s_cbranch_execz .LBB2_2025
.LBB2_2024:                             ;   in Loop: Header=BB2_1749 Depth=2
	v_and_b32_e32 v2, 3, v12
	v_and_b32_e32 v10, 0x7c, v12
	v_cmp_eq_u32_e64 s[18:19], s50, v10
	v_ffbh_u32_e32 v10, v2
	v_min_u32_e32 v15, 32, v10
	v_subrev_u32_e32 v10, 29, v15
	v_bfe_u32 v14, v12, 2, 5
	v_lshlrev_b64 v[10:11], v10, v[12:13]
	v_cmp_eq_u32_e64 s[20:21], 0, v14
	v_sub_u32_e32 v11, 30, v15
	v_cndmask_b32_e64 v11, v14, v11, s[20:21]
	v_lshlrev_b32_e32 v14, 24, v12
	v_and_b32_e32 v10, 3, v10
	v_and_b32_e32 v14, 0x80000000, v14
	v_cndmask_b32_e64 v10, v2, v10, s[20:21]
	v_lshl_add_u32 v11, v11, 23, v14
	v_cmp_gt_i16_sdwa s[22:23], sext(v12), v56 src0_sel:BYTE_0 src1_sel:DWORD
	v_lshl_or_b32 v10, v10, 21, v11
	v_cmp_eq_u32_e64 s[20:21], 0, v2
	v_cndmask_b32_e64 v2, v57, v58, s[22:23]
	v_add_u32_e32 v10, 0x38000000, v10
	v_cndmask_b32_e64 v2, v59, v2, s[20:21]
	v_cndmask_b32_e64 v10, v10, v2, s[18:19]
.LBB2_2025:                             ;   in Loop: Header=BB2_1749 Depth=2
	s_or_b64 exec, exec, s[88:89]
	v_mul_f32_e32 v10, v0, v10
	v_and_b32_e32 v14, 0x7f800000, v10
	v_mov_b32_e32 v15, v3
	v_cmp_ne_u64_e64 s[18:19], s[58:59], v[14:15]
	v_and_b32_e32 v2, 0x7fffff, v10
                                        ; implicit-def: $vgpr50
	s_and_saveexec_b64 s[20:21], s[18:19]
	s_xor_b64 s[22:23], exec, s[20:21]
	s_cbranch_execz .LBB2_2039
; %bb.2026:                             ;   in Loop: Header=BB2_1749 Depth=2
	v_and_b32_e32 v14, 0x7fffffff, v10
	v_mov_b32_e32 v15, v3
	v_cmp_gt_u64_e64 s[18:19], s[60:61], v[14:15]
	v_and_b32_sdwa v0, v10, s53 dst_sel:DWORD dst_unused:UNUSED_PAD src0_sel:BYTE_3 src1_sel:DWORD
                                        ; implicit-def: $vgpr50
	s_and_saveexec_b64 s[20:21], s[18:19]
	s_xor_b64 s[88:89], exec, s[20:21]
	s_cbranch_execz .LBB2_2036
; %bb.2027:                             ;   in Loop: Header=BB2_1749 Depth=2
	v_mov_b32_e32 v50, 0
	v_cmp_ne_u32_e64 s[18:19], 0, v10
	s_and_saveexec_b64 s[90:91], s[18:19]
	s_cbranch_execz .LBB2_2035
; %bb.2028:                             ;   in Loop: Header=BB2_1749 Depth=2
	v_bfe_u32 v24, v10, 23, 8
	v_cmp_gt_u32_e64 s[20:21], s54, v24
	v_sub_u32_e32 v10, 0x71, v24
	v_cmp_eq_u32_e64 s[18:19], 0, v24
	v_cndmask_b32_e64 v10, 0, v10, s[20:21]
	v_mov_b32_e32 v14, 0x70
	v_cndmask_b32_e64 v20, v10, v14, s[18:19]
	v_or_b32_e32 v11, 0x800000, v2
	v_add_u32_e32 v10, 21, v20
	v_cndmask_b32_e64 v2, v11, v2, s[18:19]
	v_lshlrev_b64 v[10:11], v10, -1
	v_add_u32_e32 v14, 20, v20
	v_lshlrev_b64 v[14:15], v14, 1
	v_bfi_b32 v11, v11, 0, 0
	v_bfi_b32 v10, v10, 0, v2
	v_cmp_eq_u64_e64 s[20:21], v[10:11], v[14:15]
	v_lshrrev_b64 v[10:11], v20, v[2:3]
	v_mov_b32_e32 v15, v11
	v_mov_b32_e32 v14, v10
	s_and_saveexec_b64 s[92:93], s[20:21]
; %bb.2029:                             ;   in Loop: Header=BB2_1749 Depth=2
	v_bfe_u32 v2, v10, 21, 1
	v_add_co_u32_e64 v2, s[20:21], v10, v2
	v_add_co_u32_e64 v14, s[20:21], -1, v2
; %bb.2030:                             ;   in Loop: Header=BB2_1749 Depth=2
	s_or_b64 exec, exec, s[92:93]
	v_add_u32_e32 v2, 0xffffff81, v24
	v_cndmask_b32_e64 v2, v2, v61, s[18:19]
	v_lshrrev_b32_e32 v11, 23, v10
	v_add3_u32 v20, v20, v2, v11
	v_add_u32_e32 v15, 14, v20
	v_and_b32_e32 v2, 0x1fffff, v14
	v_add_u32_e32 v2, v2, v10
	v_cmp_ne_u32_e64 s[18:19], 0, v15
                                        ; implicit-def: $vgpr10_vgpr11
                                        ; implicit-def: $vgpr14
	s_and_saveexec_b64 s[20:21], s[18:19]
	s_xor_b64 s[20:21], exec, s[20:21]
; %bb.2031:                             ;   in Loop: Header=BB2_1749 Depth=2
	v_cmp_lt_u64_e64 s[18:19], s[62:63], v[2:3]
	v_add_u32_e32 v10, 15, v20
	v_cndmask_b32_e64 v14, v15, v10, s[18:19]
	v_cndmask_b32_e64 v10, 0, 1, s[18:19]
	v_lshrrev_b64 v[10:11], v10, v[2:3]
; %bb.2032:                             ;   in Loop: Header=BB2_1749 Depth=2
	s_andn2_saveexec_b64 s[18:19], s[20:21]
; %bb.2033:                             ;   in Loop: Header=BB2_1749 Depth=2
	v_mov_b32_e32 v11, v3
	v_bfe_u32 v14, v2, 23, 1
	v_mov_b32_e32 v10, v2
; %bb.2034:                             ;   in Loop: Header=BB2_1749 Depth=2
	s_or_b64 exec, exec, s[18:19]
	v_lshrrev_b64 v[10:11], 21, v[10:11]
	v_cmp_gt_i32_e64 s[18:19], 32, v14
	v_cndmask_b32_e64 v11, 0, v11, s[18:19]
	v_cndmask_b32_e64 v10, 3, v10, s[18:19]
	v_min_i32_e32 v2, 31, v14
	v_cmp_eq_u64_e64 s[20:21], 0, v[10:11]
	v_lshlrev_b32_e32 v2, 2, v2
	v_cmp_eq_u32_e64 s[18:19], 0, v14
	v_and_b32_e32 v2, 0xfc, v2
	v_and_or_b32 v2, v10, 3, v2
	s_and_b64 s[18:19], s[18:19], s[20:21]
	v_cndmask_b32_e64 v2, v2, 0, s[18:19]
	v_or_b32_e32 v50, v2, v0
.LBB2_2035:                             ;   in Loop: Header=BB2_1749 Depth=2
	s_or_b64 exec, exec, s[90:91]
                                        ; implicit-def: $vgpr0
.LBB2_2036:                             ;   in Loop: Header=BB2_1749 Depth=2
	s_andn2_saveexec_b64 s[18:19], s[88:89]
; %bb.2037:                             ;   in Loop: Header=BB2_1749 Depth=2
	v_or_b32_e32 v50, 0x7b, v0
; %bb.2038:                             ;   in Loop: Header=BB2_1749 Depth=2
	s_or_b64 exec, exec, s[18:19]
                                        ; implicit-def: $vgpr10
.LBB2_2039:                             ;   in Loop: Header=BB2_1749 Depth=2
	s_andn2_saveexec_b64 s[20:21], s[22:23]
	s_cbranch_execz .LBB2_2045
; %bb.2040:                             ;   in Loop: Header=BB2_1749 Depth=2
	v_cmp_ne_u64_e64 s[18:19], 0, v[2:3]
                                        ; implicit-def: $vgpr50
	s_and_saveexec_b64 s[22:23], s[18:19]
	s_xor_b64 s[18:19], exec, s[22:23]
; %bb.2041:                             ;   in Loop: Header=BB2_1749 Depth=2
	v_or_b32_sdwa v50, v10, s52 dst_sel:DWORD dst_unused:UNUSED_PAD src0_sel:BYTE_3 src1_sel:DWORD
                                        ; implicit-def: $vgpr10
; %bb.2042:                             ;   in Loop: Header=BB2_1749 Depth=2
	s_andn2_saveexec_b64 s[22:23], s[18:19]
; %bb.2043:                             ;   in Loop: Header=BB2_1749 Depth=2
	v_cmp_lt_i32_e64 s[18:19], -1, v10
	v_cndmask_b32_e64 v50, v31, v18, s[18:19]
; %bb.2044:                             ;   in Loop: Header=BB2_1749 Depth=2
	s_or_b64 exec, exec, s[22:23]
.LBB2_2045:                             ;   in Loop: Header=BB2_1749 Depth=2
	s_or_b64 exec, exec, s[20:21]
	v_lshrrev_b16_e32 v2, 8, v16
	v_cmp_ne_u16_e64 s[18:19], 0, v2
	v_mov_b32_e32 v0, 0
	s_and_saveexec_b64 s[20:21], s[18:19]
	s_cbranch_execz .LBB2_2053
; %bb.2046:                             ;   in Loop: Header=BB2_1749 Depth=2
	v_cmp_ne_u16_e64 s[18:19], s53, v2
	v_bfrev_b32_e32 v0, 1
	s_and_saveexec_b64 s[22:23], s[18:19]
	s_cbranch_execz .LBB2_2052
; %bb.2047:                             ;   in Loop: Header=BB2_1749 Depth=2
	v_and_b32_e32 v0, 0x7c, v2
	v_and_b32_e32 v10, 3, v2
	v_cmp_ne_u32_e64 s[18:19], s50, v0
                                        ; implicit-def: $vgpr0
	s_and_saveexec_b64 s[88:89], s[18:19]
	s_xor_b64 s[88:89], exec, s[88:89]
	s_cbranch_execz .LBB2_2049
; %bb.2048:                             ;   in Loop: Header=BB2_1749 Depth=2
	v_ffbh_u32_e32 v11, v10
	v_min_u32_e32 v11, 32, v11
	v_subrev_u32_e32 v14, 29, v11
	v_lshlrev_b64 v[14:15], v14, v[2:3]
	v_bfe_u32 v0, v2, 2, 5
	v_sub_u32_e32 v2, 30, v11
	v_and_b32_e32 v11, 3, v14
	v_cmp_eq_u32_e64 s[18:19], 0, v0
	v_cndmask_b32_e64 v0, v0, v2, s[18:19]
	v_cndmask_b32_e64 v2, v10, v11, s[18:19]
	v_lshlrev_b32_e32 v10, 16, v16
	v_and_b32_e32 v10, 0x80000000, v10
	v_lshl_add_u32 v0, v0, 23, v10
	v_lshl_or_b32 v0, v2, 21, v0
	v_add_u32_e32 v0, 0x38000000, v0
                                        ; implicit-def: $vgpr10
.LBB2_2049:                             ;   in Loop: Header=BB2_1749 Depth=2
	s_andn2_saveexec_b64 s[88:89], s[88:89]
; %bb.2050:                             ;   in Loop: Header=BB2_1749 Depth=2
	v_cmp_lt_i16_e64 s[18:19], -1, v16
	v_cndmask_b32_e64 v0, v57, v58, s[18:19]
	v_cmp_eq_u32_e64 s[18:19], 0, v10
	v_cndmask_b32_e64 v0, v59, v0, s[18:19]
; %bb.2051:                             ;   in Loop: Header=BB2_1749 Depth=2
	s_or_b64 exec, exec, s[88:89]
.LBB2_2052:                             ;   in Loop: Header=BB2_1749 Depth=2
	s_or_b64 exec, exec, s[22:23]
.LBB2_2053:                             ;   in Loop: Header=BB2_1749 Depth=2
	s_or_b64 exec, exec, s[20:21]
	v_lshrrev_b16_e32 v2, 8, v12
	v_cmp_lt_i16_e64 s[18:19], s52, v2
	s_mov_b64 s[20:21], 0
	s_and_saveexec_b64 s[22:23], s[18:19]
	s_xor_b64 s[22:23], exec, s[22:23]
	s_cbranch_execz .LBB2_2284
; %bb.2054:                             ;   in Loop: Header=BB2_1749 Depth=2
	v_cmp_eq_u16_e64 s[18:19], s53, v2
	s_mov_b64 s[20:21], -1
	s_and_saveexec_b64 s[88:89], s[18:19]
; %bb.2055:                             ;   in Loop: Header=BB2_1749 Depth=2
	s_xor_b64 s[20:21], exec, -1
; %bb.2056:                             ;   in Loop: Header=BB2_1749 Depth=2
	s_or_b64 exec, exec, s[88:89]
	s_and_b64 s[20:21], s[20:21], exec
	s_or_saveexec_b64 s[22:23], s[22:23]
	v_bfrev_b32_e32 v10, 1
	s_xor_b64 exec, exec, s[22:23]
	s_cbranch_execnz .LBB2_2285
.LBB2_2057:                             ;   in Loop: Header=BB2_1749 Depth=2
	s_or_b64 exec, exec, s[22:23]
	s_and_saveexec_b64 s[88:89], s[20:21]
	s_cbranch_execz .LBB2_2059
.LBB2_2058:                             ;   in Loop: Header=BB2_1749 Depth=2
	v_and_b32_e32 v14, 3, v2
	v_and_b32_e32 v10, 0x7c, v2
	v_cmp_eq_u32_e64 s[18:19], s50, v10
	v_ffbh_u32_e32 v10, v14
	v_min_u32_e32 v20, 32, v10
	v_subrev_u32_e32 v10, 29, v20
	v_bfe_u32 v15, v2, 2, 5
	v_lshlrev_b64 v[10:11], v10, v[2:3]
	v_cmp_eq_u32_e64 s[20:21], 0, v15
	v_sub_u32_e32 v11, 30, v20
	v_lshlrev_b32_e32 v2, 24, v2
	v_and_b32_e32 v10, 3, v10
	v_cndmask_b32_e64 v11, v15, v11, s[20:21]
	v_and_b32_e32 v2, 0x80000000, v2
	v_cndmask_b32_e64 v10, v14, v10, s[20:21]
	v_lshl_add_u32 v2, v11, 23, v2
	v_cmp_lt_i16_e64 s[22:23], -1, v12
	v_lshl_or_b32 v2, v10, 21, v2
	v_cmp_eq_u32_e64 s[20:21], 0, v14
	v_cndmask_b32_e64 v10, v57, v58, s[22:23]
	v_add_u32_e32 v2, 0x38000000, v2
	v_cndmask_b32_e64 v10, v59, v10, s[20:21]
	v_cndmask_b32_e64 v10, v2, v10, s[18:19]
.LBB2_2059:                             ;   in Loop: Header=BB2_1749 Depth=2
	s_or_b64 exec, exec, s[88:89]
	v_mul_f32_e32 v10, v0, v10
	v_and_b32_e32 v14, 0x7f800000, v10
	v_mov_b32_e32 v15, v3
	v_cmp_ne_u64_e64 s[18:19], s[58:59], v[14:15]
	v_and_b32_e32 v2, 0x7fffff, v10
                                        ; implicit-def: $vgpr51
	s_and_saveexec_b64 s[20:21], s[18:19]
	s_xor_b64 s[22:23], exec, s[20:21]
	s_cbranch_execz .LBB2_2073
; %bb.2060:                             ;   in Loop: Header=BB2_1749 Depth=2
	v_and_b32_e32 v14, 0x7fffffff, v10
	v_mov_b32_e32 v15, v3
	v_cmp_gt_u64_e64 s[18:19], s[60:61], v[14:15]
	v_and_b32_sdwa v0, v10, s53 dst_sel:DWORD dst_unused:UNUSED_PAD src0_sel:BYTE_3 src1_sel:DWORD
                                        ; implicit-def: $vgpr51
	s_and_saveexec_b64 s[20:21], s[18:19]
	s_xor_b64 s[88:89], exec, s[20:21]
	s_cbranch_execz .LBB2_2070
; %bb.2061:                             ;   in Loop: Header=BB2_1749 Depth=2
	v_mov_b32_e32 v51, 0
	v_cmp_ne_u32_e64 s[18:19], 0, v10
	s_and_saveexec_b64 s[90:91], s[18:19]
	s_cbranch_execz .LBB2_2069
; %bb.2062:                             ;   in Loop: Header=BB2_1749 Depth=2
	v_bfe_u32 v24, v10, 23, 8
	v_cmp_gt_u32_e64 s[20:21], s54, v24
	v_sub_u32_e32 v10, 0x71, v24
	v_cmp_eq_u32_e64 s[18:19], 0, v24
	v_cndmask_b32_e64 v10, 0, v10, s[20:21]
	v_mov_b32_e32 v14, 0x70
	v_cndmask_b32_e64 v20, v10, v14, s[18:19]
	v_or_b32_e32 v11, 0x800000, v2
	v_add_u32_e32 v10, 21, v20
	v_cndmask_b32_e64 v2, v11, v2, s[18:19]
	v_lshlrev_b64 v[10:11], v10, -1
	v_add_u32_e32 v14, 20, v20
	v_lshlrev_b64 v[14:15], v14, 1
	v_bfi_b32 v11, v11, 0, 0
	v_bfi_b32 v10, v10, 0, v2
	v_cmp_eq_u64_e64 s[20:21], v[10:11], v[14:15]
	v_lshrrev_b64 v[10:11], v20, v[2:3]
	v_mov_b32_e32 v15, v11
	v_mov_b32_e32 v14, v10
	s_and_saveexec_b64 s[92:93], s[20:21]
; %bb.2063:                             ;   in Loop: Header=BB2_1749 Depth=2
	v_bfe_u32 v2, v10, 21, 1
	v_add_co_u32_e64 v2, s[20:21], v10, v2
	v_add_co_u32_e64 v14, s[20:21], -1, v2
; %bb.2064:                             ;   in Loop: Header=BB2_1749 Depth=2
	s_or_b64 exec, exec, s[92:93]
	v_add_u32_e32 v2, 0xffffff81, v24
	v_cndmask_b32_e64 v2, v2, v61, s[18:19]
	v_lshrrev_b32_e32 v11, 23, v10
	v_add3_u32 v20, v20, v2, v11
	v_add_u32_e32 v15, 14, v20
	v_and_b32_e32 v2, 0x1fffff, v14
	v_add_u32_e32 v2, v2, v10
	v_cmp_ne_u32_e64 s[18:19], 0, v15
                                        ; implicit-def: $vgpr10_vgpr11
                                        ; implicit-def: $vgpr14
	s_and_saveexec_b64 s[20:21], s[18:19]
	s_xor_b64 s[20:21], exec, s[20:21]
; %bb.2065:                             ;   in Loop: Header=BB2_1749 Depth=2
	v_cmp_lt_u64_e64 s[18:19], s[62:63], v[2:3]
	v_add_u32_e32 v10, 15, v20
	v_cndmask_b32_e64 v14, v15, v10, s[18:19]
	v_cndmask_b32_e64 v10, 0, 1, s[18:19]
	v_lshrrev_b64 v[10:11], v10, v[2:3]
; %bb.2066:                             ;   in Loop: Header=BB2_1749 Depth=2
	s_andn2_saveexec_b64 s[18:19], s[20:21]
; %bb.2067:                             ;   in Loop: Header=BB2_1749 Depth=2
	v_mov_b32_e32 v11, v3
	v_bfe_u32 v14, v2, 23, 1
	v_mov_b32_e32 v10, v2
; %bb.2068:                             ;   in Loop: Header=BB2_1749 Depth=2
	s_or_b64 exec, exec, s[18:19]
	v_lshrrev_b64 v[10:11], 21, v[10:11]
	v_cmp_gt_i32_e64 s[18:19], 32, v14
	v_cndmask_b32_e64 v11, 0, v11, s[18:19]
	v_cndmask_b32_e64 v10, 3, v10, s[18:19]
	v_min_i32_e32 v2, 31, v14
	v_cmp_eq_u64_e64 s[20:21], 0, v[10:11]
	v_lshlrev_b32_e32 v2, 2, v2
	v_cmp_eq_u32_e64 s[18:19], 0, v14
	v_and_b32_e32 v2, 0xfc, v2
	v_and_or_b32 v2, v10, 3, v2
	s_and_b64 s[18:19], s[18:19], s[20:21]
	v_cndmask_b32_e64 v2, v2, 0, s[18:19]
	v_or_b32_e32 v51, v2, v0
.LBB2_2069:                             ;   in Loop: Header=BB2_1749 Depth=2
	s_or_b64 exec, exec, s[90:91]
                                        ; implicit-def: $vgpr0
.LBB2_2070:                             ;   in Loop: Header=BB2_1749 Depth=2
	s_andn2_saveexec_b64 s[18:19], s[88:89]
; %bb.2071:                             ;   in Loop: Header=BB2_1749 Depth=2
	v_or_b32_e32 v51, 0x7b, v0
; %bb.2072:                             ;   in Loop: Header=BB2_1749 Depth=2
	s_or_b64 exec, exec, s[18:19]
                                        ; implicit-def: $vgpr10
.LBB2_2073:                             ;   in Loop: Header=BB2_1749 Depth=2
	s_andn2_saveexec_b64 s[20:21], s[22:23]
	s_cbranch_execz .LBB2_2079
; %bb.2074:                             ;   in Loop: Header=BB2_1749 Depth=2
	v_cmp_ne_u64_e64 s[18:19], 0, v[2:3]
                                        ; implicit-def: $vgpr51
	s_and_saveexec_b64 s[22:23], s[18:19]
	s_xor_b64 s[18:19], exec, s[22:23]
; %bb.2075:                             ;   in Loop: Header=BB2_1749 Depth=2
	v_or_b32_sdwa v51, v10, s52 dst_sel:DWORD dst_unused:UNUSED_PAD src0_sel:BYTE_3 src1_sel:DWORD
                                        ; implicit-def: $vgpr10
; %bb.2076:                             ;   in Loop: Header=BB2_1749 Depth=2
	s_andn2_saveexec_b64 s[22:23], s[18:19]
; %bb.2077:                             ;   in Loop: Header=BB2_1749 Depth=2
	v_cmp_lt_i32_e64 s[18:19], -1, v10
	v_cndmask_b32_e64 v51, v31, v18, s[18:19]
; %bb.2078:                             ;   in Loop: Header=BB2_1749 Depth=2
	s_or_b64 exec, exec, s[22:23]
.LBB2_2079:                             ;   in Loop: Header=BB2_1749 Depth=2
	s_or_b64 exec, exec, s[20:21]
	v_lshrrev_b32_e32 v10, 16, v16
	v_cmp_ne_u16_sdwa s[18:19], v10, v3 src0_sel:BYTE_0 src1_sel:DWORD
	v_mov_b32_e32 v0, 0
	s_and_saveexec_b64 s[20:21], s[18:19]
	s_cbranch_execz .LBB2_2087
; %bb.2080:                             ;   in Loop: Header=BB2_1749 Depth=2
	v_cmp_ne_u16_sdwa s[18:19], v10, s53 src0_sel:BYTE_0 src1_sel:DWORD
	v_bfrev_b32_e32 v0, 1
	s_and_saveexec_b64 s[22:23], s[18:19]
	s_cbranch_execz .LBB2_2086
; %bb.2081:                             ;   in Loop: Header=BB2_1749 Depth=2
	v_and_b32_e32 v0, 0x7c0000, v16
	v_bfe_u32 v11, v16, 16, 2
	v_cmp_ne_u32_e64 s[18:19], s55, v0
                                        ; implicit-def: $vgpr0
	s_and_saveexec_b64 s[88:89], s[18:19]
	s_xor_b64 s[88:89], exec, s[88:89]
	s_cbranch_execz .LBB2_2083
; %bb.2082:                             ;   in Loop: Header=BB2_1749 Depth=2
	v_ffbh_u32_e32 v2, v11
	v_min_u32_e32 v2, 32, v2
	v_subrev_u32_e32 v14, 29, v2
	v_lshlrev_b64 v[14:15], v14, v[10:11]
	v_bfe_u32 v0, v16, 18, 5
	v_sub_u32_e32 v2, 30, v2
	v_and_b32_e32 v10, 3, v14
	v_cmp_eq_u32_e64 s[18:19], 0, v0
	v_cndmask_b32_e64 v0, v0, v2, s[18:19]
	v_cndmask_b32_e64 v2, v11, v10, s[18:19]
	v_lshlrev_b32_e32 v10, 8, v16
	v_and_b32_e32 v10, 0x80000000, v10
	v_lshl_add_u32 v0, v0, 23, v10
	v_lshl_or_b32 v0, v2, 21, v0
	v_add_u32_e32 v0, 0x38000000, v0
                                        ; implicit-def: $vgpr11
                                        ; implicit-def: $vgpr10
.LBB2_2083:                             ;   in Loop: Header=BB2_1749 Depth=2
	s_andn2_saveexec_b64 s[88:89], s[88:89]
; %bb.2084:                             ;   in Loop: Header=BB2_1749 Depth=2
	v_cmp_gt_i16_sdwa s[18:19], sext(v10), v56 src0_sel:BYTE_0 src1_sel:DWORD
	v_cndmask_b32_e64 v0, v57, v58, s[18:19]
	v_cmp_eq_u32_e64 s[18:19], 0, v11
	v_cndmask_b32_e64 v0, v59, v0, s[18:19]
; %bb.2085:                             ;   in Loop: Header=BB2_1749 Depth=2
	s_or_b64 exec, exec, s[88:89]
.LBB2_2086:                             ;   in Loop: Header=BB2_1749 Depth=2
	s_or_b64 exec, exec, s[22:23]
.LBB2_2087:                             ;   in Loop: Header=BB2_1749 Depth=2
	s_or_b64 exec, exec, s[20:21]
	v_lshrrev_b32_e32 v10, 16, v12
	v_cmp_gt_i16_sdwa s[20:21], v10, s52 src0_sel:BYTE_0 src1_sel:DWORD
	s_mov_b64 s[18:19], 0
	s_and_saveexec_b64 s[22:23], s[20:21]
	s_xor_b64 s[20:21], exec, s[22:23]
	s_cbranch_execz .LBB2_2286
; %bb.2088:                             ;   in Loop: Header=BB2_1749 Depth=2
	v_cmp_eq_u16_sdwa s[88:89], v10, s53 src0_sel:BYTE_0 src1_sel:DWORD
	s_mov_b64 s[18:19], -1
	s_and_saveexec_b64 s[22:23], s[88:89]
; %bb.2089:                             ;   in Loop: Header=BB2_1749 Depth=2
	s_xor_b64 s[18:19], exec, -1
; %bb.2090:                             ;   in Loop: Header=BB2_1749 Depth=2
	s_or_b64 exec, exec, s[22:23]
	s_and_b64 s[18:19], s[18:19], exec
	s_or_saveexec_b64 s[20:21], s[20:21]
	v_bfrev_b32_e32 v11, 1
	s_xor_b64 exec, exec, s[20:21]
	s_cbranch_execnz .LBB2_2287
.LBB2_2091:                             ;   in Loop: Header=BB2_1749 Depth=2
	s_or_b64 exec, exec, s[20:21]
	s_and_saveexec_b64 s[88:89], s[18:19]
	s_cbranch_execz .LBB2_2093
.LBB2_2092:                             ;   in Loop: Header=BB2_1749 Depth=2
	v_and_b32_e32 v2, 3, v10
	v_and_b32_e32 v14, 0x7c0000, v12
	v_cmp_eq_u32_e64 s[18:19], s55, v14
	v_ffbh_u32_e32 v14, v2
	v_min_u32_e32 v20, 32, v14
	v_bfe_u32 v11, v12, 18, 5
	v_subrev_u32_e32 v14, 29, v20
	v_lshlrev_b64 v[14:15], v14, v[10:11]
	v_cmp_eq_u32_e64 s[20:21], 0, v11
	v_sub_u32_e32 v15, 30, v20
	v_cndmask_b32_e64 v11, v11, v15, s[20:21]
	v_lshlrev_b32_e32 v15, 24, v10
	v_and_b32_e32 v14, 3, v14
	v_and_b32_e32 v15, 0x80000000, v15
	v_cndmask_b32_e64 v14, v2, v14, s[20:21]
	v_lshl_add_u32 v11, v11, 23, v15
	v_cmp_gt_i16_sdwa s[22:23], sext(v10), v56 src0_sel:BYTE_0 src1_sel:DWORD
	v_lshl_or_b32 v11, v14, 21, v11
	v_cmp_eq_u32_e64 s[20:21], 0, v2
	v_cndmask_b32_e64 v2, v57, v58, s[22:23]
	v_add_u32_e32 v11, 0x38000000, v11
	v_cndmask_b32_e64 v2, v59, v2, s[20:21]
	v_cndmask_b32_e64 v11, v11, v2, s[18:19]
.LBB2_2093:                             ;   in Loop: Header=BB2_1749 Depth=2
	s_or_b64 exec, exec, s[88:89]
	v_mul_f32_e32 v10, v0, v11
	v_and_b32_e32 v14, 0x7f800000, v10
	v_mov_b32_e32 v15, v3
	v_cmp_ne_u64_e64 s[18:19], s[58:59], v[14:15]
	v_and_b32_e32 v2, 0x7fffff, v10
                                        ; implicit-def: $vgpr0
	s_and_saveexec_b64 s[20:21], s[18:19]
	s_xor_b64 s[22:23], exec, s[20:21]
	s_cbranch_execz .LBB2_2107
; %bb.2094:                             ;   in Loop: Header=BB2_1749 Depth=2
	v_and_b32_e32 v14, 0x7fffffff, v10
	v_mov_b32_e32 v15, v3
	v_cmp_gt_u64_e64 s[18:19], s[60:61], v[14:15]
	v_and_b32_sdwa v24, v10, s53 dst_sel:DWORD dst_unused:UNUSED_PAD src0_sel:BYTE_3 src1_sel:DWORD
                                        ; implicit-def: $vgpr0
	s_and_saveexec_b64 s[20:21], s[18:19]
	s_xor_b64 s[88:89], exec, s[20:21]
	s_cbranch_execz .LBB2_2104
; %bb.2095:                             ;   in Loop: Header=BB2_1749 Depth=2
	v_mov_b32_e32 v0, 0
	v_cmp_ne_u32_e64 s[18:19], 0, v10
	s_and_saveexec_b64 s[90:91], s[18:19]
	s_cbranch_execz .LBB2_2103
; %bb.2096:                             ;   in Loop: Header=BB2_1749 Depth=2
	v_bfe_u32 v0, v10, 23, 8
	v_cmp_gt_u32_e64 s[20:21], s54, v0
	v_sub_u32_e32 v10, 0x71, v0
	v_cmp_eq_u32_e64 s[18:19], 0, v0
	v_cndmask_b32_e64 v10, 0, v10, s[20:21]
	v_mov_b32_e32 v14, 0x70
	v_cndmask_b32_e64 v20, v10, v14, s[18:19]
	v_or_b32_e32 v11, 0x800000, v2
	v_add_u32_e32 v10, 21, v20
	v_cndmask_b32_e64 v2, v11, v2, s[18:19]
	v_lshlrev_b64 v[10:11], v10, -1
	v_add_u32_e32 v14, 20, v20
	v_lshlrev_b64 v[14:15], v14, 1
	v_bfi_b32 v11, v11, 0, 0
	v_bfi_b32 v10, v10, 0, v2
	v_cmp_eq_u64_e64 s[20:21], v[10:11], v[14:15]
	v_lshrrev_b64 v[10:11], v20, v[2:3]
	v_mov_b32_e32 v15, v11
	v_mov_b32_e32 v14, v10
	s_and_saveexec_b64 s[92:93], s[20:21]
; %bb.2097:                             ;   in Loop: Header=BB2_1749 Depth=2
	v_bfe_u32 v2, v10, 21, 1
	v_add_co_u32_e64 v2, s[20:21], v10, v2
	v_add_co_u32_e64 v14, s[20:21], -1, v2
; %bb.2098:                             ;   in Loop: Header=BB2_1749 Depth=2
	s_or_b64 exec, exec, s[92:93]
	v_add_u32_e32 v0, 0xffffff81, v0
	v_cndmask_b32_e64 v0, v0, v61, s[18:19]
	v_lshrrev_b32_e32 v2, 23, v10
	v_add3_u32 v20, v20, v0, v2
	v_add_u32_e32 v15, 14, v20
	v_and_b32_e32 v0, 0x1fffff, v14
	v_add_u32_e32 v2, v0, v10
	v_cmp_ne_u32_e64 s[18:19], 0, v15
                                        ; implicit-def: $vgpr10_vgpr11
                                        ; implicit-def: $vgpr0
	s_and_saveexec_b64 s[20:21], s[18:19]
	s_xor_b64 s[20:21], exec, s[20:21]
; %bb.2099:                             ;   in Loop: Header=BB2_1749 Depth=2
	v_cmp_lt_u64_e64 s[18:19], s[62:63], v[2:3]
	v_add_u32_e32 v0, 15, v20
	v_cndmask_b32_e64 v10, 0, 1, s[18:19]
	v_cndmask_b32_e64 v0, v15, v0, s[18:19]
	v_lshrrev_b64 v[10:11], v10, v[2:3]
; %bb.2100:                             ;   in Loop: Header=BB2_1749 Depth=2
	s_andn2_saveexec_b64 s[18:19], s[20:21]
; %bb.2101:                             ;   in Loop: Header=BB2_1749 Depth=2
	v_mov_b32_e32 v11, v3
	v_bfe_u32 v0, v2, 23, 1
	v_mov_b32_e32 v10, v2
; %bb.2102:                             ;   in Loop: Header=BB2_1749 Depth=2
	s_or_b64 exec, exec, s[18:19]
	v_lshrrev_b64 v[10:11], 21, v[10:11]
	v_cmp_gt_i32_e64 s[18:19], 32, v0
	v_cndmask_b32_e64 v11, 0, v11, s[18:19]
	v_cndmask_b32_e64 v10, 3, v10, s[18:19]
	v_cmp_eq_u32_e64 s[18:19], 0, v0
	v_min_i32_e32 v0, 31, v0
	v_cmp_eq_u64_e64 s[20:21], 0, v[10:11]
	v_lshlrev_b32_e32 v0, 2, v0
	v_and_b32_e32 v0, 0xfc, v0
	v_and_or_b32 v0, v10, 3, v0
	s_and_b64 s[18:19], s[18:19], s[20:21]
	v_cndmask_b32_e64 v0, v0, 0, s[18:19]
	v_or_b32_e32 v0, v0, v24
.LBB2_2103:                             ;   in Loop: Header=BB2_1749 Depth=2
	s_or_b64 exec, exec, s[90:91]
                                        ; implicit-def: $vgpr24
.LBB2_2104:                             ;   in Loop: Header=BB2_1749 Depth=2
	s_andn2_saveexec_b64 s[18:19], s[88:89]
; %bb.2105:                             ;   in Loop: Header=BB2_1749 Depth=2
	v_or_b32_e32 v0, 0x7b, v24
; %bb.2106:                             ;   in Loop: Header=BB2_1749 Depth=2
	s_or_b64 exec, exec, s[18:19]
                                        ; implicit-def: $vgpr10
.LBB2_2107:                             ;   in Loop: Header=BB2_1749 Depth=2
	s_andn2_saveexec_b64 s[20:21], s[22:23]
	s_cbranch_execz .LBB2_2113
; %bb.2108:                             ;   in Loop: Header=BB2_1749 Depth=2
	v_cmp_ne_u64_e64 s[18:19], 0, v[2:3]
                                        ; implicit-def: $vgpr0
	s_and_saveexec_b64 s[22:23], s[18:19]
	s_xor_b64 s[18:19], exec, s[22:23]
; %bb.2109:                             ;   in Loop: Header=BB2_1749 Depth=2
	v_or_b32_sdwa v0, v10, s52 dst_sel:DWORD dst_unused:UNUSED_PAD src0_sel:BYTE_3 src1_sel:DWORD
                                        ; implicit-def: $vgpr10
; %bb.2110:                             ;   in Loop: Header=BB2_1749 Depth=2
	s_andn2_saveexec_b64 s[22:23], s[18:19]
; %bb.2111:                             ;   in Loop: Header=BB2_1749 Depth=2
	v_cmp_lt_i32_e64 s[18:19], -1, v10
	v_cndmask_b32_e64 v0, v31, v18, s[18:19]
; %bb.2112:                             ;   in Loop: Header=BB2_1749 Depth=2
	s_or_b64 exec, exec, s[22:23]
.LBB2_2113:                             ;   in Loop: Header=BB2_1749 Depth=2
	s_or_b64 exec, exec, s[20:21]
	v_cmp_lt_u32_e64 s[18:19], s57, v16
	v_mov_b32_e32 v11, 0
	s_and_saveexec_b64 s[20:21], s[18:19]
	s_cbranch_execz .LBB2_2121
; %bb.2114:                             ;   in Loop: Header=BB2_1749 Depth=2
	v_lshrrev_b32_e32 v10, 24, v16
	v_cmp_ne_u32_e64 s[18:19], s53, v10
	v_bfrev_b32_e32 v11, 1
	s_and_saveexec_b64 s[22:23], s[18:19]
	s_cbranch_execz .LBB2_2120
; %bb.2115:                             ;   in Loop: Header=BB2_1749 Depth=2
	v_and_b32_e32 v2, 0x7c000000, v16
	v_bfe_u32 v14, v16, 24, 2
	v_cmp_ne_u32_e64 s[18:19], s64, v2
                                        ; implicit-def: $vgpr11
	s_and_saveexec_b64 s[88:89], s[18:19]
	s_xor_b64 s[88:89], exec, s[88:89]
	s_cbranch_execz .LBB2_2117
; %bb.2116:                             ;   in Loop: Header=BB2_1749 Depth=2
	v_ffbh_u32_e32 v11, v14
	v_min_u32_e32 v15, 32, v11
	v_subrev_u32_e32 v11, 29, v15
	v_bfe_u32 v2, v16, 26, 5
	v_lshlrev_b64 v[10:11], v11, v[10:11]
	v_sub_u32_e32 v11, 30, v15
	v_cmp_eq_u32_e64 s[18:19], 0, v2
	v_and_b32_e32 v10, 3, v10
	v_cndmask_b32_e64 v2, v2, v11, s[18:19]
	v_and_b32_e32 v11, 0x80000000, v16
	v_cndmask_b32_e64 v10, v14, v10, s[18:19]
	v_lshl_add_u32 v2, v2, 23, v11
	v_lshl_or_b32 v2, v10, 21, v2
	v_add_u32_e32 v11, 0x38000000, v2
                                        ; implicit-def: $vgpr14
.LBB2_2117:                             ;   in Loop: Header=BB2_1749 Depth=2
	s_andn2_saveexec_b64 s[88:89], s[88:89]
; %bb.2118:                             ;   in Loop: Header=BB2_1749 Depth=2
	v_cmp_lt_i32_e64 s[18:19], -1, v16
	v_cndmask_b32_e64 v2, v57, v58, s[18:19]
	v_cmp_eq_u32_e64 s[18:19], 0, v14
	v_cndmask_b32_e64 v11, v59, v2, s[18:19]
; %bb.2119:                             ;   in Loop: Header=BB2_1749 Depth=2
	s_or_b64 exec, exec, s[88:89]
.LBB2_2120:                             ;   in Loop: Header=BB2_1749 Depth=2
	s_or_b64 exec, exec, s[22:23]
.LBB2_2121:                             ;   in Loop: Header=BB2_1749 Depth=2
	s_or_b64 exec, exec, s[20:21]
	v_bfe_u32 v2, v12, 24, 2
	v_and_b32_e32 v14, 0x7c000000, v12
	v_cmp_eq_u32_e64 s[18:19], s64, v14
	v_ffbh_u32_e32 v14, v2
	v_min_u32_e32 v24, 32, v14
	v_lshrrev_b32_e32 v10, 24, v12
	v_subrev_u32_e32 v14, 29, v24
	v_bfe_u32 v20, v12, 26, 5
	v_lshlrev_b64 v[14:15], v14, v[10:11]
	v_cmp_eq_u32_e64 s[20:21], 0, v20
	v_sub_u32_e32 v15, 30, v24
	v_and_b32_e32 v14, 3, v14
	v_cndmask_b32_e64 v15, v20, v15, s[20:21]
	v_and_b32_e32 v20, 0x80000000, v12
	v_cndmask_b32_e64 v14, v2, v14, s[20:21]
	v_lshl_add_u32 v15, v15, 23, v20
	v_cmp_lt_i32_e64 s[22:23], -1, v12
	v_lshl_or_b32 v14, v14, 21, v15
	v_cmp_eq_u32_e64 s[20:21], 0, v2
	v_cndmask_b32_e64 v2, v57, v58, s[22:23]
	v_add_u32_e32 v14, 0x38000000, v14
	v_cndmask_b32_e64 v2, v59, v2, s[20:21]
	v_cndmask_b32_e64 v2, v14, v2, s[18:19]
	v_cmp_ne_u32_e64 s[18:19], s53, v10
	v_cndmask_b32_e64 v2, v19, v2, s[18:19]
	v_cmp_lt_u32_e64 s[18:19], s57, v12
	v_cndmask_b32_e64 v2, 0, v2, s[18:19]
	v_mul_f32_e32 v10, v2, v11
	v_and_b32_e32 v14, 0x7f800000, v10
	v_mov_b32_e32 v15, v3
	v_cmp_ne_u64_e64 s[18:19], s[58:59], v[14:15]
	v_and_b32_e32 v2, 0x7fffff, v10
                                        ; implicit-def: $vgpr24
	s_and_saveexec_b64 s[20:21], s[18:19]
	s_xor_b64 s[22:23], exec, s[20:21]
	s_cbranch_execz .LBB2_2135
; %bb.2122:                             ;   in Loop: Header=BB2_1749 Depth=2
	v_and_b32_e32 v14, 0x7fffffff, v10
	v_mov_b32_e32 v15, v3
	v_cmp_gt_u64_e64 s[18:19], s[60:61], v[14:15]
	v_and_b32_sdwa v25, v10, s53 dst_sel:DWORD dst_unused:UNUSED_PAD src0_sel:BYTE_3 src1_sel:DWORD
                                        ; implicit-def: $vgpr24
	s_and_saveexec_b64 s[20:21], s[18:19]
	s_xor_b64 s[88:89], exec, s[20:21]
	s_cbranch_execz .LBB2_2132
; %bb.2123:                             ;   in Loop: Header=BB2_1749 Depth=2
	v_mov_b32_e32 v24, 0
	v_cmp_ne_u32_e64 s[18:19], 0, v10
	s_and_saveexec_b64 s[90:91], s[18:19]
	s_cbranch_execz .LBB2_2131
; %bb.2124:                             ;   in Loop: Header=BB2_1749 Depth=2
	v_bfe_u32 v24, v10, 23, 8
	v_cmp_gt_u32_e64 s[20:21], s54, v24
	v_sub_u32_e32 v10, 0x71, v24
	v_cmp_eq_u32_e64 s[18:19], 0, v24
	v_cndmask_b32_e64 v10, 0, v10, s[20:21]
	v_mov_b32_e32 v14, 0x70
	v_cndmask_b32_e64 v20, v10, v14, s[18:19]
	v_or_b32_e32 v11, 0x800000, v2
	v_add_u32_e32 v10, 21, v20
	v_cndmask_b32_e64 v2, v11, v2, s[18:19]
	v_lshlrev_b64 v[10:11], v10, -1
	v_add_u32_e32 v14, 20, v20
	v_lshlrev_b64 v[14:15], v14, 1
	v_bfi_b32 v11, v11, 0, 0
	v_bfi_b32 v10, v10, 0, v2
	v_cmp_eq_u64_e64 s[20:21], v[10:11], v[14:15]
	v_lshrrev_b64 v[10:11], v20, v[2:3]
	v_mov_b32_e32 v15, v11
	v_mov_b32_e32 v14, v10
	s_and_saveexec_b64 s[92:93], s[20:21]
; %bb.2125:                             ;   in Loop: Header=BB2_1749 Depth=2
	v_bfe_u32 v2, v10, 21, 1
	v_add_co_u32_e64 v2, s[20:21], v10, v2
	v_add_co_u32_e64 v14, s[20:21], -1, v2
; %bb.2126:                             ;   in Loop: Header=BB2_1749 Depth=2
	s_or_b64 exec, exec, s[92:93]
	v_add_u32_e32 v2, 0xffffff81, v24
	v_cndmask_b32_e64 v2, v2, v61, s[18:19]
	v_lshrrev_b32_e32 v11, 23, v10
	v_add3_u32 v20, v20, v2, v11
	v_add_u32_e32 v15, 14, v20
	v_and_b32_e32 v2, 0x1fffff, v14
	v_add_u32_e32 v2, v2, v10
	v_cmp_ne_u32_e64 s[18:19], 0, v15
                                        ; implicit-def: $vgpr10_vgpr11
                                        ; implicit-def: $vgpr14
	s_and_saveexec_b64 s[20:21], s[18:19]
	s_xor_b64 s[20:21], exec, s[20:21]
; %bb.2127:                             ;   in Loop: Header=BB2_1749 Depth=2
	v_cmp_lt_u64_e64 s[18:19], s[62:63], v[2:3]
	v_add_u32_e32 v10, 15, v20
	v_cndmask_b32_e64 v14, v15, v10, s[18:19]
	v_cndmask_b32_e64 v10, 0, 1, s[18:19]
	v_lshrrev_b64 v[10:11], v10, v[2:3]
; %bb.2128:                             ;   in Loop: Header=BB2_1749 Depth=2
	s_andn2_saveexec_b64 s[18:19], s[20:21]
; %bb.2129:                             ;   in Loop: Header=BB2_1749 Depth=2
	v_mov_b32_e32 v11, v3
	v_bfe_u32 v14, v2, 23, 1
	v_mov_b32_e32 v10, v2
; %bb.2130:                             ;   in Loop: Header=BB2_1749 Depth=2
	s_or_b64 exec, exec, s[18:19]
	v_lshrrev_b64 v[10:11], 21, v[10:11]
	v_cmp_gt_i32_e64 s[18:19], 32, v14
	v_cndmask_b32_e64 v11, 0, v11, s[18:19]
	v_cndmask_b32_e64 v10, 3, v10, s[18:19]
	v_min_i32_e32 v2, 31, v14
	v_cmp_eq_u64_e64 s[20:21], 0, v[10:11]
	v_lshlrev_b32_e32 v2, 2, v2
	v_cmp_eq_u32_e64 s[18:19], 0, v14
	v_and_b32_e32 v2, 0xfc, v2
	v_and_or_b32 v2, v10, 3, v2
	s_and_b64 s[18:19], s[18:19], s[20:21]
	v_cndmask_b32_e64 v2, v2, 0, s[18:19]
	v_or_b32_e32 v24, v2, v25
.LBB2_2131:                             ;   in Loop: Header=BB2_1749 Depth=2
	s_or_b64 exec, exec, s[90:91]
                                        ; implicit-def: $vgpr25
.LBB2_2132:                             ;   in Loop: Header=BB2_1749 Depth=2
	s_andn2_saveexec_b64 s[18:19], s[88:89]
; %bb.2133:                             ;   in Loop: Header=BB2_1749 Depth=2
	v_or_b32_e32 v24, 0x7b, v25
; %bb.2134:                             ;   in Loop: Header=BB2_1749 Depth=2
	s_or_b64 exec, exec, s[18:19]
                                        ; implicit-def: $vgpr10
.LBB2_2135:                             ;   in Loop: Header=BB2_1749 Depth=2
	s_andn2_saveexec_b64 s[20:21], s[22:23]
	s_cbranch_execz .LBB2_2141
; %bb.2136:                             ;   in Loop: Header=BB2_1749 Depth=2
	v_cmp_ne_u64_e64 s[18:19], 0, v[2:3]
                                        ; implicit-def: $vgpr24
	s_and_saveexec_b64 s[22:23], s[18:19]
	s_xor_b64 s[18:19], exec, s[22:23]
; %bb.2137:                             ;   in Loop: Header=BB2_1749 Depth=2
	v_or_b32_sdwa v24, v10, s52 dst_sel:DWORD dst_unused:UNUSED_PAD src0_sel:BYTE_3 src1_sel:DWORD
                                        ; implicit-def: $vgpr10
; %bb.2138:                             ;   in Loop: Header=BB2_1749 Depth=2
	s_andn2_saveexec_b64 s[22:23], s[18:19]
; %bb.2139:                             ;   in Loop: Header=BB2_1749 Depth=2
	v_cmp_lt_i32_e64 s[18:19], -1, v10
	v_cndmask_b32_e64 v24, v31, v18, s[18:19]
; %bb.2140:                             ;   in Loop: Header=BB2_1749 Depth=2
	s_or_b64 exec, exec, s[22:23]
.LBB2_2141:                             ;   in Loop: Header=BB2_1749 Depth=2
	s_or_b64 exec, exec, s[20:21]
	v_mov_b32_e32 v2, v17
	v_cmp_ne_u16_sdwa s[18:19], v17, v3 src0_sel:BYTE_0 src1_sel:DWORD
	v_mov_b32_e32 v14, 0
	s_and_saveexec_b64 s[20:21], s[18:19]
	s_cbranch_execz .LBB2_2149
; %bb.2142:                             ;   in Loop: Header=BB2_1749 Depth=2
	v_cmp_ne_u16_sdwa s[18:19], v17, s53 src0_sel:BYTE_0 src1_sel:DWORD
	v_bfrev_b32_e32 v14, 1
	s_and_saveexec_b64 s[22:23], s[18:19]
	s_cbranch_execz .LBB2_2148
; %bb.2143:                             ;   in Loop: Header=BB2_1749 Depth=2
	v_and_b32_e32 v11, 0x7c, v17
	v_and_b32_e32 v10, 3, v17
	v_cmp_ne_u32_e64 s[18:19], s50, v11
                                        ; implicit-def: $vgpr14
	s_and_saveexec_b64 s[88:89], s[18:19]
	s_xor_b64 s[88:89], exec, s[88:89]
	s_cbranch_execz .LBB2_2145
; %bb.2144:                             ;   in Loop: Header=BB2_1749 Depth=2
	v_ffbh_u32_e32 v14, v10
	v_min_u32_e32 v20, 32, v14
	v_subrev_u32_e32 v14, 29, v20
	v_lshlrev_b64 v[14:15], v14, v[2:3]
	v_bfe_u32 v11, v17, 2, 5
	v_and_b32_e32 v14, 3, v14
	v_cmp_eq_u32_e64 s[18:19], 0, v11
	v_sub_u32_e32 v15, 30, v20
	v_cndmask_b32_e64 v10, v10, v14, s[18:19]
	v_lshlrev_b32_e32 v14, 24, v17
	v_cndmask_b32_e64 v11, v11, v15, s[18:19]
	v_and_b32_e32 v14, 0x80000000, v14
	v_lshl_add_u32 v11, v11, 23, v14
	v_lshl_or_b32 v10, v10, 21, v11
	v_add_u32_e32 v14, 0x38000000, v10
                                        ; implicit-def: $vgpr10
.LBB2_2145:                             ;   in Loop: Header=BB2_1749 Depth=2
	s_andn2_saveexec_b64 s[88:89], s[88:89]
; %bb.2146:                             ;   in Loop: Header=BB2_1749 Depth=2
	v_cmp_gt_i16_sdwa s[18:19], sext(v17), v56 src0_sel:BYTE_0 src1_sel:DWORD
	v_cndmask_b32_e64 v11, v57, v58, s[18:19]
	v_cmp_eq_u32_e64 s[18:19], 0, v10
	v_cndmask_b32_e64 v14, v59, v11, s[18:19]
; %bb.2147:                             ;   in Loop: Header=BB2_1749 Depth=2
	s_or_b64 exec, exec, s[88:89]
.LBB2_2148:                             ;   in Loop: Header=BB2_1749 Depth=2
	s_or_b64 exec, exec, s[22:23]
.LBB2_2149:                             ;   in Loop: Header=BB2_1749 Depth=2
	s_or_b64 exec, exec, s[20:21]
	v_cmp_gt_i16_sdwa s[20:21], v13, s52 src0_sel:BYTE_0 src1_sel:DWORD
	s_mov_b64 s[18:19], 0
	s_and_saveexec_b64 s[22:23], s[20:21]
	s_xor_b64 s[20:21], exec, s[22:23]
	s_cbranch_execz .LBB2_2153
; %bb.2150:                             ;   in Loop: Header=BB2_1749 Depth=2
	v_cmp_eq_u16_sdwa s[88:89], v13, s53 src0_sel:BYTE_0 src1_sel:DWORD
	s_mov_b64 s[18:19], -1
	s_and_saveexec_b64 s[22:23], s[88:89]
; %bb.2151:                             ;   in Loop: Header=BB2_1749 Depth=2
	s_xor_b64 s[18:19], exec, -1
; %bb.2152:                             ;   in Loop: Header=BB2_1749 Depth=2
	s_or_b64 exec, exec, s[22:23]
	s_and_b64 s[18:19], s[18:19], exec
.LBB2_2153:                             ;   in Loop: Header=BB2_1749 Depth=2
	s_or_saveexec_b64 s[20:21], s[20:21]
	v_bfrev_b32_e32 v15, 1
	s_xor_b64 exec, exec, s[20:21]
; %bb.2154:                             ;   in Loop: Header=BB2_1749 Depth=2
	v_cmp_ne_u16_sdwa s[22:23], v13, v3 src0_sel:BYTE_0 src1_sel:DWORD
	s_andn2_b64 s[18:19], s[18:19], exec
	s_and_b64 s[22:23], s[22:23], exec
	v_mov_b32_e32 v15, 0
	s_or_b64 s[18:19], s[18:19], s[22:23]
; %bb.2155:                             ;   in Loop: Header=BB2_1749 Depth=2
	s_or_b64 exec, exec, s[20:21]
	v_mov_b32_e32 v10, v13
	v_mov_b32_e32 v11, v3
	s_and_saveexec_b64 s[88:89], s[18:19]
	s_cbranch_execz .LBB2_2157
; %bb.2156:                             ;   in Loop: Header=BB2_1749 Depth=2
	v_and_b32_e32 v15, 3, v13
	v_and_b32_e32 v25, 0x7c, v13
	v_cmp_eq_u32_e64 s[18:19], s50, v25
	v_ffbh_u32_e32 v25, v15
	v_min_u32_e32 v25, 32, v25
	v_subrev_u32_e32 v34, 29, v25
	v_lshlrev_b64 v[41:42], v34, v[10:11]
	v_bfe_u32 v20, v13, 2, 5
	v_cmp_eq_u32_e64 s[20:21], 0, v20
	v_sub_u32_e32 v11, 30, v25
	v_and_b32_e32 v25, 3, v41
	v_cndmask_b32_e64 v11, v20, v11, s[20:21]
	v_cndmask_b32_e64 v20, v15, v25, s[20:21]
	v_lshlrev_b32_e32 v25, 24, v13
	v_and_b32_e32 v25, 0x80000000, v25
	v_lshl_add_u32 v11, v11, 23, v25
	v_cmp_gt_i16_sdwa s[22:23], sext(v13), v56 src0_sel:BYTE_0 src1_sel:DWORD
	v_lshl_or_b32 v11, v20, 21, v11
	v_cmp_eq_u32_e64 s[20:21], 0, v15
	v_cndmask_b32_e64 v15, v57, v58, s[22:23]
	v_add_u32_e32 v11, 0x38000000, v11
	v_cndmask_b32_e64 v15, v59, v15, s[20:21]
	v_cndmask_b32_e64 v15, v11, v15, s[18:19]
.LBB2_2157:                             ;   in Loop: Header=BB2_1749 Depth=2
	s_or_b64 exec, exec, s[88:89]
	v_mul_f32_e32 v41, v14, v15
	v_and_b32_e32 v34, 0x7f800000, v41
	v_mov_b32_e32 v35, v3
	v_cmp_ne_u64_e64 s[18:19], s[58:59], v[34:35]
	v_and_b32_e32 v14, 0x7fffff, v41
	v_mov_b32_e32 v15, v3
                                        ; implicit-def: $vgpr25
	s_and_saveexec_b64 s[20:21], s[18:19]
	s_xor_b64 s[22:23], exec, s[20:21]
	s_cbranch_execz .LBB2_2171
; %bb.2158:                             ;   in Loop: Header=BB2_1749 Depth=2
	v_and_b32_e32 v34, 0x7fffffff, v41
	v_mov_b32_e32 v35, v3
	v_cmp_gt_u64_e64 s[18:19], s[60:61], v[34:35]
	v_and_b32_sdwa v11, v41, s53 dst_sel:DWORD dst_unused:UNUSED_PAD src0_sel:BYTE_3 src1_sel:DWORD
                                        ; implicit-def: $vgpr25
	s_and_saveexec_b64 s[20:21], s[18:19]
	s_xor_b64 s[88:89], exec, s[20:21]
	s_cbranch_execz .LBB2_2168
; %bb.2159:                             ;   in Loop: Header=BB2_1749 Depth=2
	v_mov_b32_e32 v25, 0
	v_cmp_ne_u32_e64 s[18:19], 0, v41
	s_and_saveexec_b64 s[90:91], s[18:19]
	s_cbranch_execz .LBB2_2167
; %bb.2160:                             ;   in Loop: Header=BB2_1749 Depth=2
	v_bfe_u32 v25, v41, 23, 8
	v_cmp_gt_u32_e64 s[20:21], s54, v25
	v_sub_u32_e32 v20, 0x71, v25
	v_cmp_eq_u32_e64 s[18:19], 0, v25
	v_cndmask_b32_e64 v20, 0, v20, s[20:21]
	v_mov_b32_e32 v35, 0x70
	v_or_b32_e32 v34, 0x800000, v14
	v_cndmask_b32_e64 v20, v20, v35, s[18:19]
	v_cndmask_b32_e64 v14, v34, v14, s[18:19]
	v_add_u32_e32 v34, 21, v20
	v_lshlrev_b64 v[34:35], v34, -1
	v_add_u32_e32 v41, 20, v20
	v_bfi_b32 v34, v34, 0, v14
	v_lshlrev_b64 v[41:42], v41, 1
	v_lshrrev_b64 v[14:15], v20, v[14:15]
	v_bfi_b32 v35, v35, 0, 0
	v_cmp_eq_u64_e64 s[20:21], v[34:35], v[41:42]
	v_mov_b32_e32 v42, v15
	v_mov_b32_e32 v41, v14
	s_and_saveexec_b64 s[92:93], s[20:21]
; %bb.2161:                             ;   in Loop: Header=BB2_1749 Depth=2
	v_bfe_u32 v15, v14, 21, 1
	v_add_co_u32_e64 v15, s[20:21], v14, v15
	v_add_co_u32_e64 v41, s[20:21], -1, v15
; %bb.2162:                             ;   in Loop: Header=BB2_1749 Depth=2
	s_or_b64 exec, exec, s[92:93]
	v_add_u32_e32 v15, 0xffffff81, v25
	v_cndmask_b32_e64 v15, v15, v61, s[18:19]
	v_lshrrev_b32_e32 v25, 23, v14
	v_add3_u32 v42, v20, v15, v25
	v_add_u32_e32 v25, 14, v42
	v_and_b32_e32 v15, 0x1fffff, v41
	v_add_u32_e32 v14, v15, v14
	v_mov_b32_e32 v15, v3
	v_cmp_ne_u32_e64 s[18:19], 0, v25
                                        ; implicit-def: $vgpr20
	s_and_saveexec_b64 s[20:21], s[18:19]
	s_xor_b64 s[20:21], exec, s[20:21]
; %bb.2163:                             ;   in Loop: Header=BB2_1749 Depth=2
	v_cmp_lt_u64_e64 s[18:19], s[62:63], v[14:15]
	v_add_u32_e32 v20, 15, v42
	v_cndmask_b32_e64 v20, v25, v20, s[18:19]
	v_cndmask_b32_e64 v25, 0, 1, s[18:19]
	v_lshrrev_b64 v[14:15], v25, v[14:15]
; %bb.2164:                             ;   in Loop: Header=BB2_1749 Depth=2
	s_andn2_saveexec_b64 s[18:19], s[20:21]
; %bb.2165:                             ;   in Loop: Header=BB2_1749 Depth=2
	v_bfe_u32 v20, v14, 23, 1
; %bb.2166:                             ;   in Loop: Header=BB2_1749 Depth=2
	s_or_b64 exec, exec, s[18:19]
	v_lshrrev_b64 v[14:15], 21, v[14:15]
	v_cmp_gt_i32_e64 s[18:19], 32, v20
	v_cndmask_b32_e64 v15, 0, v15, s[18:19]
	v_cndmask_b32_e64 v14, 3, v14, s[18:19]
	v_cmp_eq_u64_e64 s[20:21], 0, v[14:15]
	v_min_i32_e32 v15, 31, v20
	v_lshlrev_b32_e32 v15, 2, v15
	v_cmp_eq_u32_e64 s[18:19], 0, v20
	v_and_b32_e32 v15, 0xfc, v15
	v_and_or_b32 v14, v14, 3, v15
	s_and_b64 s[18:19], s[18:19], s[20:21]
	v_cndmask_b32_e64 v14, v14, 0, s[18:19]
	v_or_b32_e32 v25, v14, v11
.LBB2_2167:                             ;   in Loop: Header=BB2_1749 Depth=2
	s_or_b64 exec, exec, s[90:91]
                                        ; implicit-def: $vgpr11
.LBB2_2168:                             ;   in Loop: Header=BB2_1749 Depth=2
	s_andn2_saveexec_b64 s[18:19], s[88:89]
; %bb.2169:                             ;   in Loop: Header=BB2_1749 Depth=2
	v_or_b32_e32 v25, 0x7b, v11
; %bb.2170:                             ;   in Loop: Header=BB2_1749 Depth=2
	s_or_b64 exec, exec, s[18:19]
                                        ; implicit-def: $vgpr41
                                        ; implicit-def: $vgpr14_vgpr15
.LBB2_2171:                             ;   in Loop: Header=BB2_1749 Depth=2
	s_andn2_saveexec_b64 s[20:21], s[22:23]
	s_cbranch_execz .LBB2_2177
; %bb.2172:                             ;   in Loop: Header=BB2_1749 Depth=2
	v_cmp_ne_u64_e64 s[18:19], 0, v[14:15]
                                        ; implicit-def: $vgpr25
	s_and_saveexec_b64 s[22:23], s[18:19]
	s_xor_b64 s[18:19], exec, s[22:23]
; %bb.2173:                             ;   in Loop: Header=BB2_1749 Depth=2
	v_or_b32_sdwa v25, v41, s52 dst_sel:DWORD dst_unused:UNUSED_PAD src0_sel:BYTE_3 src1_sel:DWORD
                                        ; implicit-def: $vgpr41
; %bb.2174:                             ;   in Loop: Header=BB2_1749 Depth=2
	s_andn2_saveexec_b64 s[22:23], s[18:19]
; %bb.2175:                             ;   in Loop: Header=BB2_1749 Depth=2
	v_cmp_lt_i32_e64 s[18:19], -1, v41
	v_cndmask_b32_e64 v25, v31, v18, s[18:19]
; %bb.2176:                             ;   in Loop: Header=BB2_1749 Depth=2
	s_or_b64 exec, exec, s[22:23]
.LBB2_2177:                             ;   in Loop: Header=BB2_1749 Depth=2
	s_or_b64 exec, exec, s[20:21]
	v_lshrrev_b16_e32 v14, 8, v2
	v_cmp_ne_u16_e64 s[18:19], 0, v14
	v_mov_b32_e32 v11, 0
	s_and_saveexec_b64 s[20:21], s[18:19]
	s_cbranch_execz .LBB2_2185
; %bb.2178:                             ;   in Loop: Header=BB2_1749 Depth=2
	v_cmp_ne_u16_e64 s[18:19], s53, v14
	v_bfrev_b32_e32 v11, 1
	s_and_saveexec_b64 s[22:23], s[18:19]
	s_cbranch_execz .LBB2_2184
; %bb.2179:                             ;   in Loop: Header=BB2_1749 Depth=2
	v_and_b32_e32 v11, 0x7c, v14
	v_and_b32_e32 v20, 3, v14
	v_cmp_ne_u32_e64 s[18:19], s50, v11
                                        ; implicit-def: $vgpr11
	s_and_saveexec_b64 s[88:89], s[18:19]
	s_xor_b64 s[88:89], exec, s[88:89]
	s_cbranch_execz .LBB2_2181
; %bb.2180:                             ;   in Loop: Header=BB2_1749 Depth=2
	v_ffbh_u32_e32 v34, v20
	v_min_u32_e32 v34, 32, v34
	v_mov_b32_e32 v15, v3
	v_subrev_u32_e32 v35, 29, v34
	v_bfe_u32 v11, v14, 2, 5
	v_lshlrev_b64 v[14:15], v35, v[14:15]
	v_sub_u32_e32 v15, 30, v34
	v_cmp_eq_u32_e64 s[18:19], 0, v11
	v_lshlrev_b32_e32 v2, 16, v2
	v_and_b32_e32 v14, 3, v14
	v_cndmask_b32_e64 v11, v11, v15, s[18:19]
	v_and_b32_e32 v2, 0x80000000, v2
	v_cndmask_b32_e64 v14, v20, v14, s[18:19]
	v_lshl_add_u32 v2, v11, 23, v2
	v_lshl_or_b32 v2, v14, 21, v2
	v_add_u32_e32 v11, 0x38000000, v2
                                        ; implicit-def: $vgpr20
.LBB2_2181:                             ;   in Loop: Header=BB2_1749 Depth=2
	s_andn2_saveexec_b64 s[88:89], s[88:89]
; %bb.2182:                             ;   in Loop: Header=BB2_1749 Depth=2
	v_cmp_lt_i16_e64 s[18:19], -1, v2
	v_cndmask_b32_e64 v2, v57, v58, s[18:19]
	v_cmp_eq_u32_e64 s[18:19], 0, v20
	v_cndmask_b32_e64 v11, v59, v2, s[18:19]
; %bb.2183:                             ;   in Loop: Header=BB2_1749 Depth=2
	s_or_b64 exec, exec, s[88:89]
.LBB2_2184:                             ;   in Loop: Header=BB2_1749 Depth=2
	s_or_b64 exec, exec, s[22:23]
.LBB2_2185:                             ;   in Loop: Header=BB2_1749 Depth=2
	s_or_b64 exec, exec, s[20:21]
	v_lshrrev_b16_e32 v2, 8, v10
	v_cmp_lt_i16_e64 s[18:19], s52, v2
	s_mov_b64 s[20:21], 0
	s_and_saveexec_b64 s[22:23], s[18:19]
	s_xor_b64 s[22:23], exec, s[22:23]
	s_cbranch_execz .LBB2_2288
; %bb.2186:                             ;   in Loop: Header=BB2_1749 Depth=2
	v_cmp_eq_u16_e64 s[18:19], s53, v2
	s_mov_b64 s[20:21], -1
	s_and_saveexec_b64 s[88:89], s[18:19]
; %bb.2187:                             ;   in Loop: Header=BB2_1749 Depth=2
	s_xor_b64 s[20:21], exec, -1
; %bb.2188:                             ;   in Loop: Header=BB2_1749 Depth=2
	s_or_b64 exec, exec, s[88:89]
	s_and_b64 s[20:21], s[20:21], exec
	s_or_saveexec_b64 s[22:23], s[22:23]
	v_bfrev_b32_e32 v14, 1
	s_xor_b64 exec, exec, s[22:23]
	s_cbranch_execnz .LBB2_2289
.LBB2_2189:                             ;   in Loop: Header=BB2_1749 Depth=2
	s_or_b64 exec, exec, s[22:23]
	s_and_saveexec_b64 s[88:89], s[20:21]
	s_cbranch_execz .LBB2_2191
.LBB2_2190:                             ;   in Loop: Header=BB2_1749 Depth=2
	v_and_b32_e32 v20, 3, v2
	v_and_b32_e32 v14, 0x7c, v2
	v_cmp_eq_u32_e64 s[18:19], s50, v14
	v_ffbh_u32_e32 v14, v20
	v_min_u32_e32 v35, 32, v14
	v_subrev_u32_e32 v14, 29, v35
	v_bfe_u32 v34, v2, 2, 5
	v_lshlrev_b64 v[14:15], v14, v[2:3]
	v_cmp_eq_u32_e64 s[20:21], 0, v34
	v_sub_u32_e32 v15, 30, v35
	v_lshlrev_b32_e32 v2, 24, v2
	v_and_b32_e32 v14, 3, v14
	v_cndmask_b32_e64 v15, v34, v15, s[20:21]
	v_and_b32_e32 v2, 0x80000000, v2
	v_cndmask_b32_e64 v14, v20, v14, s[20:21]
	v_lshl_add_u32 v2, v15, 23, v2
	v_cmp_lt_i16_e64 s[22:23], -1, v10
	v_lshl_or_b32 v2, v14, 21, v2
	v_cmp_eq_u32_e64 s[20:21], 0, v20
	v_cndmask_b32_e64 v10, v57, v58, s[22:23]
	v_add_u32_e32 v2, 0x38000000, v2
	v_cndmask_b32_e64 v10, v59, v10, s[20:21]
	v_cndmask_b32_e64 v14, v2, v10, s[18:19]
.LBB2_2191:                             ;   in Loop: Header=BB2_1749 Depth=2
	s_or_b64 exec, exec, s[88:89]
	v_mul_f32_e32 v10, v11, v14
	v_and_b32_e32 v14, 0x7f800000, v10
	v_mov_b32_e32 v15, v3
	v_cmp_ne_u64_e64 s[18:19], s[58:59], v[14:15]
	v_and_b32_e32 v2, 0x7fffff, v10
                                        ; implicit-def: $vgpr41
	s_and_saveexec_b64 s[20:21], s[18:19]
	s_xor_b64 s[22:23], exec, s[20:21]
	s_cbranch_execz .LBB2_2205
; %bb.2192:                             ;   in Loop: Header=BB2_1749 Depth=2
	v_and_b32_e32 v14, 0x7fffffff, v10
	v_mov_b32_e32 v15, v3
	v_cmp_gt_u64_e64 s[18:19], s[60:61], v[14:15]
	v_and_b32_sdwa v42, v10, s53 dst_sel:DWORD dst_unused:UNUSED_PAD src0_sel:BYTE_3 src1_sel:DWORD
                                        ; implicit-def: $vgpr41
	s_and_saveexec_b64 s[20:21], s[18:19]
	s_xor_b64 s[88:89], exec, s[20:21]
	s_cbranch_execz .LBB2_2202
; %bb.2193:                             ;   in Loop: Header=BB2_1749 Depth=2
	v_mov_b32_e32 v41, 0
	v_cmp_ne_u32_e64 s[18:19], 0, v10
	s_and_saveexec_b64 s[90:91], s[18:19]
	s_cbranch_execz .LBB2_2201
; %bb.2194:                             ;   in Loop: Header=BB2_1749 Depth=2
	v_bfe_u32 v41, v10, 23, 8
	v_cmp_gt_u32_e64 s[20:21], s54, v41
	v_sub_u32_e32 v10, 0x71, v41
	v_cmp_eq_u32_e64 s[18:19], 0, v41
	v_cndmask_b32_e64 v10, 0, v10, s[20:21]
	v_mov_b32_e32 v14, 0x70
	v_cndmask_b32_e64 v20, v10, v14, s[18:19]
	v_or_b32_e32 v11, 0x800000, v2
	v_add_u32_e32 v10, 21, v20
	v_cndmask_b32_e64 v2, v11, v2, s[18:19]
	v_lshlrev_b64 v[10:11], v10, -1
	v_add_u32_e32 v14, 20, v20
	v_lshlrev_b64 v[14:15], v14, 1
	v_bfi_b32 v11, v11, 0, 0
	v_bfi_b32 v10, v10, 0, v2
	v_cmp_eq_u64_e64 s[20:21], v[10:11], v[14:15]
	v_lshrrev_b64 v[10:11], v20, v[2:3]
	v_mov_b32_e32 v15, v11
	v_mov_b32_e32 v14, v10
	s_and_saveexec_b64 s[92:93], s[20:21]
; %bb.2195:                             ;   in Loop: Header=BB2_1749 Depth=2
	v_bfe_u32 v2, v10, 21, 1
	v_add_co_u32_e64 v2, s[20:21], v10, v2
	v_add_co_u32_e64 v14, s[20:21], -1, v2
; %bb.2196:                             ;   in Loop: Header=BB2_1749 Depth=2
	s_or_b64 exec, exec, s[92:93]
	v_add_u32_e32 v2, 0xffffff81, v41
	v_cndmask_b32_e64 v2, v2, v61, s[18:19]
	v_lshrrev_b32_e32 v11, 23, v10
	v_add3_u32 v20, v20, v2, v11
	v_add_u32_e32 v15, 14, v20
	v_and_b32_e32 v2, 0x1fffff, v14
	v_add_u32_e32 v2, v2, v10
	v_cmp_ne_u32_e64 s[18:19], 0, v15
                                        ; implicit-def: $vgpr10_vgpr11
                                        ; implicit-def: $vgpr14
	s_and_saveexec_b64 s[20:21], s[18:19]
	s_xor_b64 s[20:21], exec, s[20:21]
; %bb.2197:                             ;   in Loop: Header=BB2_1749 Depth=2
	v_cmp_lt_u64_e64 s[18:19], s[62:63], v[2:3]
	v_add_u32_e32 v10, 15, v20
	v_cndmask_b32_e64 v14, v15, v10, s[18:19]
	v_cndmask_b32_e64 v10, 0, 1, s[18:19]
	v_lshrrev_b64 v[10:11], v10, v[2:3]
; %bb.2198:                             ;   in Loop: Header=BB2_1749 Depth=2
	s_andn2_saveexec_b64 s[18:19], s[20:21]
; %bb.2199:                             ;   in Loop: Header=BB2_1749 Depth=2
	v_mov_b32_e32 v11, v3
	v_bfe_u32 v14, v2, 23, 1
	v_mov_b32_e32 v10, v2
; %bb.2200:                             ;   in Loop: Header=BB2_1749 Depth=2
	s_or_b64 exec, exec, s[18:19]
	v_lshrrev_b64 v[10:11], 21, v[10:11]
	v_cmp_gt_i32_e64 s[18:19], 32, v14
	v_cndmask_b32_e64 v11, 0, v11, s[18:19]
	v_cndmask_b32_e64 v10, 3, v10, s[18:19]
	v_min_i32_e32 v2, 31, v14
	v_cmp_eq_u64_e64 s[20:21], 0, v[10:11]
	v_lshlrev_b32_e32 v2, 2, v2
	v_cmp_eq_u32_e64 s[18:19], 0, v14
	v_and_b32_e32 v2, 0xfc, v2
	v_and_or_b32 v2, v10, 3, v2
	s_and_b64 s[18:19], s[18:19], s[20:21]
	v_cndmask_b32_e64 v2, v2, 0, s[18:19]
	v_or_b32_e32 v41, v2, v42
.LBB2_2201:                             ;   in Loop: Header=BB2_1749 Depth=2
	s_or_b64 exec, exec, s[90:91]
                                        ; implicit-def: $vgpr42
.LBB2_2202:                             ;   in Loop: Header=BB2_1749 Depth=2
	s_andn2_saveexec_b64 s[18:19], s[88:89]
; %bb.2203:                             ;   in Loop: Header=BB2_1749 Depth=2
	v_or_b32_e32 v41, 0x7b, v42
; %bb.2204:                             ;   in Loop: Header=BB2_1749 Depth=2
	s_or_b64 exec, exec, s[18:19]
                                        ; implicit-def: $vgpr10
.LBB2_2205:                             ;   in Loop: Header=BB2_1749 Depth=2
	s_andn2_saveexec_b64 s[20:21], s[22:23]
	s_cbranch_execz .LBB2_2211
; %bb.2206:                             ;   in Loop: Header=BB2_1749 Depth=2
	v_cmp_ne_u64_e64 s[18:19], 0, v[2:3]
                                        ; implicit-def: $vgpr41
	s_and_saveexec_b64 s[22:23], s[18:19]
	s_xor_b64 s[18:19], exec, s[22:23]
; %bb.2207:                             ;   in Loop: Header=BB2_1749 Depth=2
	v_or_b32_sdwa v41, v10, s52 dst_sel:DWORD dst_unused:UNUSED_PAD src0_sel:BYTE_3 src1_sel:DWORD
                                        ; implicit-def: $vgpr10
; %bb.2208:                             ;   in Loop: Header=BB2_1749 Depth=2
	s_andn2_saveexec_b64 s[22:23], s[18:19]
; %bb.2209:                             ;   in Loop: Header=BB2_1749 Depth=2
	v_cmp_lt_i32_e64 s[18:19], -1, v10
	v_cndmask_b32_e64 v41, v31, v18, s[18:19]
; %bb.2210:                             ;   in Loop: Header=BB2_1749 Depth=2
	s_or_b64 exec, exec, s[22:23]
.LBB2_2211:                             ;   in Loop: Header=BB2_1749 Depth=2
	s_or_b64 exec, exec, s[20:21]
	v_lshrrev_b32_e32 v10, 16, v17
	v_cmp_ne_u16_sdwa s[18:19], v10, v3 src0_sel:BYTE_0 src1_sel:DWORD
	v_mov_b32_e32 v11, 0
	s_and_saveexec_b64 s[20:21], s[18:19]
	s_cbranch_execz .LBB2_2219
; %bb.2212:                             ;   in Loop: Header=BB2_1749 Depth=2
	v_cmp_ne_u16_sdwa s[18:19], v10, s53 src0_sel:BYTE_0 src1_sel:DWORD
	v_bfrev_b32_e32 v11, 1
	s_and_saveexec_b64 s[22:23], s[18:19]
	s_cbranch_execz .LBB2_2218
; %bb.2213:                             ;   in Loop: Header=BB2_1749 Depth=2
	v_and_b32_e32 v2, 0x7c0000, v17
	v_bfe_u32 v14, v17, 16, 2
	v_cmp_ne_u32_e64 s[18:19], s55, v2
                                        ; implicit-def: $vgpr11
	s_and_saveexec_b64 s[88:89], s[18:19]
	s_xor_b64 s[88:89], exec, s[88:89]
	s_cbranch_execz .LBB2_2215
; %bb.2214:                             ;   in Loop: Header=BB2_1749 Depth=2
	v_ffbh_u32_e32 v11, v14
	v_min_u32_e32 v15, 32, v11
	v_subrev_u32_e32 v11, 29, v15
	v_bfe_u32 v2, v17, 18, 5
	v_lshlrev_b64 v[10:11], v11, v[10:11]
	v_sub_u32_e32 v11, 30, v15
	v_cmp_eq_u32_e64 s[18:19], 0, v2
	v_cndmask_b32_e64 v2, v2, v11, s[18:19]
	v_lshlrev_b32_e32 v11, 8, v17
	v_and_b32_e32 v10, 3, v10
	v_and_b32_e32 v11, 0x80000000, v11
	v_cndmask_b32_e64 v10, v14, v10, s[18:19]
	v_lshl_add_u32 v2, v2, 23, v11
	v_lshl_or_b32 v2, v10, 21, v2
	v_add_u32_e32 v11, 0x38000000, v2
                                        ; implicit-def: $vgpr14
                                        ; implicit-def: $vgpr10
.LBB2_2215:                             ;   in Loop: Header=BB2_1749 Depth=2
	s_andn2_saveexec_b64 s[88:89], s[88:89]
; %bb.2216:                             ;   in Loop: Header=BB2_1749 Depth=2
	v_cmp_gt_i16_sdwa s[18:19], sext(v10), v56 src0_sel:BYTE_0 src1_sel:DWORD
	v_cndmask_b32_e64 v2, v57, v58, s[18:19]
	v_cmp_eq_u32_e64 s[18:19], 0, v14
	v_cndmask_b32_e64 v11, v59, v2, s[18:19]
; %bb.2217:                             ;   in Loop: Header=BB2_1749 Depth=2
	s_or_b64 exec, exec, s[88:89]
.LBB2_2218:                             ;   in Loop: Header=BB2_1749 Depth=2
	s_or_b64 exec, exec, s[22:23]
.LBB2_2219:                             ;   in Loop: Header=BB2_1749 Depth=2
	s_or_b64 exec, exec, s[20:21]
	v_lshrrev_b32_e32 v10, 16, v13
	v_cmp_gt_i16_sdwa s[20:21], v10, s52 src0_sel:BYTE_0 src1_sel:DWORD
	s_mov_b64 s[18:19], 0
	s_and_saveexec_b64 s[22:23], s[20:21]
	s_xor_b64 s[20:21], exec, s[22:23]
	s_cbranch_execz .LBB2_2290
; %bb.2220:                             ;   in Loop: Header=BB2_1749 Depth=2
	v_cmp_eq_u16_sdwa s[88:89], v10, s53 src0_sel:BYTE_0 src1_sel:DWORD
	s_mov_b64 s[18:19], -1
	s_and_saveexec_b64 s[22:23], s[88:89]
; %bb.2221:                             ;   in Loop: Header=BB2_1749 Depth=2
	s_xor_b64 s[18:19], exec, -1
; %bb.2222:                             ;   in Loop: Header=BB2_1749 Depth=2
	s_or_b64 exec, exec, s[22:23]
	s_and_b64 s[18:19], s[18:19], exec
	s_or_saveexec_b64 s[20:21], s[20:21]
	v_bfrev_b32_e32 v14, 1
	s_xor_b64 exec, exec, s[20:21]
	s_cbranch_execnz .LBB2_2291
.LBB2_2223:                             ;   in Loop: Header=BB2_1749 Depth=2
	s_or_b64 exec, exec, s[20:21]
	s_and_saveexec_b64 s[88:89], s[18:19]
	s_cbranch_execz .LBB2_2225
.LBB2_2224:                             ;   in Loop: Header=BB2_1749 Depth=2
	v_and_b32_e32 v2, 3, v10
	v_and_b32_e32 v14, 0x7c0000, v13
	v_cmp_eq_u32_e64 s[18:19], s55, v14
	v_ffbh_u32_e32 v14, v2
	v_min_u32_e32 v34, 32, v14
	v_subrev_u32_e32 v14, 29, v34
	v_bfe_u32 v20, v13, 18, 5
	v_lshlrev_b64 v[14:15], v14, v[10:11]
	v_cmp_eq_u32_e64 s[20:21], 0, v20
	v_sub_u32_e32 v15, 30, v34
	v_cndmask_b32_e64 v15, v20, v15, s[20:21]
	v_lshlrev_b32_e32 v20, 24, v10
	v_and_b32_e32 v14, 3, v14
	v_and_b32_e32 v20, 0x80000000, v20
	v_cndmask_b32_e64 v14, v2, v14, s[20:21]
	v_lshl_add_u32 v15, v15, 23, v20
	v_cmp_gt_i16_sdwa s[22:23], sext(v10), v56 src0_sel:BYTE_0 src1_sel:DWORD
	v_lshl_or_b32 v14, v14, 21, v15
	v_cmp_eq_u32_e64 s[20:21], 0, v2
	v_cndmask_b32_e64 v2, v57, v58, s[22:23]
	v_add_u32_e32 v14, 0x38000000, v14
	v_cndmask_b32_e64 v2, v59, v2, s[20:21]
	v_cndmask_b32_e64 v14, v14, v2, s[18:19]
.LBB2_2225:                             ;   in Loop: Header=BB2_1749 Depth=2
	s_or_b64 exec, exec, s[88:89]
	v_mul_f32_e32 v10, v11, v14
	v_and_b32_e32 v14, 0x7f800000, v10
	v_mov_b32_e32 v15, v3
	v_cmp_ne_u64_e64 s[18:19], s[58:59], v[14:15]
	v_and_b32_e32 v2, 0x7fffff, v10
                                        ; implicit-def: $vgpr14
	s_and_saveexec_b64 s[20:21], s[18:19]
	s_xor_b64 s[22:23], exec, s[20:21]
	s_cbranch_execz .LBB2_2239
; %bb.2226:                             ;   in Loop: Header=BB2_1749 Depth=2
	v_and_b32_e32 v14, 0x7fffffff, v10
	v_mov_b32_e32 v15, v3
	v_cmp_gt_u64_e64 s[18:19], s[60:61], v[14:15]
	v_and_b32_sdwa v42, v10, s53 dst_sel:DWORD dst_unused:UNUSED_PAD src0_sel:BYTE_3 src1_sel:DWORD
                                        ; implicit-def: $vgpr14
	s_and_saveexec_b64 s[20:21], s[18:19]
	s_xor_b64 s[88:89], exec, s[20:21]
	s_cbranch_execz .LBB2_2236
; %bb.2227:                             ;   in Loop: Header=BB2_1749 Depth=2
	v_mov_b32_e32 v14, 0
	v_cmp_ne_u32_e64 s[18:19], 0, v10
	s_and_saveexec_b64 s[90:91], s[18:19]
	s_cbranch_execz .LBB2_2235
; %bb.2228:                             ;   in Loop: Header=BB2_1749 Depth=2
	v_bfe_u32 v20, v10, 23, 8
	v_cmp_gt_u32_e64 s[20:21], s54, v20
	v_sub_u32_e32 v10, 0x71, v20
	v_cmp_eq_u32_e64 s[18:19], 0, v20
	v_cndmask_b32_e64 v10, 0, v10, s[20:21]
	v_mov_b32_e32 v14, 0x70
	v_cndmask_b32_e64 v61, v10, v14, s[18:19]
	v_or_b32_e32 v11, 0x800000, v2
	v_add_u32_e32 v10, 21, v61
	v_cndmask_b32_e64 v2, v11, v2, s[18:19]
	v_lshlrev_b64 v[10:11], v10, -1
	v_add_u32_e32 v14, 20, v61
	v_lshlrev_b64 v[14:15], v14, 1
	v_bfi_b32 v11, v11, 0, 0
	v_bfi_b32 v10, v10, 0, v2
	v_cmp_eq_u64_e64 s[20:21], v[10:11], v[14:15]
	v_lshrrev_b64 v[10:11], v61, v[2:3]
	v_mov_b32_e32 v34, 0xffffff82
	v_mov_b32_e32 v15, v11
	;; [unrolled: 1-line block ×3, first 2 shown]
	s_and_saveexec_b64 s[92:93], s[20:21]
; %bb.2229:                             ;   in Loop: Header=BB2_1749 Depth=2
	v_bfe_u32 v2, v10, 21, 1
	v_add_co_u32_e64 v2, s[20:21], v10, v2
	v_add_co_u32_e64 v14, s[20:21], -1, v2
; %bb.2230:                             ;   in Loop: Header=BB2_1749 Depth=2
	s_or_b64 exec, exec, s[92:93]
	v_add_u32_e32 v2, 0xffffff81, v20
	v_cndmask_b32_e64 v2, v2, v34, s[18:19]
	v_lshrrev_b32_e32 v11, 23, v10
	v_add3_u32 v20, v61, v2, v11
	v_add_u32_e32 v15, 14, v20
	v_and_b32_e32 v2, 0x1fffff, v14
	v_add_u32_e32 v2, v2, v10
	v_cmp_ne_u32_e64 s[18:19], 0, v15
                                        ; implicit-def: $vgpr10_vgpr11
                                        ; implicit-def: $vgpr14
	s_and_saveexec_b64 s[20:21], s[18:19]
	s_xor_b64 s[20:21], exec, s[20:21]
; %bb.2231:                             ;   in Loop: Header=BB2_1749 Depth=2
	v_cmp_lt_u64_e64 s[18:19], s[62:63], v[2:3]
	v_add_u32_e32 v10, 15, v20
	v_cndmask_b32_e64 v14, v15, v10, s[18:19]
	v_cndmask_b32_e64 v10, 0, 1, s[18:19]
	v_lshrrev_b64 v[10:11], v10, v[2:3]
; %bb.2232:                             ;   in Loop: Header=BB2_1749 Depth=2
	s_andn2_saveexec_b64 s[18:19], s[20:21]
; %bb.2233:                             ;   in Loop: Header=BB2_1749 Depth=2
	v_mov_b32_e32 v11, v3
	v_bfe_u32 v14, v2, 23, 1
	v_mov_b32_e32 v10, v2
; %bb.2234:                             ;   in Loop: Header=BB2_1749 Depth=2
	s_or_b64 exec, exec, s[18:19]
	v_lshrrev_b64 v[10:11], 21, v[10:11]
	v_cmp_gt_i32_e64 s[18:19], 32, v14
	v_cndmask_b32_e64 v11, 0, v11, s[18:19]
	v_cndmask_b32_e64 v10, 3, v10, s[18:19]
	v_min_i32_e32 v2, 31, v14
	v_cmp_eq_u64_e64 s[20:21], 0, v[10:11]
	v_lshlrev_b32_e32 v2, 2, v2
	v_cmp_eq_u32_e64 s[18:19], 0, v14
	v_and_b32_e32 v2, 0xfc, v2
	v_and_or_b32 v2, v10, 3, v2
	s_and_b64 s[18:19], s[18:19], s[20:21]
	v_cndmask_b32_e64 v2, v2, 0, s[18:19]
	v_or_b32_e32 v14, v2, v42
	v_mov_b32_e32 v61, 0xffffff82
.LBB2_2235:                             ;   in Loop: Header=BB2_1749 Depth=2
	s_or_b64 exec, exec, s[90:91]
                                        ; implicit-def: $vgpr42
.LBB2_2236:                             ;   in Loop: Header=BB2_1749 Depth=2
	s_andn2_saveexec_b64 s[18:19], s[88:89]
; %bb.2237:                             ;   in Loop: Header=BB2_1749 Depth=2
	v_or_b32_e32 v14, 0x7b, v42
; %bb.2238:                             ;   in Loop: Header=BB2_1749 Depth=2
	s_or_b64 exec, exec, s[18:19]
                                        ; implicit-def: $vgpr10
.LBB2_2239:                             ;   in Loop: Header=BB2_1749 Depth=2
	s_andn2_saveexec_b64 s[20:21], s[22:23]
	s_cbranch_execz .LBB2_2245
; %bb.2240:                             ;   in Loop: Header=BB2_1749 Depth=2
	v_cmp_ne_u64_e64 s[18:19], 0, v[2:3]
                                        ; implicit-def: $vgpr14
	s_and_saveexec_b64 s[22:23], s[18:19]
	s_xor_b64 s[18:19], exec, s[22:23]
; %bb.2241:                             ;   in Loop: Header=BB2_1749 Depth=2
	v_or_b32_sdwa v14, v10, s52 dst_sel:DWORD dst_unused:UNUSED_PAD src0_sel:BYTE_3 src1_sel:DWORD
                                        ; implicit-def: $vgpr10
; %bb.2242:                             ;   in Loop: Header=BB2_1749 Depth=2
	s_andn2_saveexec_b64 s[22:23], s[18:19]
; %bb.2243:                             ;   in Loop: Header=BB2_1749 Depth=2
	v_cmp_lt_i32_e64 s[18:19], -1, v10
	v_cndmask_b32_e64 v14, v31, v18, s[18:19]
; %bb.2244:                             ;   in Loop: Header=BB2_1749 Depth=2
	s_or_b64 exec, exec, s[22:23]
.LBB2_2245:                             ;   in Loop: Header=BB2_1749 Depth=2
	s_or_b64 exec, exec, s[20:21]
	v_cmp_lt_u64_e64 s[18:19], s[56:57], v[16:17]
	v_mov_b32_e32 v11, 0
	s_and_saveexec_b64 s[20:21], s[18:19]
	s_cbranch_execz .LBB2_2253
; %bb.2246:                             ;   in Loop: Header=BB2_1749 Depth=2
	v_lshrrev_b32_e32 v10, 24, v17
	v_cmp_ne_u32_e64 s[18:19], s53, v10
	v_bfrev_b32_e32 v11, 1
	s_and_saveexec_b64 s[22:23], s[18:19]
	s_cbranch_execz .LBB2_2252
; %bb.2247:                             ;   in Loop: Header=BB2_1749 Depth=2
	v_and_b32_e32 v2, 0x7c000000, v17
	v_bfe_u32 v15, v17, 24, 2
	v_cmp_ne_u32_e64 s[18:19], s64, v2
                                        ; implicit-def: $vgpr11
	s_and_saveexec_b64 s[88:89], s[18:19]
	s_xor_b64 s[88:89], exec, s[88:89]
	s_cbranch_execz .LBB2_2249
; %bb.2248:                             ;   in Loop: Header=BB2_1749 Depth=2
	v_ffbh_u32_e32 v11, v15
	v_min_u32_e32 v16, 32, v11
	v_subrev_u32_e32 v11, 29, v16
	v_bfe_u32 v2, v17, 26, 5
	v_lshlrev_b64 v[10:11], v11, v[10:11]
	v_sub_u32_e32 v11, 30, v16
	v_cmp_eq_u32_e64 s[18:19], 0, v2
	v_and_b32_e32 v10, 3, v10
	v_cndmask_b32_e64 v2, v2, v11, s[18:19]
	v_and_b32_e32 v11, 0x80000000, v17
	v_cndmask_b32_e64 v10, v15, v10, s[18:19]
	v_lshl_add_u32 v2, v2, 23, v11
	v_lshl_or_b32 v2, v10, 21, v2
	v_add_u32_e32 v11, 0x38000000, v2
                                        ; implicit-def: $vgpr15
                                        ; implicit-def: $vgpr16_vgpr17
.LBB2_2249:                             ;   in Loop: Header=BB2_1749 Depth=2
	s_andn2_saveexec_b64 s[88:89], s[88:89]
; %bb.2250:                             ;   in Loop: Header=BB2_1749 Depth=2
	v_cmp_lt_i64_e64 s[18:19], -1, v[16:17]
	v_cndmask_b32_e64 v2, v57, v58, s[18:19]
	v_cmp_eq_u32_e64 s[18:19], 0, v15
	v_cndmask_b32_e64 v11, v59, v2, s[18:19]
; %bb.2251:                             ;   in Loop: Header=BB2_1749 Depth=2
	s_or_b64 exec, exec, s[88:89]
.LBB2_2252:                             ;   in Loop: Header=BB2_1749 Depth=2
	s_or_b64 exec, exec, s[22:23]
.LBB2_2253:                             ;   in Loop: Header=BB2_1749 Depth=2
	s_or_b64 exec, exec, s[20:21]
	v_bfe_u32 v10, v13, 24, 2
	v_and_b32_e32 v15, 0x7c000000, v13
	v_cmp_eq_u32_e64 s[18:19], s64, v15
	v_ffbh_u32_e32 v15, v10
	v_min_u32_e32 v20, 32, v15
	v_lshrrev_b32_e32 v2, 24, v13
	v_subrev_u32_e32 v15, 29, v20
	v_bfe_u32 v17, v13, 26, 5
	v_lshlrev_b64 v[15:16], v15, v[2:3]
	v_cmp_eq_u32_e64 s[20:21], 0, v17
	v_sub_u32_e32 v16, 30, v20
	v_and_b32_e32 v15, 3, v15
	v_cndmask_b32_e64 v16, v17, v16, s[20:21]
	v_and_b32_e32 v17, 0x80000000, v13
	v_cmp_lt_i64_e64 s[22:23], -1, v[12:13]
	v_cndmask_b32_e64 v15, v10, v15, s[20:21]
	v_lshl_add_u32 v16, v16, 23, v17
	v_lshl_or_b32 v15, v15, 21, v16
	v_cmp_eq_u32_e64 s[20:21], 0, v10
	v_cndmask_b32_e64 v10, v57, v58, s[22:23]
	v_add_u32_e32 v15, 0x38000000, v15
	v_cndmask_b32_e64 v10, v59, v10, s[20:21]
	v_cndmask_b32_e64 v10, v15, v10, s[18:19]
	v_cmp_ne_u32_e64 s[18:19], s53, v2
	v_cndmask_b32_e64 v2, v19, v10, s[18:19]
	v_cmp_lt_u64_e64 s[18:19], s[56:57], v[12:13]
	v_mov_b32_e32 v13, v3
	v_cndmask_b32_e64 v2, 0, v2, s[18:19]
	v_mul_f32_e32 v11, v2, v11
	v_and_b32_e32 v12, 0x7f800000, v11
	v_cmp_ne_u64_e64 s[18:19], s[58:59], v[12:13]
	v_and_b32_e32 v2, 0x7fffff, v11
                                        ; implicit-def: $vgpr10
	s_and_saveexec_b64 s[20:21], s[18:19]
	s_xor_b64 s[22:23], exec, s[20:21]
	s_cbranch_execz .LBB2_2267
; %bb.2254:                             ;   in Loop: Header=BB2_1749 Depth=2
	v_and_b32_e32 v12, 0x7fffffff, v11
	v_mov_b32_e32 v13, v3
	v_cmp_gt_u64_e64 s[18:19], s[60:61], v[12:13]
	v_and_b32_sdwa v13, v11, s53 dst_sel:DWORD dst_unused:UNUSED_PAD src0_sel:BYTE_3 src1_sel:DWORD
                                        ; implicit-def: $vgpr10
	s_and_saveexec_b64 s[20:21], s[18:19]
	s_xor_b64 s[88:89], exec, s[20:21]
	s_cbranch_execz .LBB2_2264
; %bb.2255:                             ;   in Loop: Header=BB2_1749 Depth=2
	v_mov_b32_e32 v10, 0
	v_cmp_ne_u32_e64 s[18:19], 0, v11
	s_and_saveexec_b64 s[90:91], s[18:19]
	s_cbranch_execz .LBB2_2263
; %bb.2256:                             ;   in Loop: Header=BB2_1749 Depth=2
	v_bfe_u32 v15, v11, 23, 8
	v_cmp_gt_u32_e64 s[20:21], s54, v15
	v_sub_u32_e32 v10, 0x71, v15
	v_cmp_eq_u32_e64 s[18:19], 0, v15
	v_cndmask_b32_e64 v10, 0, v10, s[20:21]
	v_mov_b32_e32 v12, 0x70
	v_cndmask_b32_e64 v16, v10, v12, s[18:19]
	v_or_b32_e32 v11, 0x800000, v2
	v_add_u32_e32 v10, 21, v16
	v_cndmask_b32_e64 v2, v11, v2, s[18:19]
	v_lshlrev_b64 v[10:11], v10, -1
	v_add_u32_e32 v12, 20, v16
	v_lshlrev_b64 v[34:35], v12, 1
	v_bfi_b32 v11, v11, 0, 0
	v_bfi_b32 v10, v10, 0, v2
	v_cmp_eq_u64_e64 s[20:21], v[10:11], v[34:35]
	v_lshrrev_b64 v[10:11], v16, v[2:3]
	v_mov_b32_e32 v12, v11
	v_mov_b32_e32 v11, v10
	s_and_saveexec_b64 s[92:93], s[20:21]
; %bb.2257:                             ;   in Loop: Header=BB2_1749 Depth=2
	v_bfe_u32 v2, v10, 21, 1
	v_add_co_u32_e64 v2, s[20:21], v10, v2
	v_add_co_u32_e64 v11, s[20:21], -1, v2
; %bb.2258:                             ;   in Loop: Header=BB2_1749 Depth=2
	s_or_b64 exec, exec, s[92:93]
	v_add_u32_e32 v2, 0xffffff81, v15
	v_cndmask_b32_e64 v2, v2, v61, s[18:19]
	v_lshrrev_b32_e32 v12, 23, v10
	v_add3_u32 v16, v16, v2, v12
	v_add_u32_e32 v15, 14, v16
	v_and_b32_e32 v2, 0x1fffff, v11
	v_add_u32_e32 v2, v2, v10
	v_cmp_ne_u32_e64 s[18:19], 0, v15
                                        ; implicit-def: $vgpr10_vgpr11
                                        ; implicit-def: $vgpr12
	s_and_saveexec_b64 s[20:21], s[18:19]
	s_xor_b64 s[20:21], exec, s[20:21]
; %bb.2259:                             ;   in Loop: Header=BB2_1749 Depth=2
	v_cmp_lt_u64_e64 s[18:19], s[62:63], v[2:3]
	v_add_u32_e32 v10, 15, v16
	v_cndmask_b32_e64 v12, v15, v10, s[18:19]
	v_cndmask_b32_e64 v10, 0, 1, s[18:19]
	v_lshrrev_b64 v[10:11], v10, v[2:3]
; %bb.2260:                             ;   in Loop: Header=BB2_1749 Depth=2
	s_andn2_saveexec_b64 s[18:19], s[20:21]
; %bb.2261:                             ;   in Loop: Header=BB2_1749 Depth=2
	v_mov_b32_e32 v11, v3
	v_bfe_u32 v12, v2, 23, 1
	v_mov_b32_e32 v10, v2
; %bb.2262:                             ;   in Loop: Header=BB2_1749 Depth=2
	s_or_b64 exec, exec, s[18:19]
	v_lshrrev_b64 v[10:11], 21, v[10:11]
	v_cmp_gt_i32_e64 s[18:19], 32, v12
	v_cndmask_b32_e64 v11, 0, v11, s[18:19]
	v_cndmask_b32_e64 v10, 3, v10, s[18:19]
	v_min_i32_e32 v2, 31, v12
	v_cmp_eq_u64_e64 s[20:21], 0, v[10:11]
	v_lshlrev_b32_e32 v2, 2, v2
	v_cmp_eq_u32_e64 s[18:19], 0, v12
	v_and_b32_e32 v2, 0xfc, v2
	v_and_or_b32 v2, v10, 3, v2
	s_and_b64 s[18:19], s[18:19], s[20:21]
	v_cndmask_b32_e64 v2, v2, 0, s[18:19]
	v_or_b32_e32 v10, v2, v13
.LBB2_2263:                             ;   in Loop: Header=BB2_1749 Depth=2
	s_or_b64 exec, exec, s[90:91]
                                        ; implicit-def: $vgpr13
.LBB2_2264:                             ;   in Loop: Header=BB2_1749 Depth=2
	s_andn2_saveexec_b64 s[18:19], s[88:89]
; %bb.2265:                             ;   in Loop: Header=BB2_1749 Depth=2
	v_or_b32_e32 v10, 0x7b, v13
; %bb.2266:                             ;   in Loop: Header=BB2_1749 Depth=2
	s_or_b64 exec, exec, s[18:19]
                                        ; implicit-def: $vgpr11
.LBB2_2267:                             ;   in Loop: Header=BB2_1749 Depth=2
	s_andn2_saveexec_b64 s[20:21], s[22:23]
	s_cbranch_execz .LBB2_1748
; %bb.2268:                             ;   in Loop: Header=BB2_1749 Depth=2
	v_cmp_ne_u64_e64 s[18:19], 0, v[2:3]
                                        ; implicit-def: $vgpr10
	s_and_saveexec_b64 s[22:23], s[18:19]
	s_xor_b64 s[18:19], exec, s[22:23]
; %bb.2269:                             ;   in Loop: Header=BB2_1749 Depth=2
	v_or_b32_sdwa v10, v11, s52 dst_sel:DWORD dst_unused:UNUSED_PAD src0_sel:BYTE_3 src1_sel:DWORD
                                        ; implicit-def: $vgpr11
; %bb.2270:                             ;   in Loop: Header=BB2_1749 Depth=2
	s_andn2_saveexec_b64 s[22:23], s[18:19]
	s_cbranch_execz .LBB2_1747
; %bb.2271:                             ;   in Loop: Header=BB2_1749 Depth=2
	v_cmp_lt_i32_e64 s[18:19], -1, v11
	v_cndmask_b32_e64 v10, v31, v18, s[18:19]
	s_branch .LBB2_1747
.LBB2_2272:                             ;   in Loop: Header=BB2_1749 Depth=2
	s_or_saveexec_b64 s[20:21], s[20:21]
	v_bfrev_b32_e32 v1, 1
	s_xor_b64 exec, exec, s[20:21]
	s_cbranch_execz .LBB2_1761
.LBB2_2273:                             ;   in Loop: Header=BB2_1749 Depth=2
	v_cmp_ne_u16_sdwa s[22:23], v10, v3 src0_sel:BYTE_0 src1_sel:DWORD
	s_andn2_b64 s[18:19], s[18:19], exec
	s_and_b64 s[22:23], s[22:23], exec
	v_mov_b32_e32 v1, 0
	s_or_b64 s[18:19], s[18:19], s[22:23]
	s_or_b64 exec, exec, s[20:21]
	s_and_saveexec_b64 s[88:89], s[18:19]
	s_cbranch_execnz .LBB2_1762
	s_branch .LBB2_1763
.LBB2_2274:                             ;   in Loop: Header=BB2_1749 Depth=2
	s_or_saveexec_b64 s[22:23], s[22:23]
	v_bfrev_b32_e32 v1, 1
	s_xor_b64 exec, exec, s[22:23]
	s_cbranch_execz .LBB2_1795
.LBB2_2275:                             ;   in Loop: Header=BB2_1749 Depth=2
	v_cmp_ne_u16_e64 s[18:19], 0, v2
	s_andn2_b64 s[20:21], s[20:21], exec
	s_and_b64 s[18:19], s[18:19], exec
	v_mov_b32_e32 v1, 0
	s_or_b64 s[20:21], s[20:21], s[18:19]
	s_or_b64 exec, exec, s[22:23]
	s_and_saveexec_b64 s[88:89], s[20:21]
	s_cbranch_execnz .LBB2_1796
	s_branch .LBB2_1797
.LBB2_2276:                             ;   in Loop: Header=BB2_1749 Depth=2
	s_or_saveexec_b64 s[20:21], s[20:21]
	v_bfrev_b32_e32 v20, 1
	s_xor_b64 exec, exec, s[20:21]
	s_cbranch_execz .LBB2_1829
.LBB2_2277:                             ;   in Loop: Header=BB2_1749 Depth=2
	v_cmp_ne_u16_sdwa s[22:23], v30, v3 src0_sel:BYTE_0 src1_sel:DWORD
	s_andn2_b64 s[18:19], s[18:19], exec
	s_and_b64 s[22:23], s[22:23], exec
	v_mov_b32_e32 v20, 0
	s_or_b64 s[18:19], s[18:19], s[22:23]
	s_or_b64 exec, exec, s[20:21]
	s_and_saveexec_b64 s[88:89], s[18:19]
	s_cbranch_execnz .LBB2_1830
	s_branch .LBB2_1831
.LBB2_2278:                             ;   in Loop: Header=BB2_1749 Depth=2
	s_or_saveexec_b64 s[22:23], s[22:23]
	v_bfrev_b32_e32 v20, 1
	s_xor_b64 exec, exec, s[22:23]
	s_cbranch_execz .LBB2_1927
.LBB2_2279:                             ;   in Loop: Header=BB2_1749 Depth=2
	v_cmp_ne_u16_e64 s[18:19], 0, v2
	s_andn2_b64 s[20:21], s[20:21], exec
	s_and_b64 s[18:19], s[18:19], exec
	v_mov_b32_e32 v20, 0
	s_or_b64 s[20:21], s[20:21], s[18:19]
	s_or_b64 exec, exec, s[22:23]
	s_and_saveexec_b64 s[88:89], s[20:21]
	s_cbranch_execnz .LBB2_1928
	s_branch .LBB2_1929
.LBB2_2280:                             ;   in Loop: Header=BB2_1749 Depth=2
	s_or_saveexec_b64 s[20:21], s[20:21]
	v_bfrev_b32_e32 v20, 1
	s_xor_b64 exec, exec, s[20:21]
	s_cbranch_execz .LBB2_1961
.LBB2_2281:                             ;   in Loop: Header=BB2_1749 Depth=2
	v_cmp_ne_u16_sdwa s[22:23], v30, v3 src0_sel:BYTE_0 src1_sel:DWORD
	s_andn2_b64 s[18:19], s[18:19], exec
	s_and_b64 s[22:23], s[22:23], exec
	v_mov_b32_e32 v20, 0
	s_or_b64 s[18:19], s[18:19], s[22:23]
	s_or_b64 exec, exec, s[20:21]
	s_and_saveexec_b64 s[88:89], s[18:19]
	s_cbranch_execnz .LBB2_1962
	s_branch .LBB2_1963
.LBB2_2282:                             ;   in Loop: Header=BB2_1749 Depth=2
	s_or_saveexec_b64 s[20:21], s[20:21]
	v_bfrev_b32_e32 v10, 1
	s_xor_b64 exec, exec, s[20:21]
	s_cbranch_execz .LBB2_2023
.LBB2_2283:                             ;   in Loop: Header=BB2_1749 Depth=2
	v_cmp_ne_u16_sdwa s[22:23], v12, v3 src0_sel:BYTE_0 src1_sel:DWORD
	s_andn2_b64 s[18:19], s[18:19], exec
	s_and_b64 s[22:23], s[22:23], exec
	v_mov_b32_e32 v10, 0
	s_or_b64 s[18:19], s[18:19], s[22:23]
	s_or_b64 exec, exec, s[20:21]
	s_and_saveexec_b64 s[88:89], s[18:19]
	s_cbranch_execnz .LBB2_2024
	s_branch .LBB2_2025
.LBB2_2284:                             ;   in Loop: Header=BB2_1749 Depth=2
	s_or_saveexec_b64 s[22:23], s[22:23]
	v_bfrev_b32_e32 v10, 1
	s_xor_b64 exec, exec, s[22:23]
	s_cbranch_execz .LBB2_2057
.LBB2_2285:                             ;   in Loop: Header=BB2_1749 Depth=2
	v_cmp_ne_u16_e64 s[18:19], 0, v2
	s_andn2_b64 s[20:21], s[20:21], exec
	s_and_b64 s[18:19], s[18:19], exec
	v_mov_b32_e32 v10, 0
	s_or_b64 s[20:21], s[20:21], s[18:19]
	s_or_b64 exec, exec, s[22:23]
	s_and_saveexec_b64 s[88:89], s[20:21]
	s_cbranch_execnz .LBB2_2058
	s_branch .LBB2_2059
.LBB2_2286:                             ;   in Loop: Header=BB2_1749 Depth=2
	s_or_saveexec_b64 s[20:21], s[20:21]
	v_bfrev_b32_e32 v11, 1
	s_xor_b64 exec, exec, s[20:21]
	s_cbranch_execz .LBB2_2091
.LBB2_2287:                             ;   in Loop: Header=BB2_1749 Depth=2
	v_cmp_ne_u16_sdwa s[22:23], v10, v3 src0_sel:BYTE_0 src1_sel:DWORD
	s_andn2_b64 s[18:19], s[18:19], exec
	s_and_b64 s[22:23], s[22:23], exec
	v_mov_b32_e32 v11, 0
	s_or_b64 s[18:19], s[18:19], s[22:23]
	s_or_b64 exec, exec, s[20:21]
	s_and_saveexec_b64 s[88:89], s[18:19]
	s_cbranch_execnz .LBB2_2092
	s_branch .LBB2_2093
.LBB2_2288:                             ;   in Loop: Header=BB2_1749 Depth=2
	s_or_saveexec_b64 s[22:23], s[22:23]
	v_bfrev_b32_e32 v14, 1
	s_xor_b64 exec, exec, s[22:23]
	s_cbranch_execz .LBB2_2189
.LBB2_2289:                             ;   in Loop: Header=BB2_1749 Depth=2
	v_cmp_ne_u16_e64 s[18:19], 0, v2
	s_andn2_b64 s[20:21], s[20:21], exec
	s_and_b64 s[18:19], s[18:19], exec
	v_mov_b32_e32 v14, 0
	s_or_b64 s[20:21], s[20:21], s[18:19]
	s_or_b64 exec, exec, s[22:23]
	s_and_saveexec_b64 s[88:89], s[20:21]
	s_cbranch_execnz .LBB2_2190
	s_branch .LBB2_2191
.LBB2_2290:                             ;   in Loop: Header=BB2_1749 Depth=2
	s_or_saveexec_b64 s[20:21], s[20:21]
	v_bfrev_b32_e32 v14, 1
	s_xor_b64 exec, exec, s[20:21]
	s_cbranch_execz .LBB2_2223
.LBB2_2291:                             ;   in Loop: Header=BB2_1749 Depth=2
	v_cmp_ne_u16_sdwa s[22:23], v10, v3 src0_sel:BYTE_0 src1_sel:DWORD
	s_andn2_b64 s[18:19], s[18:19], exec
	s_and_b64 s[22:23], s[22:23], exec
	v_mov_b32_e32 v14, 0
	s_or_b64 s[18:19], s[18:19], s[22:23]
	s_or_b64 exec, exec, s[20:21]
	s_and_saveexec_b64 s[88:89], s[18:19]
	s_cbranch_execnz .LBB2_2224
	s_branch .LBB2_2225
.LBB2_2292:                             ;   in Loop: Header=BB2_1673 Depth=1
	s_or_b64 exec, exec, s[78:79]
	buffer_load_dword v54, off, s[0:3], s33 offset:76 ; 4-byte Folded Reload
	buffer_load_dword v55, off, s[0:3], s33 offset:80 ; 4-byte Folded Reload
	;; [unrolled: 1-line block ×11, first 2 shown]
.LBB2_2293:                             ;   in Loop: Header=BB2_1673 Depth=1
	s_or_b64 exec, exec, s[76:77]
	s_waitcnt vmcnt(5)
	v_and_b32_e32 v0, 15, v39
	s_waitcnt vmcnt(0)
	v_cndmask_b32_e32 v2, v2, v0, vcc
	v_mov_b32_e32 v10, 0
	v_cmp_ne_u32_e64 s[18:19], 0, v2
	s_mov_b64 s[76:77], 0
                                        ; implicit-def: $vgpr1
	s_and_saveexec_b64 s[22:23], s[18:19]
	s_cbranch_execz .LBB2_2843
; %bb.2294:                             ;   in Loop: Header=BB2_1673 Depth=1
	buffer_load_dword v1, off, s[0:3], s33 offset:172 ; 4-byte Folded Reload
	v_and_b32_e32 v0, 0x3f0, v39
	v_cndmask_b32_e32 v0, 0, v0, vcc
	v_cmp_lt_i32_e32 vcc, 0, v45
	v_and_or_b32 v10, v39, s65, v0
	v_cndmask_b32_e32 v0, 0, v62, vcc
	v_sub_u32_e32 v0, v0, v45
	buffer_store_dword v2, off, s[0:3], s33 offset:92 ; 4-byte Folded Spill
	s_waitcnt vmcnt(1)
	v_lshl_add_u32 v0, v0, 6, v1
	v_ashrrev_i32_e32 v1, 31, v0
	v_lshrrev_b32_e32 v1, 26, v1
	v_add_u32_e32 v1, v0, v1
	v_ashrrev_i32_e32 v2, 6, v1
	v_and_b32_e32 v1, 0xffffffc0, v1
	v_sub_u32_e32 v1, v0, v1
	v_lshlrev_b32_e32 v0, 4, v1
	v_sub_u32_e32 v45, 0, v2
	v_lshl_add_u32 v0, v2, 10, v0
	buffer_load_dword v2, off, s[0:3], s33 offset:92 ; 4-byte Folded Reload
	s_waitcnt vmcnt(0)
	v_sub_u32_e32 v47, v2, v0
	v_cmp_lt_i32_e32 vcc, 15, v47
	s_and_saveexec_b64 s[76:77], vcc
	s_cbranch_execz .LBB2_2842
; %bb.2295:                             ;   in Loop: Header=BB2_1673 Depth=1
	v_add_u32_e32 v2, v0, v10
	buffer_store_dword v1, off, s[0:3], s33 offset:180 ; 4-byte Folded Spill
	buffer_store_dword v39, off, s[0:3], s33 offset:112 ; 4-byte Folded Spill
	;; [unrolled: 1-line block ×4, first 2 shown]
	s_trap 2
	ds_read_b64 v[0:1], v0
	v_add_co_u32_e32 v52, vcc, v2, v16
	buffer_store_dword v16, off, s[0:3], s33 offset:160 ; 4-byte Folded Spill
	s_nop 0
	buffer_store_dword v17, off, s[0:3], s33 offset:164 ; 4-byte Folded Spill
	v_ashrrev_i32_e32 v10, 31, v2
	s_mov_b64 s[78:79], 0
	v_addc_co_u32_e32 v53, vcc, v10, v17, vcc
	s_waitcnt lgkmcnt(0)
	v_add_co_u32_e32 v54, vcc, v0, v2
	v_addc_co_u32_e32 v55, vcc, v1, v10, vcc
	v_add_co_u32_e32 v39, vcc, v2, v14
	buffer_store_dword v14, off, s[0:3], s33 offset:132 ; 4-byte Folded Spill
	s_nop 0
	buffer_store_dword v15, off, s[0:3], s33 offset:136 ; 4-byte Folded Spill
	v_addc_co_u32_e32 v40, vcc, v10, v15, vcc
	s_branch .LBB2_2298
.LBB2_2296:                             ;   in Loop: Header=BB2_2298 Depth=2
	s_or_b64 exec, exec, s[20:21]
.LBB2_2297:                             ;   in Loop: Header=BB2_2298 Depth=2
	s_or_b64 exec, exec, s[18:19]
	v_lshl_or_b32 v2, v21, 8, v44
	v_lshlrev_b32_e32 v11, 16, v43
	v_lshlrev_b32_e32 v12, 24, v30
	v_or3_b32 v12, v2, v11, v12
	v_lshl_or_b32 v2, v48, 8, v46
	v_lshlrev_b32_e32 v11, 16, v49
	v_lshlrev_b32_e32 v1, 24, v1
	v_or3_b32 v11, v2, v11, v1
	;; [unrolled: 4-line block ×3, first 2 shown]
	v_lshlrev_b32_e32 v0, 24, v10
	v_lshlrev_b32_e32 v1, 16, v14
	v_lshl_or_b32 v2, v41, 8, v25
	v_or3_b32 v14, v2, v1, v0
	buffer_load_dword v0, off, s[0:3], s33 offset:60 ; 4-byte Folded Reload
	v_sub_u32_e32 v45, v45, v62
	global_store_dwordx4 v[39:40], v[11:14], off glc slc
	s_waitcnt vmcnt(1)
	v_add_co_u32_e32 v52, vcc, v52, v0
	v_addc_co_u32_e32 v53, vcc, 0, v53, vcc
	v_add_co_u32_e32 v54, vcc, v54, v0
	v_addc_co_u32_e32 v55, vcc, 0, v55, vcc
	;; [unrolled: 2-line block ×3, first 2 shown]
	v_sub_u32_e32 v47, v47, v0
	v_cmp_gt_i32_e32 vcc, 16, v47
	s_or_b64 s[78:79], vcc, s[78:79]
	s_andn2_b64 exec, exec, s[78:79]
	s_cbranch_execz .LBB2_2841
.LBB2_2298:                             ;   Parent Loop BB2_1673 Depth=1
                                        ; =>  This Inner Loop Header: Depth=2
	global_load_dwordx4 v[14:17], v[52:53], off glc slc
	global_load_dwordx4 v[10:13], v[54:55], off glc slc
	v_mov_b32_e32 v0, 0
	s_waitcnt vmcnt(1)
	v_cmp_ne_u16_sdwa s[20:21], v14, v3 src0_sel:BYTE_0 src1_sel:DWORD
	s_and_saveexec_b64 s[18:19], s[20:21]
	s_cbranch_execz .LBB2_2306
; %bb.2299:                             ;   in Loop: Header=BB2_2298 Depth=2
	v_cmp_ne_u16_sdwa s[88:89], sext(v14), s49 src0_sel:BYTE_0 src1_sel:DWORD
	v_bfrev_b32_e32 v0, 1
	s_and_saveexec_b64 s[20:21], s[88:89]
	s_cbranch_execz .LBB2_2305
; %bb.2300:                             ;   in Loop: Header=BB2_2298 Depth=2
	v_and_b32_e32 v0, 0x7c, v14
	v_and_b32_e32 v1, 3, v14
	v_cmp_ne_u32_e32 vcc, s50, v0
                                        ; implicit-def: $vgpr0
	s_and_saveexec_b64 s[88:89], vcc
	s_xor_b64 s[88:89], exec, s[88:89]
	s_cbranch_execz .LBB2_2302
; %bb.2301:                             ;   in Loop: Header=BB2_2298 Depth=2
	v_ffbh_u32_e32 v2, v1
	v_min_u32_e32 v2, 32, v2
	v_bfe_u32 v0, v14, 2, 5
	v_subrev_u32_e32 v20, 29, v2
	v_lshlrev_b64 v[20:21], v20, v[14:15]
	v_sub_u32_e32 v2, 30, v2
	v_cmp_eq_u32_e32 vcc, 0, v0
	v_cndmask_b32_e32 v0, v0, v2, vcc
	v_lshlrev_b32_e32 v2, 24, v14
	v_and_b32_e32 v20, 3, v20
	v_and_b32_e32 v2, 0x80000000, v2
	v_cndmask_b32_e32 v1, v1, v20, vcc
	v_lshl_add_u32 v0, v0, 23, v2
	v_lshl_or_b32 v0, v1, 21, v0
	v_add_u32_e32 v0, 0x38000000, v0
                                        ; implicit-def: $vgpr1
.LBB2_2302:                             ;   in Loop: Header=BB2_2298 Depth=2
	s_andn2_saveexec_b64 s[88:89], s[88:89]
; %bb.2303:                             ;   in Loop: Header=BB2_2298 Depth=2
	v_cmp_gt_i16_sdwa vcc, sext(v14), v56 src0_sel:BYTE_0 src1_sel:DWORD
	v_cndmask_b32_e32 v0, v57, v58, vcc
	v_cmp_eq_u32_e32 vcc, 0, v1
	v_cndmask_b32_e32 v0, v59, v0, vcc
; %bb.2304:                             ;   in Loop: Header=BB2_2298 Depth=2
	s_or_b64 exec, exec, s[88:89]
.LBB2_2305:                             ;   in Loop: Header=BB2_2298 Depth=2
	s_or_b64 exec, exec, s[20:21]
.LBB2_2306:                             ;   in Loop: Header=BB2_2298 Depth=2
	s_or_b64 exec, exec, s[18:19]
	s_waitcnt vmcnt(0)
	v_cmp_gt_i16_sdwa s[20:21], v10, s52 src0_sel:BYTE_0 src1_sel:DWORD
	s_mov_b64 s[18:19], 0
	s_and_saveexec_b64 s[88:89], s[20:21]
	s_xor_b64 s[20:21], exec, s[88:89]
	s_cbranch_execz .LBB2_2821
; %bb.2307:                             ;   in Loop: Header=BB2_2298 Depth=2
	v_cmp_eq_u16_sdwa s[90:91], v10, s53 src0_sel:BYTE_0 src1_sel:DWORD
	s_mov_b64 s[18:19], -1
	s_and_saveexec_b64 s[88:89], s[90:91]
; %bb.2308:                             ;   in Loop: Header=BB2_2298 Depth=2
	s_xor_b64 s[18:19], exec, -1
; %bb.2309:                             ;   in Loop: Header=BB2_2298 Depth=2
	s_or_b64 exec, exec, s[88:89]
	s_and_b64 s[18:19], s[18:19], exec
	s_or_saveexec_b64 s[20:21], s[20:21]
	v_bfrev_b32_e32 v1, 1
	s_xor_b64 exec, exec, s[20:21]
	s_cbranch_execnz .LBB2_2822
.LBB2_2310:                             ;   in Loop: Header=BB2_2298 Depth=2
	s_or_b64 exec, exec, s[20:21]
	s_and_saveexec_b64 s[88:89], s[18:19]
	s_cbranch_execz .LBB2_2312
.LBB2_2311:                             ;   in Loop: Header=BB2_2298 Depth=2
	v_and_b32_e32 v20, 3, v10
	v_and_b32_e32 v1, 0x7c, v10
	v_cmp_eq_u32_e32 vcc, s50, v1
	v_ffbh_u32_e32 v1, v20
	v_min_u32_e32 v24, 32, v1
	v_subrev_u32_e32 v1, 29, v24
	v_bfe_u32 v21, v10, 2, 5
	v_lshlrev_b64 v[1:2], v1, v[10:11]
	v_cmp_eq_u32_e64 s[18:19], 0, v21
	v_sub_u32_e32 v2, 30, v24
	v_cndmask_b32_e64 v2, v21, v2, s[18:19]
	v_lshlrev_b32_e32 v21, 24, v10
	v_and_b32_e32 v1, 3, v1
	v_and_b32_e32 v21, 0x80000000, v21
	v_cndmask_b32_e64 v1, v20, v1, s[18:19]
	v_lshl_add_u32 v2, v2, 23, v21
	v_cmp_gt_i16_sdwa s[20:21], sext(v10), v56 src0_sel:BYTE_0 src1_sel:DWORD
	v_lshl_or_b32 v1, v1, 21, v2
	v_cmp_eq_u32_e64 s[18:19], 0, v20
	v_cndmask_b32_e64 v2, v57, v58, s[20:21]
	v_add_u32_e32 v1, 0x38000000, v1
	v_cndmask_b32_e64 v2, v59, v2, s[18:19]
	v_cndmask_b32_e32 v1, v1, v2, vcc
.LBB2_2312:                             ;   in Loop: Header=BB2_2298 Depth=2
	s_or_b64 exec, exec, s[88:89]
	v_mul_f32_e32 v1, v0, v1
	v_and_b32_e32 v20, 0x7f800000, v1
	v_mov_b32_e32 v21, v3
	v_cmp_ne_u64_e32 vcc, s[58:59], v[20:21]
	v_and_b32_e32 v2, 0x7fffff, v1
                                        ; implicit-def: $vgpr46
	s_and_saveexec_b64 s[18:19], vcc
	s_xor_b64 s[20:21], exec, s[18:19]
	s_cbranch_execz .LBB2_2326
; %bb.2313:                             ;   in Loop: Header=BB2_2298 Depth=2
	v_and_b32_e32 v20, 0x7fffffff, v1
	v_mov_b32_e32 v21, v3
	v_cmp_gt_u64_e32 vcc, s[60:61], v[20:21]
	v_and_b32_sdwa v0, v1, s53 dst_sel:DWORD dst_unused:UNUSED_PAD src0_sel:BYTE_3 src1_sel:DWORD
                                        ; implicit-def: $vgpr46
	s_and_saveexec_b64 s[18:19], vcc
	s_xor_b64 s[88:89], exec, s[18:19]
	s_cbranch_execz .LBB2_2323
; %bb.2314:                             ;   in Loop: Header=BB2_2298 Depth=2
	v_mov_b32_e32 v46, 0
	v_cmp_ne_u32_e32 vcc, 0, v1
	s_and_saveexec_b64 s[90:91], vcc
	s_cbranch_execz .LBB2_2322
; %bb.2315:                             ;   in Loop: Header=BB2_2298 Depth=2
	v_bfe_u32 v1, v1, 23, 8
	v_cmp_gt_u32_e64 s[18:19], s54, v1
	v_sub_u32_e32 v20, 0x71, v1
	v_cmp_eq_u32_e32 vcc, 0, v1
	v_cndmask_b32_e64 v20, 0, v20, s[18:19]
	v_mov_b32_e32 v24, 0x70
	v_or_b32_e32 v21, 0x800000, v2
	v_cndmask_b32_e32 v20, v20, v24, vcc
	v_cndmask_b32_e32 v2, v21, v2, vcc
	v_add_u32_e32 v21, 21, v20
	v_lshlrev_b64 v[24:25], v21, -1
	v_add_u32_e32 v21, 20, v20
	v_lshlrev_b64 v[34:35], v21, 1
	v_lshrrev_b64 v[41:42], v20, v[2:3]
	v_bfi_b32 v25, v25, 0, 0
	v_bfi_b32 v24, v24, 0, v2
	v_cmp_eq_u64_e64 s[18:19], v[24:25], v[34:35]
	v_mov_b32_e32 v43, v42
	v_mov_b32_e32 v42, v41
	s_and_saveexec_b64 s[92:93], s[18:19]
; %bb.2316:                             ;   in Loop: Header=BB2_2298 Depth=2
	v_bfe_u32 v2, v41, 21, 1
	v_add_co_u32_e64 v2, s[18:19], v41, v2
	v_add_co_u32_e64 v42, s[18:19], -1, v2
; %bb.2317:                             ;   in Loop: Header=BB2_2298 Depth=2
	s_or_b64 exec, exec, s[92:93]
	v_add_u32_e32 v1, 0xffffff81, v1
	v_cndmask_b32_e32 v1, v1, v61, vcc
	v_lshrrev_b32_e32 v2, 23, v41
	v_add3_u32 v21, v20, v1, v2
	v_add_u32_e32 v20, 14, v21
	v_and_b32_e32 v1, 0x1fffff, v42
	v_add_u32_e32 v2, v1, v41
	v_cmp_ne_u32_e32 vcc, 0, v20
                                        ; implicit-def: $vgpr41_vgpr42
                                        ; implicit-def: $vgpr1
	s_and_saveexec_b64 s[18:19], vcc
	s_xor_b64 s[18:19], exec, s[18:19]
; %bb.2318:                             ;   in Loop: Header=BB2_2298 Depth=2
	v_cmp_lt_u64_e32 vcc, s[62:63], v[2:3]
	v_add_u32_e32 v1, 15, v21
	v_cndmask_b32_e32 v1, v20, v1, vcc
	v_cndmask_b32_e64 v20, 0, 1, vcc
	v_lshrrev_b64 v[41:42], v20, v[2:3]
; %bb.2319:                             ;   in Loop: Header=BB2_2298 Depth=2
	s_andn2_saveexec_b64 s[18:19], s[18:19]
; %bb.2320:                             ;   in Loop: Header=BB2_2298 Depth=2
	v_mov_b32_e32 v42, v3
	v_bfe_u32 v1, v2, 23, 1
	v_mov_b32_e32 v41, v2
; %bb.2321:                             ;   in Loop: Header=BB2_2298 Depth=2
	s_or_b64 exec, exec, s[18:19]
	v_lshrrev_b64 v[20:21], 21, v[41:42]
	v_cmp_gt_i32_e32 vcc, 32, v1
	v_cndmask_b32_e32 v21, 0, v21, vcc
	v_cndmask_b32_e32 v20, 3, v20, vcc
	v_cmp_eq_u32_e32 vcc, 0, v1
	v_min_i32_e32 v1, 31, v1
	v_cmp_eq_u64_e64 s[18:19], 0, v[20:21]
	v_lshlrev_b32_e32 v1, 2, v1
	v_and_b32_e32 v1, 0xfc, v1
	v_and_or_b32 v1, v20, 3, v1
	s_and_b64 s[18:19], vcc, s[18:19]
	v_cndmask_b32_e64 v1, v1, 0, s[18:19]
	v_or_b32_e32 v46, v1, v0
.LBB2_2322:                             ;   in Loop: Header=BB2_2298 Depth=2
	s_or_b64 exec, exec, s[90:91]
                                        ; implicit-def: $vgpr0
.LBB2_2323:                             ;   in Loop: Header=BB2_2298 Depth=2
	s_andn2_saveexec_b64 s[18:19], s[88:89]
; %bb.2324:                             ;   in Loop: Header=BB2_2298 Depth=2
	v_or_b32_e32 v46, 0x7b, v0
; %bb.2325:                             ;   in Loop: Header=BB2_2298 Depth=2
	s_or_b64 exec, exec, s[18:19]
                                        ; implicit-def: $vgpr1
.LBB2_2326:                             ;   in Loop: Header=BB2_2298 Depth=2
	s_andn2_saveexec_b64 s[18:19], s[20:21]
	s_cbranch_execz .LBB2_2332
; %bb.2327:                             ;   in Loop: Header=BB2_2298 Depth=2
	v_cmp_ne_u64_e32 vcc, 0, v[2:3]
                                        ; implicit-def: $vgpr46
	s_and_saveexec_b64 s[20:21], vcc
	s_xor_b64 s[20:21], exec, s[20:21]
; %bb.2328:                             ;   in Loop: Header=BB2_2298 Depth=2
	v_or_b32_sdwa v46, v1, s52 dst_sel:DWORD dst_unused:UNUSED_PAD src0_sel:BYTE_3 src1_sel:DWORD
                                        ; implicit-def: $vgpr1
; %bb.2329:                             ;   in Loop: Header=BB2_2298 Depth=2
	s_andn2_saveexec_b64 s[20:21], s[20:21]
; %bb.2330:                             ;   in Loop: Header=BB2_2298 Depth=2
	v_cmp_lt_i32_e32 vcc, -1, v1
	v_cndmask_b32_e32 v46, v31, v18, vcc
; %bb.2331:                             ;   in Loop: Header=BB2_2298 Depth=2
	s_or_b64 exec, exec, s[20:21]
.LBB2_2332:                             ;   in Loop: Header=BB2_2298 Depth=2
	s_or_b64 exec, exec, s[18:19]
	v_lshrrev_b16_e32 v2, 8, v14
	v_cmp_ne_u16_e32 vcc, 0, v2
	v_mov_b32_e32 v0, 0
	s_and_saveexec_b64 s[18:19], vcc
	s_cbranch_execz .LBB2_2340
; %bb.2333:                             ;   in Loop: Header=BB2_2298 Depth=2
	v_cmp_ne_u16_e32 vcc, s53, v2
	v_bfrev_b32_e32 v0, 1
	s_and_saveexec_b64 s[20:21], vcc
	s_cbranch_execz .LBB2_2339
; %bb.2334:                             ;   in Loop: Header=BB2_2298 Depth=2
	v_and_b32_e32 v0, 0x7c, v2
	v_and_b32_e32 v1, 3, v2
	v_cmp_ne_u32_e32 vcc, s50, v0
                                        ; implicit-def: $vgpr0
	s_and_saveexec_b64 s[88:89], vcc
	s_xor_b64 s[88:89], exec, s[88:89]
	s_cbranch_execz .LBB2_2336
; %bb.2335:                             ;   in Loop: Header=BB2_2298 Depth=2
	v_ffbh_u32_e32 v20, v1
	v_min_u32_e32 v24, 32, v20
	v_bfe_u32 v0, v2, 2, 5
	v_subrev_u32_e32 v20, 29, v24
	v_lshlrev_b64 v[20:21], v20, v[2:3]
	v_sub_u32_e32 v2, 30, v24
	v_cmp_eq_u32_e32 vcc, 0, v0
	v_cndmask_b32_e32 v0, v0, v2, vcc
	v_lshlrev_b32_e32 v2, 16, v14
	v_and_b32_e32 v20, 3, v20
	v_and_b32_e32 v2, 0x80000000, v2
	v_cndmask_b32_e32 v1, v1, v20, vcc
	v_lshl_add_u32 v0, v0, 23, v2
	v_lshl_or_b32 v0, v1, 21, v0
	v_add_u32_e32 v0, 0x38000000, v0
                                        ; implicit-def: $vgpr1
.LBB2_2336:                             ;   in Loop: Header=BB2_2298 Depth=2
	s_andn2_saveexec_b64 s[88:89], s[88:89]
; %bb.2337:                             ;   in Loop: Header=BB2_2298 Depth=2
	v_cmp_lt_i16_e32 vcc, -1, v14
	v_cndmask_b32_e32 v0, v57, v58, vcc
	v_cmp_eq_u32_e32 vcc, 0, v1
	v_cndmask_b32_e32 v0, v59, v0, vcc
; %bb.2338:                             ;   in Loop: Header=BB2_2298 Depth=2
	s_or_b64 exec, exec, s[88:89]
.LBB2_2339:                             ;   in Loop: Header=BB2_2298 Depth=2
	s_or_b64 exec, exec, s[20:21]
.LBB2_2340:                             ;   in Loop: Header=BB2_2298 Depth=2
	s_or_b64 exec, exec, s[18:19]
	v_lshrrev_b16_e32 v2, 8, v10
	v_cmp_lt_i16_e32 vcc, s52, v2
	s_mov_b64 s[18:19], 0
	s_and_saveexec_b64 s[20:21], vcc
	s_xor_b64 s[20:21], exec, s[20:21]
	s_cbranch_execz .LBB2_2823
; %bb.2341:                             ;   in Loop: Header=BB2_2298 Depth=2
	v_cmp_eq_u16_e32 vcc, s53, v2
	s_mov_b64 s[18:19], -1
	s_and_saveexec_b64 s[88:89], vcc
; %bb.2342:                             ;   in Loop: Header=BB2_2298 Depth=2
	s_xor_b64 s[18:19], exec, -1
; %bb.2343:                             ;   in Loop: Header=BB2_2298 Depth=2
	s_or_b64 exec, exec, s[88:89]
	s_and_b64 s[18:19], s[18:19], exec
	s_or_saveexec_b64 s[20:21], s[20:21]
	v_bfrev_b32_e32 v1, 1
	s_xor_b64 exec, exec, s[20:21]
	s_cbranch_execnz .LBB2_2824
.LBB2_2344:                             ;   in Loop: Header=BB2_2298 Depth=2
	s_or_b64 exec, exec, s[20:21]
	s_and_saveexec_b64 s[88:89], s[18:19]
	s_cbranch_execz .LBB2_2346
.LBB2_2345:                             ;   in Loop: Header=BB2_2298 Depth=2
	v_and_b32_e32 v1, 3, v2
	v_and_b32_e32 v20, 0x7c, v2
	v_cmp_eq_u32_e32 vcc, s50, v20
	v_ffbh_u32_e32 v20, v1
	v_min_u32_e32 v25, 32, v20
	v_subrev_u32_e32 v20, 29, v25
	v_bfe_u32 v24, v2, 2, 5
	v_lshlrev_b64 v[20:21], v20, v[2:3]
	v_cmp_eq_u32_e64 s[18:19], 0, v24
	v_sub_u32_e32 v21, 30, v25
	v_lshlrev_b32_e32 v2, 24, v2
	v_and_b32_e32 v20, 3, v20
	v_cndmask_b32_e64 v21, v24, v21, s[18:19]
	v_and_b32_e32 v2, 0x80000000, v2
	v_cndmask_b32_e64 v20, v1, v20, s[18:19]
	v_lshl_add_u32 v2, v21, 23, v2
	v_cmp_lt_i16_e64 s[20:21], -1, v10
	v_lshl_or_b32 v2, v20, 21, v2
	v_cmp_eq_u32_e64 s[18:19], 0, v1
	v_cndmask_b32_e64 v1, v57, v58, s[20:21]
	v_add_u32_e32 v2, 0x38000000, v2
	v_cndmask_b32_e64 v1, v59, v1, s[18:19]
	v_cndmask_b32_e32 v1, v2, v1, vcc
.LBB2_2346:                             ;   in Loop: Header=BB2_2298 Depth=2
	s_or_b64 exec, exec, s[88:89]
	v_mul_f32_e32 v1, v0, v1
	v_and_b32_e32 v20, 0x7f800000, v1
	v_mov_b32_e32 v21, v3
	v_cmp_ne_u64_e32 vcc, s[58:59], v[20:21]
	v_and_b32_e32 v2, 0x7fffff, v1
                                        ; implicit-def: $vgpr48
	s_and_saveexec_b64 s[18:19], vcc
	s_xor_b64 s[20:21], exec, s[18:19]
	s_cbranch_execz .LBB2_2360
; %bb.2347:                             ;   in Loop: Header=BB2_2298 Depth=2
	v_and_b32_e32 v20, 0x7fffffff, v1
	v_mov_b32_e32 v21, v3
	v_cmp_gt_u64_e32 vcc, s[60:61], v[20:21]
	v_and_b32_sdwa v0, v1, s53 dst_sel:DWORD dst_unused:UNUSED_PAD src0_sel:BYTE_3 src1_sel:DWORD
                                        ; implicit-def: $vgpr48
	s_and_saveexec_b64 s[18:19], vcc
	s_xor_b64 s[88:89], exec, s[18:19]
	s_cbranch_execz .LBB2_2357
; %bb.2348:                             ;   in Loop: Header=BB2_2298 Depth=2
	v_mov_b32_e32 v48, 0
	v_cmp_ne_u32_e32 vcc, 0, v1
	s_and_saveexec_b64 s[90:91], vcc
	s_cbranch_execz .LBB2_2356
; %bb.2349:                             ;   in Loop: Header=BB2_2298 Depth=2
	v_bfe_u32 v1, v1, 23, 8
	v_cmp_gt_u32_e64 s[18:19], s54, v1
	v_sub_u32_e32 v20, 0x71, v1
	v_cmp_eq_u32_e32 vcc, 0, v1
	v_cndmask_b32_e64 v20, 0, v20, s[18:19]
	v_mov_b32_e32 v24, 0x70
	v_or_b32_e32 v21, 0x800000, v2
	v_cndmask_b32_e32 v20, v20, v24, vcc
	v_cndmask_b32_e32 v2, v21, v2, vcc
	v_add_u32_e32 v21, 21, v20
	v_lshlrev_b64 v[24:25], v21, -1
	v_add_u32_e32 v21, 20, v20
	v_lshlrev_b64 v[34:35], v21, 1
	v_lshrrev_b64 v[41:42], v20, v[2:3]
	v_bfi_b32 v25, v25, 0, 0
	v_bfi_b32 v24, v24, 0, v2
	v_cmp_eq_u64_e64 s[18:19], v[24:25], v[34:35]
	v_mov_b32_e32 v43, v42
	v_mov_b32_e32 v42, v41
	s_and_saveexec_b64 s[92:93], s[18:19]
; %bb.2350:                             ;   in Loop: Header=BB2_2298 Depth=2
	v_bfe_u32 v2, v41, 21, 1
	v_add_co_u32_e64 v2, s[18:19], v41, v2
	v_add_co_u32_e64 v42, s[18:19], -1, v2
; %bb.2351:                             ;   in Loop: Header=BB2_2298 Depth=2
	s_or_b64 exec, exec, s[92:93]
	v_add_u32_e32 v1, 0xffffff81, v1
	v_cndmask_b32_e32 v1, v1, v61, vcc
	v_lshrrev_b32_e32 v2, 23, v41
	v_add3_u32 v21, v20, v1, v2
	v_add_u32_e32 v20, 14, v21
	v_and_b32_e32 v1, 0x1fffff, v42
	v_add_u32_e32 v2, v1, v41
	v_cmp_ne_u32_e32 vcc, 0, v20
                                        ; implicit-def: $vgpr41_vgpr42
                                        ; implicit-def: $vgpr1
	s_and_saveexec_b64 s[18:19], vcc
	s_xor_b64 s[18:19], exec, s[18:19]
; %bb.2352:                             ;   in Loop: Header=BB2_2298 Depth=2
	v_cmp_lt_u64_e32 vcc, s[62:63], v[2:3]
	v_add_u32_e32 v1, 15, v21
	v_cndmask_b32_e32 v1, v20, v1, vcc
	v_cndmask_b32_e64 v20, 0, 1, vcc
	v_lshrrev_b64 v[41:42], v20, v[2:3]
; %bb.2353:                             ;   in Loop: Header=BB2_2298 Depth=2
	s_andn2_saveexec_b64 s[18:19], s[18:19]
; %bb.2354:                             ;   in Loop: Header=BB2_2298 Depth=2
	v_mov_b32_e32 v42, v3
	v_bfe_u32 v1, v2, 23, 1
	v_mov_b32_e32 v41, v2
; %bb.2355:                             ;   in Loop: Header=BB2_2298 Depth=2
	s_or_b64 exec, exec, s[18:19]
	v_lshrrev_b64 v[20:21], 21, v[41:42]
	v_cmp_gt_i32_e32 vcc, 32, v1
	v_cndmask_b32_e32 v21, 0, v21, vcc
	v_cndmask_b32_e32 v20, 3, v20, vcc
	v_cmp_eq_u32_e32 vcc, 0, v1
	v_min_i32_e32 v1, 31, v1
	v_cmp_eq_u64_e64 s[18:19], 0, v[20:21]
	v_lshlrev_b32_e32 v1, 2, v1
	v_and_b32_e32 v1, 0xfc, v1
	v_and_or_b32 v1, v20, 3, v1
	s_and_b64 s[18:19], vcc, s[18:19]
	v_cndmask_b32_e64 v1, v1, 0, s[18:19]
	v_or_b32_e32 v48, v1, v0
.LBB2_2356:                             ;   in Loop: Header=BB2_2298 Depth=2
	s_or_b64 exec, exec, s[90:91]
                                        ; implicit-def: $vgpr0
.LBB2_2357:                             ;   in Loop: Header=BB2_2298 Depth=2
	s_andn2_saveexec_b64 s[18:19], s[88:89]
; %bb.2358:                             ;   in Loop: Header=BB2_2298 Depth=2
	v_or_b32_e32 v48, 0x7b, v0
; %bb.2359:                             ;   in Loop: Header=BB2_2298 Depth=2
	s_or_b64 exec, exec, s[18:19]
                                        ; implicit-def: $vgpr1
.LBB2_2360:                             ;   in Loop: Header=BB2_2298 Depth=2
	s_andn2_saveexec_b64 s[18:19], s[20:21]
	s_cbranch_execz .LBB2_2366
; %bb.2361:                             ;   in Loop: Header=BB2_2298 Depth=2
	v_cmp_ne_u64_e32 vcc, 0, v[2:3]
                                        ; implicit-def: $vgpr48
	s_and_saveexec_b64 s[20:21], vcc
	s_xor_b64 s[20:21], exec, s[20:21]
; %bb.2362:                             ;   in Loop: Header=BB2_2298 Depth=2
	v_or_b32_sdwa v48, v1, s52 dst_sel:DWORD dst_unused:UNUSED_PAD src0_sel:BYTE_3 src1_sel:DWORD
                                        ; implicit-def: $vgpr1
; %bb.2363:                             ;   in Loop: Header=BB2_2298 Depth=2
	s_andn2_saveexec_b64 s[20:21], s[20:21]
; %bb.2364:                             ;   in Loop: Header=BB2_2298 Depth=2
	v_cmp_lt_i32_e32 vcc, -1, v1
	v_cndmask_b32_e32 v48, v31, v18, vcc
; %bb.2365:                             ;   in Loop: Header=BB2_2298 Depth=2
	s_or_b64 exec, exec, s[20:21]
.LBB2_2366:                             ;   in Loop: Header=BB2_2298 Depth=2
	s_or_b64 exec, exec, s[18:19]
	v_lshrrev_b32_e32 v30, 16, v14
	v_cmp_ne_u16_sdwa s[20:21], v30, v3 src0_sel:BYTE_0 src1_sel:DWORD
	v_mov_b32_e32 v0, 0
	s_and_saveexec_b64 s[18:19], s[20:21]
	s_cbranch_execz .LBB2_2374
; %bb.2367:                             ;   in Loop: Header=BB2_2298 Depth=2
	v_cmp_ne_u16_sdwa s[88:89], v30, s53 src0_sel:BYTE_0 src1_sel:DWORD
	v_bfrev_b32_e32 v0, 1
	s_and_saveexec_b64 s[20:21], s[88:89]
	s_cbranch_execz .LBB2_2373
; %bb.2368:                             ;   in Loop: Header=BB2_2298 Depth=2
	v_and_b32_e32 v0, 0x7c0000, v14
	v_bfe_u32 v1, v14, 16, 2
	v_cmp_ne_u32_e32 vcc, s55, v0
                                        ; implicit-def: $vgpr0
	s_and_saveexec_b64 s[88:89], vcc
	s_xor_b64 s[88:89], exec, s[88:89]
	s_cbranch_execz .LBB2_2370
; %bb.2369:                             ;   in Loop: Header=BB2_2298 Depth=2
	v_ffbh_u32_e32 v2, v1
	v_min_u32_e32 v2, 32, v2
	v_bfe_u32 v0, v14, 18, 5
	v_subrev_u32_e32 v20, 29, v2
	v_lshlrev_b64 v[20:21], v20, v[30:31]
	v_sub_u32_e32 v2, 30, v2
	v_cmp_eq_u32_e32 vcc, 0, v0
	v_cndmask_b32_e32 v0, v0, v2, vcc
	v_lshlrev_b32_e32 v2, 8, v14
	v_and_b32_e32 v20, 3, v20
	v_and_b32_e32 v2, 0x80000000, v2
	v_cndmask_b32_e32 v1, v1, v20, vcc
	v_lshl_add_u32 v0, v0, 23, v2
	v_lshl_or_b32 v0, v1, 21, v0
	v_add_u32_e32 v0, 0x38000000, v0
                                        ; implicit-def: $vgpr1
                                        ; implicit-def: $vgpr30
.LBB2_2370:                             ;   in Loop: Header=BB2_2298 Depth=2
	s_andn2_saveexec_b64 s[88:89], s[88:89]
; %bb.2371:                             ;   in Loop: Header=BB2_2298 Depth=2
	v_cmp_gt_i16_sdwa vcc, sext(v30), v56 src0_sel:BYTE_0 src1_sel:DWORD
	v_cndmask_b32_e32 v0, v57, v58, vcc
	v_cmp_eq_u32_e32 vcc, 0, v1
	v_cndmask_b32_e32 v0, v59, v0, vcc
; %bb.2372:                             ;   in Loop: Header=BB2_2298 Depth=2
	s_or_b64 exec, exec, s[88:89]
.LBB2_2373:                             ;   in Loop: Header=BB2_2298 Depth=2
	s_or_b64 exec, exec, s[20:21]
.LBB2_2374:                             ;   in Loop: Header=BB2_2298 Depth=2
	s_or_b64 exec, exec, s[18:19]
	v_lshrrev_b32_e32 v30, 16, v10
	v_cmp_gt_i16_sdwa s[20:21], v30, s52 src0_sel:BYTE_0 src1_sel:DWORD
	s_mov_b64 s[18:19], 0
	s_and_saveexec_b64 s[88:89], s[20:21]
	s_xor_b64 s[20:21], exec, s[88:89]
	s_cbranch_execz .LBB2_2825
; %bb.2375:                             ;   in Loop: Header=BB2_2298 Depth=2
	v_cmp_eq_u16_sdwa s[90:91], v30, s53 src0_sel:BYTE_0 src1_sel:DWORD
	s_mov_b64 s[18:19], -1
	s_and_saveexec_b64 s[88:89], s[90:91]
; %bb.2376:                             ;   in Loop: Header=BB2_2298 Depth=2
	s_xor_b64 s[18:19], exec, -1
; %bb.2377:                             ;   in Loop: Header=BB2_2298 Depth=2
	s_or_b64 exec, exec, s[88:89]
	s_and_b64 s[18:19], s[18:19], exec
	s_or_saveexec_b64 s[20:21], s[20:21]
	v_bfrev_b32_e32 v1, 1
	s_xor_b64 exec, exec, s[20:21]
	s_cbranch_execnz .LBB2_2826
.LBB2_2378:                             ;   in Loop: Header=BB2_2298 Depth=2
	s_or_b64 exec, exec, s[20:21]
	s_and_saveexec_b64 s[88:89], s[18:19]
	s_cbranch_execz .LBB2_2380
.LBB2_2379:                             ;   in Loop: Header=BB2_2298 Depth=2
	v_and_b32_e32 v20, 3, v30
	v_and_b32_e32 v1, 0x7c0000, v10
	v_cmp_eq_u32_e32 vcc, s55, v1
	v_ffbh_u32_e32 v1, v20
	v_min_u32_e32 v24, 32, v1
	v_subrev_u32_e32 v1, 29, v24
	v_bfe_u32 v21, v10, 18, 5
	v_lshlrev_b64 v[1:2], v1, v[30:31]
	v_cmp_eq_u32_e64 s[18:19], 0, v21
	v_sub_u32_e32 v2, 30, v24
	v_cndmask_b32_e64 v2, v21, v2, s[18:19]
	v_lshlrev_b32_e32 v21, 24, v30
	v_and_b32_e32 v1, 3, v1
	v_and_b32_e32 v21, 0x80000000, v21
	v_cndmask_b32_e64 v1, v20, v1, s[18:19]
	v_lshl_add_u32 v2, v2, 23, v21
	v_cmp_gt_i16_sdwa s[20:21], sext(v30), v56 src0_sel:BYTE_0 src1_sel:DWORD
	v_lshl_or_b32 v1, v1, 21, v2
	v_cmp_eq_u32_e64 s[18:19], 0, v20
	v_cndmask_b32_e64 v2, v57, v58, s[20:21]
	v_add_u32_e32 v1, 0x38000000, v1
	v_cndmask_b32_e64 v2, v59, v2, s[18:19]
	v_cndmask_b32_e32 v1, v1, v2, vcc
.LBB2_2380:                             ;   in Loop: Header=BB2_2298 Depth=2
	s_or_b64 exec, exec, s[88:89]
	v_mul_f32_e32 v1, v0, v1
	v_and_b32_e32 v20, 0x7f800000, v1
	v_mov_b32_e32 v21, v3
	v_cmp_ne_u64_e32 vcc, s[58:59], v[20:21]
	v_and_b32_e32 v2, 0x7fffff, v1
                                        ; implicit-def: $vgpr49
	s_and_saveexec_b64 s[18:19], vcc
	s_xor_b64 s[20:21], exec, s[18:19]
	s_cbranch_execz .LBB2_2394
; %bb.2381:                             ;   in Loop: Header=BB2_2298 Depth=2
	v_and_b32_e32 v20, 0x7fffffff, v1
	v_mov_b32_e32 v21, v3
	v_cmp_gt_u64_e32 vcc, s[60:61], v[20:21]
	v_and_b32_sdwa v0, v1, s53 dst_sel:DWORD dst_unused:UNUSED_PAD src0_sel:BYTE_3 src1_sel:DWORD
                                        ; implicit-def: $vgpr49
	s_and_saveexec_b64 s[18:19], vcc
	s_xor_b64 s[88:89], exec, s[18:19]
	s_cbranch_execz .LBB2_2391
; %bb.2382:                             ;   in Loop: Header=BB2_2298 Depth=2
	v_mov_b32_e32 v49, 0
	v_cmp_ne_u32_e32 vcc, 0, v1
	s_and_saveexec_b64 s[90:91], vcc
	s_cbranch_execz .LBB2_2390
; %bb.2383:                             ;   in Loop: Header=BB2_2298 Depth=2
	v_bfe_u32 v1, v1, 23, 8
	v_cmp_gt_u32_e64 s[18:19], s54, v1
	v_sub_u32_e32 v20, 0x71, v1
	v_cmp_eq_u32_e32 vcc, 0, v1
	v_cndmask_b32_e64 v20, 0, v20, s[18:19]
	v_mov_b32_e32 v24, 0x70
	v_or_b32_e32 v21, 0x800000, v2
	v_cndmask_b32_e32 v20, v20, v24, vcc
	v_cndmask_b32_e32 v2, v21, v2, vcc
	v_add_u32_e32 v21, 21, v20
	v_lshlrev_b64 v[24:25], v21, -1
	v_add_u32_e32 v21, 20, v20
	v_lshlrev_b64 v[34:35], v21, 1
	v_lshrrev_b64 v[41:42], v20, v[2:3]
	v_bfi_b32 v25, v25, 0, 0
	v_bfi_b32 v24, v24, 0, v2
	v_cmp_eq_u64_e64 s[18:19], v[24:25], v[34:35]
	v_mov_b32_e32 v43, v42
	v_mov_b32_e32 v42, v41
	s_and_saveexec_b64 s[92:93], s[18:19]
; %bb.2384:                             ;   in Loop: Header=BB2_2298 Depth=2
	v_bfe_u32 v2, v41, 21, 1
	v_add_co_u32_e64 v2, s[18:19], v41, v2
	v_add_co_u32_e64 v42, s[18:19], -1, v2
; %bb.2385:                             ;   in Loop: Header=BB2_2298 Depth=2
	s_or_b64 exec, exec, s[92:93]
	v_add_u32_e32 v1, 0xffffff81, v1
	v_cndmask_b32_e32 v1, v1, v61, vcc
	v_lshrrev_b32_e32 v2, 23, v41
	v_add3_u32 v21, v20, v1, v2
	v_add_u32_e32 v20, 14, v21
	v_and_b32_e32 v1, 0x1fffff, v42
	v_add_u32_e32 v2, v1, v41
	v_cmp_ne_u32_e32 vcc, 0, v20
                                        ; implicit-def: $vgpr41_vgpr42
                                        ; implicit-def: $vgpr1
	s_and_saveexec_b64 s[18:19], vcc
	s_xor_b64 s[18:19], exec, s[18:19]
; %bb.2386:                             ;   in Loop: Header=BB2_2298 Depth=2
	v_cmp_lt_u64_e32 vcc, s[62:63], v[2:3]
	v_add_u32_e32 v1, 15, v21
	v_cndmask_b32_e32 v1, v20, v1, vcc
	v_cndmask_b32_e64 v20, 0, 1, vcc
	v_lshrrev_b64 v[41:42], v20, v[2:3]
; %bb.2387:                             ;   in Loop: Header=BB2_2298 Depth=2
	s_andn2_saveexec_b64 s[18:19], s[18:19]
; %bb.2388:                             ;   in Loop: Header=BB2_2298 Depth=2
	v_mov_b32_e32 v42, v3
	v_bfe_u32 v1, v2, 23, 1
	v_mov_b32_e32 v41, v2
; %bb.2389:                             ;   in Loop: Header=BB2_2298 Depth=2
	s_or_b64 exec, exec, s[18:19]
	v_lshrrev_b64 v[20:21], 21, v[41:42]
	v_cmp_gt_i32_e32 vcc, 32, v1
	v_cndmask_b32_e32 v21, 0, v21, vcc
	v_cndmask_b32_e32 v20, 3, v20, vcc
	v_cmp_eq_u32_e32 vcc, 0, v1
	v_min_i32_e32 v1, 31, v1
	v_cmp_eq_u64_e64 s[18:19], 0, v[20:21]
	v_lshlrev_b32_e32 v1, 2, v1
	v_and_b32_e32 v1, 0xfc, v1
	v_and_or_b32 v1, v20, 3, v1
	s_and_b64 s[18:19], vcc, s[18:19]
	v_cndmask_b32_e64 v1, v1, 0, s[18:19]
	v_or_b32_e32 v49, v1, v0
.LBB2_2390:                             ;   in Loop: Header=BB2_2298 Depth=2
	s_or_b64 exec, exec, s[90:91]
                                        ; implicit-def: $vgpr0
.LBB2_2391:                             ;   in Loop: Header=BB2_2298 Depth=2
	s_andn2_saveexec_b64 s[18:19], s[88:89]
; %bb.2392:                             ;   in Loop: Header=BB2_2298 Depth=2
	v_or_b32_e32 v49, 0x7b, v0
; %bb.2393:                             ;   in Loop: Header=BB2_2298 Depth=2
	s_or_b64 exec, exec, s[18:19]
                                        ; implicit-def: $vgpr1
.LBB2_2394:                             ;   in Loop: Header=BB2_2298 Depth=2
	s_andn2_saveexec_b64 s[18:19], s[20:21]
	s_cbranch_execz .LBB2_2400
; %bb.2395:                             ;   in Loop: Header=BB2_2298 Depth=2
	v_cmp_ne_u64_e32 vcc, 0, v[2:3]
                                        ; implicit-def: $vgpr49
	s_and_saveexec_b64 s[20:21], vcc
	s_xor_b64 s[20:21], exec, s[20:21]
; %bb.2396:                             ;   in Loop: Header=BB2_2298 Depth=2
	v_or_b32_sdwa v49, v1, s52 dst_sel:DWORD dst_unused:UNUSED_PAD src0_sel:BYTE_3 src1_sel:DWORD
                                        ; implicit-def: $vgpr1
; %bb.2397:                             ;   in Loop: Header=BB2_2298 Depth=2
	s_andn2_saveexec_b64 s[20:21], s[20:21]
; %bb.2398:                             ;   in Loop: Header=BB2_2298 Depth=2
	v_cmp_lt_i32_e32 vcc, -1, v1
	v_cndmask_b32_e32 v49, v31, v18, vcc
; %bb.2399:                             ;   in Loop: Header=BB2_2298 Depth=2
	s_or_b64 exec, exec, s[20:21]
.LBB2_2400:                             ;   in Loop: Header=BB2_2298 Depth=2
	s_or_b64 exec, exec, s[18:19]
	v_cmp_lt_u32_e32 vcc, s57, v14
	v_mov_b32_e32 v0, 0
	s_and_saveexec_b64 s[18:19], vcc
	s_cbranch_execz .LBB2_2408
; %bb.2401:                             ;   in Loop: Header=BB2_2298 Depth=2
	v_lshrrev_b32_e32 v30, 24, v14
	v_cmp_ne_u32_e32 vcc, s53, v30
	v_bfrev_b32_e32 v0, 1
	s_and_saveexec_b64 s[20:21], vcc
	s_cbranch_execz .LBB2_2407
; %bb.2402:                             ;   in Loop: Header=BB2_2298 Depth=2
	v_and_b32_e32 v0, 0x7c000000, v14
	v_bfe_u32 v1, v14, 24, 2
	v_cmp_ne_u32_e32 vcc, s64, v0
                                        ; implicit-def: $vgpr0
	s_and_saveexec_b64 s[88:89], vcc
	s_xor_b64 s[88:89], exec, s[88:89]
	s_cbranch_execz .LBB2_2404
; %bb.2403:                             ;   in Loop: Header=BB2_2298 Depth=2
	v_ffbh_u32_e32 v2, v1
	v_min_u32_e32 v2, 32, v2
	v_subrev_u32_e32 v20, 29, v2
	v_bfe_u32 v0, v14, 26, 5
	v_lshlrev_b64 v[20:21], v20, v[30:31]
	v_sub_u32_e32 v2, 30, v2
	v_cmp_eq_u32_e32 vcc, 0, v0
	v_and_b32_e32 v20, 3, v20
	v_cndmask_b32_e32 v0, v0, v2, vcc
	v_and_b32_e32 v2, 0x80000000, v14
	v_cndmask_b32_e32 v1, v1, v20, vcc
	v_lshl_add_u32 v0, v0, 23, v2
	v_lshl_or_b32 v0, v1, 21, v0
	v_add_u32_e32 v0, 0x38000000, v0
                                        ; implicit-def: $vgpr1
.LBB2_2404:                             ;   in Loop: Header=BB2_2298 Depth=2
	s_andn2_saveexec_b64 s[88:89], s[88:89]
; %bb.2405:                             ;   in Loop: Header=BB2_2298 Depth=2
	v_cmp_lt_i32_e32 vcc, -1, v14
	v_cndmask_b32_e32 v0, v57, v58, vcc
	v_cmp_eq_u32_e32 vcc, 0, v1
	v_cndmask_b32_e32 v0, v59, v0, vcc
; %bb.2406:                             ;   in Loop: Header=BB2_2298 Depth=2
	s_or_b64 exec, exec, s[88:89]
.LBB2_2407:                             ;   in Loop: Header=BB2_2298 Depth=2
	s_or_b64 exec, exec, s[20:21]
.LBB2_2408:                             ;   in Loop: Header=BB2_2298 Depth=2
	s_or_b64 exec, exec, s[18:19]
	v_bfe_u32 v2, v10, 24, 2
	v_and_b32_e32 v20, 0x7c000000, v10
	v_cmp_eq_u32_e32 vcc, s64, v20
	v_ffbh_u32_e32 v20, v2
	v_min_u32_e32 v25, 32, v20
	v_lshrrev_b32_e32 v1, 24, v10
	v_subrev_u32_e32 v20, 29, v25
	v_bfe_u32 v24, v10, 26, 5
	v_lshlrev_b64 v[20:21], v20, v[1:2]
	v_cmp_eq_u32_e64 s[18:19], 0, v24
	v_sub_u32_e32 v21, 30, v25
	v_and_b32_e32 v20, 3, v20
	v_cndmask_b32_e64 v21, v24, v21, s[18:19]
	v_and_b32_e32 v24, 0x80000000, v10
	v_cndmask_b32_e64 v20, v2, v20, s[18:19]
	v_lshl_add_u32 v21, v21, 23, v24
	v_cmp_lt_i32_e64 s[20:21], -1, v10
	v_lshl_or_b32 v20, v20, 21, v21
	v_cmp_eq_u32_e64 s[18:19], 0, v2
	v_cndmask_b32_e64 v2, v57, v58, s[20:21]
	v_add_u32_e32 v20, 0x38000000, v20
	v_cndmask_b32_e64 v2, v59, v2, s[18:19]
	v_cndmask_b32_e32 v2, v20, v2, vcc
	v_cmp_ne_u32_e32 vcc, s53, v1
	v_cndmask_b32_e32 v1, v19, v2, vcc
	v_cmp_lt_u32_e32 vcc, s57, v10
	v_cndmask_b32_e32 v1, 0, v1, vcc
	v_mul_f32_e32 v21, v1, v0
	v_and_b32_e32 v0, 0x7f800000, v21
	v_mov_b32_e32 v1, v3
	v_cmp_ne_u64_e32 vcc, s[58:59], v[0:1]
	v_and_b32_e32 v2, 0x7fffff, v21
                                        ; implicit-def: $vgpr1
	s_and_saveexec_b64 s[18:19], vcc
	s_xor_b64 s[20:21], exec, s[18:19]
	s_cbranch_execz .LBB2_2422
; %bb.2409:                             ;   in Loop: Header=BB2_2298 Depth=2
	v_and_b32_e32 v0, 0x7fffffff, v21
	v_mov_b32_e32 v1, v3
	v_cmp_gt_u64_e32 vcc, s[60:61], v[0:1]
	v_and_b32_sdwa v0, v21, s53 dst_sel:DWORD dst_unused:UNUSED_PAD src0_sel:BYTE_3 src1_sel:DWORD
                                        ; implicit-def: $vgpr1
	s_and_saveexec_b64 s[18:19], vcc
	s_xor_b64 s[88:89], exec, s[18:19]
	s_cbranch_execz .LBB2_2419
; %bb.2410:                             ;   in Loop: Header=BB2_2298 Depth=2
	v_mov_b32_e32 v1, 0
	v_cmp_ne_u32_e32 vcc, 0, v21
	s_and_saveexec_b64 s[90:91], vcc
	s_cbranch_execz .LBB2_2418
; %bb.2411:                             ;   in Loop: Header=BB2_2298 Depth=2
	v_bfe_u32 v1, v21, 23, 8
	v_cmp_gt_u32_e64 s[18:19], s54, v1
	v_sub_u32_e32 v20, 0x71, v1
	v_cmp_eq_u32_e32 vcc, 0, v1
	v_cndmask_b32_e64 v20, 0, v20, s[18:19]
	v_mov_b32_e32 v24, 0x70
	v_or_b32_e32 v21, 0x800000, v2
	v_cndmask_b32_e32 v20, v20, v24, vcc
	v_cndmask_b32_e32 v2, v21, v2, vcc
	v_add_u32_e32 v21, 21, v20
	v_lshlrev_b64 v[24:25], v21, -1
	v_add_u32_e32 v21, 20, v20
	v_lshlrev_b64 v[34:35], v21, 1
	v_lshrrev_b64 v[41:42], v20, v[2:3]
	v_bfi_b32 v25, v25, 0, 0
	v_bfi_b32 v24, v24, 0, v2
	v_cmp_eq_u64_e64 s[18:19], v[24:25], v[34:35]
	v_mov_b32_e32 v43, v42
	v_mov_b32_e32 v42, v41
	s_and_saveexec_b64 s[92:93], s[18:19]
; %bb.2412:                             ;   in Loop: Header=BB2_2298 Depth=2
	v_bfe_u32 v2, v41, 21, 1
	v_add_co_u32_e64 v2, s[18:19], v41, v2
	v_add_co_u32_e64 v42, s[18:19], -1, v2
; %bb.2413:                             ;   in Loop: Header=BB2_2298 Depth=2
	s_or_b64 exec, exec, s[92:93]
	v_add_u32_e32 v1, 0xffffff81, v1
	v_cndmask_b32_e32 v1, v1, v61, vcc
	v_lshrrev_b32_e32 v2, 23, v41
	v_add3_u32 v21, v20, v1, v2
	v_add_u32_e32 v20, 14, v21
	v_and_b32_e32 v1, 0x1fffff, v42
	v_add_u32_e32 v2, v1, v41
	v_cmp_ne_u32_e32 vcc, 0, v20
                                        ; implicit-def: $vgpr41_vgpr42
                                        ; implicit-def: $vgpr1
	s_and_saveexec_b64 s[18:19], vcc
	s_xor_b64 s[18:19], exec, s[18:19]
; %bb.2414:                             ;   in Loop: Header=BB2_2298 Depth=2
	v_cmp_lt_u64_e32 vcc, s[62:63], v[2:3]
	v_add_u32_e32 v1, 15, v21
	v_cndmask_b32_e32 v1, v20, v1, vcc
	v_cndmask_b32_e64 v20, 0, 1, vcc
	v_lshrrev_b64 v[41:42], v20, v[2:3]
; %bb.2415:                             ;   in Loop: Header=BB2_2298 Depth=2
	s_andn2_saveexec_b64 s[18:19], s[18:19]
; %bb.2416:                             ;   in Loop: Header=BB2_2298 Depth=2
	v_mov_b32_e32 v42, v3
	v_bfe_u32 v1, v2, 23, 1
	v_mov_b32_e32 v41, v2
; %bb.2417:                             ;   in Loop: Header=BB2_2298 Depth=2
	s_or_b64 exec, exec, s[18:19]
	v_lshrrev_b64 v[20:21], 21, v[41:42]
	v_cmp_gt_i32_e32 vcc, 32, v1
	v_cndmask_b32_e32 v21, 0, v21, vcc
	v_cndmask_b32_e32 v20, 3, v20, vcc
	v_cmp_eq_u32_e32 vcc, 0, v1
	v_min_i32_e32 v1, 31, v1
	v_cmp_eq_u64_e64 s[18:19], 0, v[20:21]
	v_lshlrev_b32_e32 v1, 2, v1
	v_and_b32_e32 v1, 0xfc, v1
	v_and_or_b32 v1, v20, 3, v1
	s_and_b64 s[18:19], vcc, s[18:19]
	v_cndmask_b32_e64 v1, v1, 0, s[18:19]
	v_or_b32_e32 v1, v1, v0
.LBB2_2418:                             ;   in Loop: Header=BB2_2298 Depth=2
	s_or_b64 exec, exec, s[90:91]
                                        ; implicit-def: $vgpr0
.LBB2_2419:                             ;   in Loop: Header=BB2_2298 Depth=2
	s_andn2_saveexec_b64 s[18:19], s[88:89]
; %bb.2420:                             ;   in Loop: Header=BB2_2298 Depth=2
	v_or_b32_e32 v1, 0x7b, v0
; %bb.2421:                             ;   in Loop: Header=BB2_2298 Depth=2
	s_or_b64 exec, exec, s[18:19]
                                        ; implicit-def: $vgpr21
.LBB2_2422:                             ;   in Loop: Header=BB2_2298 Depth=2
	s_andn2_saveexec_b64 s[18:19], s[20:21]
	s_cbranch_execz .LBB2_2428
; %bb.2423:                             ;   in Loop: Header=BB2_2298 Depth=2
	v_cmp_ne_u64_e32 vcc, 0, v[2:3]
                                        ; implicit-def: $vgpr1
	s_and_saveexec_b64 s[20:21], vcc
	s_xor_b64 s[20:21], exec, s[20:21]
; %bb.2424:                             ;   in Loop: Header=BB2_2298 Depth=2
	v_or_b32_sdwa v1, v21, s52 dst_sel:DWORD dst_unused:UNUSED_PAD src0_sel:BYTE_3 src1_sel:DWORD
                                        ; implicit-def: $vgpr21
; %bb.2425:                             ;   in Loop: Header=BB2_2298 Depth=2
	s_andn2_saveexec_b64 s[20:21], s[20:21]
; %bb.2426:                             ;   in Loop: Header=BB2_2298 Depth=2
	v_cmp_lt_i32_e32 vcc, -1, v21
	v_cndmask_b32_e32 v1, v31, v18, vcc
; %bb.2427:                             ;   in Loop: Header=BB2_2298 Depth=2
	s_or_b64 exec, exec, s[20:21]
.LBB2_2428:                             ;   in Loop: Header=BB2_2298 Depth=2
	s_or_b64 exec, exec, s[18:19]
	v_mov_b32_e32 v2, v15
	v_cmp_ne_u16_sdwa s[20:21], v15, v3 src0_sel:BYTE_0 src1_sel:DWORD
	v_mov_b32_e32 v0, 0
	s_and_saveexec_b64 s[18:19], s[20:21]
	s_cbranch_execz .LBB2_2436
; %bb.2429:                             ;   in Loop: Header=BB2_2298 Depth=2
	v_cmp_ne_u16_sdwa s[88:89], v15, s53 src0_sel:BYTE_0 src1_sel:DWORD
	v_bfrev_b32_e32 v0, 1
	s_and_saveexec_b64 s[20:21], s[88:89]
	s_cbranch_execz .LBB2_2435
; %bb.2430:                             ;   in Loop: Header=BB2_2298 Depth=2
	v_and_b32_e32 v0, 0x7c, v15
	v_and_b32_e32 v20, 3, v15
	v_cmp_ne_u32_e32 vcc, s50, v0
                                        ; implicit-def: $vgpr0
	s_and_saveexec_b64 s[88:89], vcc
	s_xor_b64 s[88:89], exec, s[88:89]
	s_cbranch_execz .LBB2_2432
; %bb.2431:                             ;   in Loop: Header=BB2_2298 Depth=2
	v_ffbh_u32_e32 v21, v20
	v_min_u32_e32 v21, 32, v21
	v_bfe_u32 v0, v15, 2, 5
	v_subrev_u32_e32 v24, 29, v21
	v_lshlrev_b64 v[24:25], v24, v[2:3]
	v_sub_u32_e32 v21, 30, v21
	v_cmp_eq_u32_e32 vcc, 0, v0
	v_cndmask_b32_e32 v0, v0, v21, vcc
	v_lshlrev_b32_e32 v21, 24, v15
	v_and_b32_e32 v24, 3, v24
	v_and_b32_e32 v21, 0x80000000, v21
	v_cndmask_b32_e32 v20, v20, v24, vcc
	v_lshl_add_u32 v0, v0, 23, v21
	v_lshl_or_b32 v0, v20, 21, v0
	v_add_u32_e32 v0, 0x38000000, v0
                                        ; implicit-def: $vgpr20
.LBB2_2432:                             ;   in Loop: Header=BB2_2298 Depth=2
	s_andn2_saveexec_b64 s[88:89], s[88:89]
; %bb.2433:                             ;   in Loop: Header=BB2_2298 Depth=2
	v_cmp_gt_i16_sdwa vcc, sext(v15), v56 src0_sel:BYTE_0 src1_sel:DWORD
	v_cndmask_b32_e32 v0, v57, v58, vcc
	v_cmp_eq_u32_e32 vcc, 0, v20
	v_cndmask_b32_e32 v0, v59, v0, vcc
; %bb.2434:                             ;   in Loop: Header=BB2_2298 Depth=2
	s_or_b64 exec, exec, s[88:89]
.LBB2_2435:                             ;   in Loop: Header=BB2_2298 Depth=2
	s_or_b64 exec, exec, s[20:21]
.LBB2_2436:                             ;   in Loop: Header=BB2_2298 Depth=2
	s_or_b64 exec, exec, s[18:19]
	v_cmp_gt_i16_sdwa s[20:21], v11, s52 src0_sel:BYTE_0 src1_sel:DWORD
	s_mov_b64 s[18:19], 0
	s_and_saveexec_b64 s[88:89], s[20:21]
	s_xor_b64 s[20:21], exec, s[88:89]
	s_cbranch_execz .LBB2_2440
; %bb.2437:                             ;   in Loop: Header=BB2_2298 Depth=2
	v_cmp_eq_u16_sdwa s[90:91], v11, s53 src0_sel:BYTE_0 src1_sel:DWORD
	s_mov_b64 s[18:19], -1
	s_and_saveexec_b64 s[88:89], s[90:91]
; %bb.2438:                             ;   in Loop: Header=BB2_2298 Depth=2
	s_xor_b64 s[18:19], exec, -1
; %bb.2439:                             ;   in Loop: Header=BB2_2298 Depth=2
	s_or_b64 exec, exec, s[88:89]
	s_and_b64 s[18:19], s[18:19], exec
.LBB2_2440:                             ;   in Loop: Header=BB2_2298 Depth=2
	s_or_saveexec_b64 s[20:21], s[20:21]
	v_bfrev_b32_e32 v20, 1
	s_xor_b64 exec, exec, s[20:21]
; %bb.2441:                             ;   in Loop: Header=BB2_2298 Depth=2
	v_cmp_ne_u16_sdwa s[88:89], v11, v3 src0_sel:BYTE_0 src1_sel:DWORD
	s_andn2_b64 s[18:19], s[18:19], exec
	s_and_b64 s[88:89], s[88:89], exec
	v_mov_b32_e32 v20, 0
	s_or_b64 s[18:19], s[18:19], s[88:89]
; %bb.2442:                             ;   in Loop: Header=BB2_2298 Depth=2
	s_or_b64 exec, exec, s[20:21]
	v_mov_b32_e32 v41, v11
	v_mov_b32_e32 v42, v3
	s_and_saveexec_b64 s[88:89], s[18:19]
	s_cbranch_execz .LBB2_2444
; %bb.2443:                             ;   in Loop: Header=BB2_2298 Depth=2
	v_and_b32_e32 v24, 3, v11
	v_and_b32_e32 v20, 0x7c, v11
	v_cmp_eq_u32_e32 vcc, s50, v20
	v_ffbh_u32_e32 v20, v24
	v_min_u32_e32 v30, 32, v20
	v_subrev_u32_e32 v20, 29, v30
	v_bfe_u32 v25, v11, 2, 5
	v_lshlrev_b64 v[20:21], v20, v[41:42]
	v_cmp_eq_u32_e64 s[18:19], 0, v25
	v_sub_u32_e32 v21, 30, v30
	v_cndmask_b32_e64 v21, v25, v21, s[18:19]
	v_lshlrev_b32_e32 v25, 24, v11
	v_and_b32_e32 v20, 3, v20
	v_and_b32_e32 v25, 0x80000000, v25
	v_cndmask_b32_e64 v20, v24, v20, s[18:19]
	v_lshl_add_u32 v21, v21, 23, v25
	v_cmp_gt_i16_sdwa s[20:21], sext(v11), v56 src0_sel:BYTE_0 src1_sel:DWORD
	v_lshl_or_b32 v20, v20, 21, v21
	v_cmp_eq_u32_e64 s[18:19], 0, v24
	v_cndmask_b32_e64 v21, v57, v58, s[20:21]
	v_add_u32_e32 v20, 0x38000000, v20
	v_cndmask_b32_e64 v21, v59, v21, s[18:19]
	v_cndmask_b32_e32 v20, v20, v21, vcc
.LBB2_2444:                             ;   in Loop: Header=BB2_2298 Depth=2
	s_or_b64 exec, exec, s[88:89]
	v_mul_f32_e32 v21, v0, v20
	v_and_b32_e32 v24, 0x7f800000, v21
	v_mov_b32_e32 v25, v3
	v_cmp_ne_u64_e32 vcc, s[58:59], v[24:25]
	v_and_b32_e32 v42, 0x7fffff, v21
	v_mov_b32_e32 v43, v3
                                        ; implicit-def: $vgpr44
	s_and_saveexec_b64 s[18:19], vcc
	s_xor_b64 s[20:21], exec, s[18:19]
	s_cbranch_execz .LBB2_2458
; %bb.2445:                             ;   in Loop: Header=BB2_2298 Depth=2
	v_and_b32_e32 v24, 0x7fffffff, v21
	v_mov_b32_e32 v25, v3
	v_cmp_gt_u64_e32 vcc, s[60:61], v[24:25]
	v_and_b32_sdwa v0, v21, s53 dst_sel:DWORD dst_unused:UNUSED_PAD src0_sel:BYTE_3 src1_sel:DWORD
                                        ; implicit-def: $vgpr44
	s_and_saveexec_b64 s[18:19], vcc
	s_xor_b64 s[88:89], exec, s[18:19]
	s_cbranch_execz .LBB2_2455
; %bb.2446:                             ;   in Loop: Header=BB2_2298 Depth=2
	v_mov_b32_e32 v44, 0
	v_cmp_ne_u32_e32 vcc, 0, v21
	s_and_saveexec_b64 s[90:91], vcc
	s_cbranch_execz .LBB2_2454
; %bb.2447:                             ;   in Loop: Header=BB2_2298 Depth=2
	v_bfe_u32 v20, v21, 23, 8
	v_cmp_gt_u32_e64 s[18:19], s54, v20
	v_sub_u32_e32 v21, 0x71, v20
	v_cmp_eq_u32_e32 vcc, 0, v20
	v_cndmask_b32_e64 v21, 0, v21, s[18:19]
	v_mov_b32_e32 v25, 0x70
	v_or_b32_e32 v24, 0x800000, v42
	v_cndmask_b32_e32 v21, v21, v25, vcc
	v_cndmask_b32_e32 v42, v24, v42, vcc
	v_add_u32_e32 v24, 21, v21
	v_lshlrev_b64 v[24:25], v24, -1
	v_add_u32_e32 v30, 20, v21
	v_bfi_b32 v24, v24, 0, v42
	v_lshlrev_b64 v[34:35], v30, 1
	v_lshrrev_b64 v[42:43], v21, v[42:43]
	v_bfi_b32 v25, v25, 0, 0
	v_cmp_eq_u64_e64 s[18:19], v[24:25], v[34:35]
	v_mov_b32_e32 v44, v43
	v_mov_b32_e32 v43, v42
	s_and_saveexec_b64 s[92:93], s[18:19]
; %bb.2448:                             ;   in Loop: Header=BB2_2298 Depth=2
	v_bfe_u32 v24, v42, 21, 1
	v_add_co_u32_e64 v24, s[18:19], v42, v24
	v_add_co_u32_e64 v43, s[18:19], -1, v24
; %bb.2449:                             ;   in Loop: Header=BB2_2298 Depth=2
	s_or_b64 exec, exec, s[92:93]
	v_add_u32_e32 v20, 0xffffff81, v20
	v_cndmask_b32_e32 v20, v20, v61, vcc
	v_lshrrev_b32_e32 v24, 23, v42
	v_add3_u32 v24, v21, v20, v24
	v_add_u32_e32 v21, 14, v24
	v_and_b32_e32 v20, 0x1fffff, v43
	v_add_u32_e32 v42, v20, v42
	v_mov_b32_e32 v43, v3
	v_cmp_ne_u32_e32 vcc, 0, v21
                                        ; implicit-def: $vgpr20
	s_and_saveexec_b64 s[18:19], vcc
	s_xor_b64 s[18:19], exec, s[18:19]
; %bb.2450:                             ;   in Loop: Header=BB2_2298 Depth=2
	v_cmp_lt_u64_e32 vcc, s[62:63], v[42:43]
	v_add_u32_e32 v20, 15, v24
	v_cndmask_b32_e32 v20, v21, v20, vcc
	v_cndmask_b32_e64 v21, 0, 1, vcc
	v_lshrrev_b64 v[42:43], v21, v[42:43]
; %bb.2451:                             ;   in Loop: Header=BB2_2298 Depth=2
	s_andn2_saveexec_b64 s[18:19], s[18:19]
; %bb.2452:                             ;   in Loop: Header=BB2_2298 Depth=2
	v_bfe_u32 v20, v42, 23, 1
; %bb.2453:                             ;   in Loop: Header=BB2_2298 Depth=2
	s_or_b64 exec, exec, s[18:19]
	v_lshrrev_b64 v[24:25], 21, v[42:43]
	v_cmp_gt_i32_e32 vcc, 32, v20
	v_cndmask_b32_e32 v25, 0, v25, vcc
	v_cndmask_b32_e32 v24, 3, v24, vcc
	v_cmp_eq_u32_e32 vcc, 0, v20
	v_min_i32_e32 v20, 31, v20
	v_cmp_eq_u64_e64 s[18:19], 0, v[24:25]
	v_lshlrev_b32_e32 v20, 2, v20
	v_and_b32_e32 v20, 0xfc, v20
	v_and_or_b32 v20, v24, 3, v20
	s_and_b64 s[18:19], vcc, s[18:19]
	v_cndmask_b32_e64 v20, v20, 0, s[18:19]
	v_or_b32_e32 v44, v20, v0
.LBB2_2454:                             ;   in Loop: Header=BB2_2298 Depth=2
	s_or_b64 exec, exec, s[90:91]
                                        ; implicit-def: $vgpr0
.LBB2_2455:                             ;   in Loop: Header=BB2_2298 Depth=2
	s_andn2_saveexec_b64 s[18:19], s[88:89]
; %bb.2456:                             ;   in Loop: Header=BB2_2298 Depth=2
	v_or_b32_e32 v44, 0x7b, v0
; %bb.2457:                             ;   in Loop: Header=BB2_2298 Depth=2
	s_or_b64 exec, exec, s[18:19]
                                        ; implicit-def: $vgpr21
                                        ; implicit-def: $vgpr42_vgpr43
.LBB2_2458:                             ;   in Loop: Header=BB2_2298 Depth=2
	s_andn2_saveexec_b64 s[18:19], s[20:21]
	s_cbranch_execz .LBB2_2464
; %bb.2459:                             ;   in Loop: Header=BB2_2298 Depth=2
	v_cmp_ne_u64_e32 vcc, 0, v[42:43]
                                        ; implicit-def: $vgpr44
	s_and_saveexec_b64 s[20:21], vcc
	s_xor_b64 s[20:21], exec, s[20:21]
; %bb.2460:                             ;   in Loop: Header=BB2_2298 Depth=2
	v_or_b32_sdwa v44, v21, s52 dst_sel:DWORD dst_unused:UNUSED_PAD src0_sel:BYTE_3 src1_sel:DWORD
                                        ; implicit-def: $vgpr21
; %bb.2461:                             ;   in Loop: Header=BB2_2298 Depth=2
	s_andn2_saveexec_b64 s[20:21], s[20:21]
; %bb.2462:                             ;   in Loop: Header=BB2_2298 Depth=2
	v_cmp_lt_i32_e32 vcc, -1, v21
	v_cndmask_b32_e32 v44, v31, v18, vcc
; %bb.2463:                             ;   in Loop: Header=BB2_2298 Depth=2
	s_or_b64 exec, exec, s[20:21]
.LBB2_2464:                             ;   in Loop: Header=BB2_2298 Depth=2
	s_or_b64 exec, exec, s[18:19]
	v_lshrrev_b16_e32 v42, 8, v2
	v_cmp_ne_u16_e32 vcc, 0, v42
	v_mov_b32_e32 v0, 0
	s_and_saveexec_b64 s[18:19], vcc
	s_cbranch_execz .LBB2_2472
; %bb.2465:                             ;   in Loop: Header=BB2_2298 Depth=2
	v_cmp_ne_u16_e32 vcc, s53, v42
	v_bfrev_b32_e32 v0, 1
	s_and_saveexec_b64 s[20:21], vcc
	s_cbranch_execz .LBB2_2471
; %bb.2466:                             ;   in Loop: Header=BB2_2298 Depth=2
	v_and_b32_e32 v0, 0x7c, v42
	v_and_b32_e32 v20, 3, v42
	v_cmp_ne_u32_e32 vcc, s50, v0
                                        ; implicit-def: $vgpr0
	s_and_saveexec_b64 s[88:89], vcc
	s_xor_b64 s[88:89], exec, s[88:89]
	s_cbranch_execz .LBB2_2468
; %bb.2467:                             ;   in Loop: Header=BB2_2298 Depth=2
	v_ffbh_u32_e32 v21, v20
	v_min_u32_e32 v21, 32, v21
	v_mov_b32_e32 v43, v3
	v_subrev_u32_e32 v24, 29, v21
	v_bfe_u32 v0, v42, 2, 5
	v_lshlrev_b64 v[24:25], v24, v[42:43]
	v_sub_u32_e32 v21, 30, v21
	v_cmp_eq_u32_e32 vcc, 0, v0
	v_lshlrev_b32_e32 v2, 16, v2
	v_and_b32_e32 v24, 3, v24
	v_cndmask_b32_e32 v0, v0, v21, vcc
	v_and_b32_e32 v2, 0x80000000, v2
	v_cndmask_b32_e32 v20, v20, v24, vcc
	v_lshl_add_u32 v0, v0, 23, v2
	v_lshl_or_b32 v0, v20, 21, v0
	v_add_u32_e32 v0, 0x38000000, v0
                                        ; implicit-def: $vgpr20
.LBB2_2468:                             ;   in Loop: Header=BB2_2298 Depth=2
	s_andn2_saveexec_b64 s[88:89], s[88:89]
; %bb.2469:                             ;   in Loop: Header=BB2_2298 Depth=2
	v_cmp_lt_i16_e32 vcc, -1, v2
	v_cndmask_b32_e32 v0, v57, v58, vcc
	v_cmp_eq_u32_e32 vcc, 0, v20
	v_cndmask_b32_e32 v0, v59, v0, vcc
; %bb.2470:                             ;   in Loop: Header=BB2_2298 Depth=2
	s_or_b64 exec, exec, s[88:89]
.LBB2_2471:                             ;   in Loop: Header=BB2_2298 Depth=2
	s_or_b64 exec, exec, s[20:21]
.LBB2_2472:                             ;   in Loop: Header=BB2_2298 Depth=2
	s_or_b64 exec, exec, s[18:19]
	v_lshrrev_b16_e32 v2, 8, v41
	v_cmp_lt_i16_e32 vcc, s52, v2
	s_mov_b64 s[18:19], 0
	s_and_saveexec_b64 s[20:21], vcc
	s_xor_b64 s[20:21], exec, s[20:21]
	s_cbranch_execz .LBB2_2827
; %bb.2473:                             ;   in Loop: Header=BB2_2298 Depth=2
	v_cmp_eq_u16_e32 vcc, s53, v2
	s_mov_b64 s[18:19], -1
	s_and_saveexec_b64 s[88:89], vcc
; %bb.2474:                             ;   in Loop: Header=BB2_2298 Depth=2
	s_xor_b64 s[18:19], exec, -1
; %bb.2475:                             ;   in Loop: Header=BB2_2298 Depth=2
	s_or_b64 exec, exec, s[88:89]
	s_and_b64 s[18:19], s[18:19], exec
	s_or_saveexec_b64 s[20:21], s[20:21]
	v_bfrev_b32_e32 v20, 1
	s_xor_b64 exec, exec, s[20:21]
	s_cbranch_execnz .LBB2_2828
.LBB2_2476:                             ;   in Loop: Header=BB2_2298 Depth=2
	s_or_b64 exec, exec, s[20:21]
	s_and_saveexec_b64 s[88:89], s[18:19]
	s_cbranch_execz .LBB2_2478
.LBB2_2477:                             ;   in Loop: Header=BB2_2298 Depth=2
	v_and_b32_e32 v24, 3, v2
	v_and_b32_e32 v20, 0x7c, v2
	v_cmp_eq_u32_e32 vcc, s50, v20
	v_ffbh_u32_e32 v20, v24
	v_min_u32_e32 v30, 32, v20
	v_subrev_u32_e32 v20, 29, v30
	v_bfe_u32 v25, v2, 2, 5
	v_lshlrev_b64 v[20:21], v20, v[2:3]
	v_cmp_eq_u32_e64 s[18:19], 0, v25
	v_sub_u32_e32 v21, 30, v30
	v_lshlrev_b32_e32 v2, 24, v2
	v_and_b32_e32 v20, 3, v20
	v_cndmask_b32_e64 v21, v25, v21, s[18:19]
	v_and_b32_e32 v2, 0x80000000, v2
	v_cndmask_b32_e64 v20, v24, v20, s[18:19]
	v_lshl_add_u32 v2, v21, 23, v2
	v_cmp_lt_i16_e64 s[20:21], -1, v41
	v_lshl_or_b32 v2, v20, 21, v2
	v_cmp_eq_u32_e64 s[18:19], 0, v24
	v_cndmask_b32_e64 v20, v57, v58, s[20:21]
	v_add_u32_e32 v2, 0x38000000, v2
	v_cndmask_b32_e64 v20, v59, v20, s[18:19]
	v_cndmask_b32_e32 v20, v2, v20, vcc
.LBB2_2478:                             ;   in Loop: Header=BB2_2298 Depth=2
	s_or_b64 exec, exec, s[88:89]
	v_mul_f32_e32 v24, v0, v20
	v_and_b32_e32 v20, 0x7f800000, v24
	v_mov_b32_e32 v21, v3
	v_cmp_ne_u64_e32 vcc, s[58:59], v[20:21]
	v_and_b32_e32 v2, 0x7fffff, v24
                                        ; implicit-def: $vgpr21
	s_and_saveexec_b64 s[18:19], vcc
	s_xor_b64 s[20:21], exec, s[18:19]
	s_cbranch_execz .LBB2_2492
; %bb.2479:                             ;   in Loop: Header=BB2_2298 Depth=2
	v_and_b32_e32 v20, 0x7fffffff, v24
	v_mov_b32_e32 v21, v3
	v_cmp_gt_u64_e32 vcc, s[60:61], v[20:21]
	v_and_b32_sdwa v0, v24, s53 dst_sel:DWORD dst_unused:UNUSED_PAD src0_sel:BYTE_3 src1_sel:DWORD
                                        ; implicit-def: $vgpr21
	s_and_saveexec_b64 s[18:19], vcc
	s_xor_b64 s[88:89], exec, s[18:19]
	s_cbranch_execz .LBB2_2489
; %bb.2480:                             ;   in Loop: Header=BB2_2298 Depth=2
	v_mov_b32_e32 v21, 0
	v_cmp_ne_u32_e32 vcc, 0, v24
	s_and_saveexec_b64 s[90:91], vcc
	s_cbranch_execz .LBB2_2488
; %bb.2481:                             ;   in Loop: Header=BB2_2298 Depth=2
	v_bfe_u32 v20, v24, 23, 8
	v_cmp_gt_u32_e64 s[18:19], s54, v20
	v_sub_u32_e32 v21, 0x71, v20
	v_cmp_eq_u32_e32 vcc, 0, v20
	v_cndmask_b32_e64 v21, 0, v21, s[18:19]
	v_mov_b32_e32 v25, 0x70
	v_or_b32_e32 v24, 0x800000, v2
	v_cndmask_b32_e32 v21, v21, v25, vcc
	v_cndmask_b32_e32 v2, v24, v2, vcc
	v_add_u32_e32 v24, 21, v21
	v_lshlrev_b64 v[24:25], v24, -1
	v_add_u32_e32 v30, 20, v21
	v_lshlrev_b64 v[34:35], v30, 1
	v_lshrrev_b64 v[41:42], v21, v[2:3]
	v_bfi_b32 v25, v25, 0, 0
	v_bfi_b32 v24, v24, 0, v2
	v_cmp_eq_u64_e64 s[18:19], v[24:25], v[34:35]
	v_mov_b32_e32 v43, v42
	v_mov_b32_e32 v42, v41
	s_and_saveexec_b64 s[92:93], s[18:19]
; %bb.2482:                             ;   in Loop: Header=BB2_2298 Depth=2
	v_bfe_u32 v2, v41, 21, 1
	v_add_co_u32_e64 v2, s[18:19], v41, v2
	v_add_co_u32_e64 v42, s[18:19], -1, v2
; %bb.2483:                             ;   in Loop: Header=BB2_2298 Depth=2
	s_or_b64 exec, exec, s[92:93]
	v_add_u32_e32 v2, 0xffffff81, v20
	v_cndmask_b32_e32 v2, v2, v61, vcc
	v_lshrrev_b32_e32 v20, 23, v41
	v_add3_u32 v24, v21, v2, v20
	v_add_u32_e32 v21, 14, v24
	v_and_b32_e32 v2, 0x1fffff, v42
	v_add_u32_e32 v2, v2, v41
	v_cmp_ne_u32_e32 vcc, 0, v21
                                        ; implicit-def: $vgpr41_vgpr42
                                        ; implicit-def: $vgpr20
	s_and_saveexec_b64 s[18:19], vcc
	s_xor_b64 s[18:19], exec, s[18:19]
; %bb.2484:                             ;   in Loop: Header=BB2_2298 Depth=2
	v_cmp_lt_u64_e32 vcc, s[62:63], v[2:3]
	v_add_u32_e32 v20, 15, v24
	v_cndmask_b32_e32 v20, v21, v20, vcc
	v_cndmask_b32_e64 v21, 0, 1, vcc
	v_lshrrev_b64 v[41:42], v21, v[2:3]
; %bb.2485:                             ;   in Loop: Header=BB2_2298 Depth=2
	s_andn2_saveexec_b64 s[18:19], s[18:19]
; %bb.2486:                             ;   in Loop: Header=BB2_2298 Depth=2
	v_mov_b32_e32 v42, v3
	v_bfe_u32 v20, v2, 23, 1
	v_mov_b32_e32 v41, v2
; %bb.2487:                             ;   in Loop: Header=BB2_2298 Depth=2
	s_or_b64 exec, exec, s[18:19]
	v_lshrrev_b64 v[24:25], 21, v[41:42]
	v_cmp_gt_i32_e32 vcc, 32, v20
	v_cndmask_b32_e32 v25, 0, v25, vcc
	v_cndmask_b32_e32 v24, 3, v24, vcc
	v_min_i32_e32 v2, 31, v20
	v_cmp_eq_u64_e64 s[18:19], 0, v[24:25]
	v_lshlrev_b32_e32 v2, 2, v2
	v_cmp_eq_u32_e32 vcc, 0, v20
	v_and_b32_e32 v2, 0xfc, v2
	v_and_or_b32 v2, v24, 3, v2
	s_and_b64 s[18:19], vcc, s[18:19]
	v_cndmask_b32_e64 v2, v2, 0, s[18:19]
	v_or_b32_e32 v21, v2, v0
.LBB2_2488:                             ;   in Loop: Header=BB2_2298 Depth=2
	s_or_b64 exec, exec, s[90:91]
                                        ; implicit-def: $vgpr0
.LBB2_2489:                             ;   in Loop: Header=BB2_2298 Depth=2
	s_andn2_saveexec_b64 s[18:19], s[88:89]
; %bb.2490:                             ;   in Loop: Header=BB2_2298 Depth=2
	v_or_b32_e32 v21, 0x7b, v0
; %bb.2491:                             ;   in Loop: Header=BB2_2298 Depth=2
	s_or_b64 exec, exec, s[18:19]
                                        ; implicit-def: $vgpr24
.LBB2_2492:                             ;   in Loop: Header=BB2_2298 Depth=2
	s_andn2_saveexec_b64 s[18:19], s[20:21]
	s_cbranch_execz .LBB2_2498
; %bb.2493:                             ;   in Loop: Header=BB2_2298 Depth=2
	v_cmp_ne_u64_e32 vcc, 0, v[2:3]
                                        ; implicit-def: $vgpr21
	s_and_saveexec_b64 s[20:21], vcc
	s_xor_b64 s[20:21], exec, s[20:21]
; %bb.2494:                             ;   in Loop: Header=BB2_2298 Depth=2
	v_or_b32_sdwa v21, v24, s52 dst_sel:DWORD dst_unused:UNUSED_PAD src0_sel:BYTE_3 src1_sel:DWORD
                                        ; implicit-def: $vgpr24
; %bb.2495:                             ;   in Loop: Header=BB2_2298 Depth=2
	s_andn2_saveexec_b64 s[20:21], s[20:21]
; %bb.2496:                             ;   in Loop: Header=BB2_2298 Depth=2
	v_cmp_lt_i32_e32 vcc, -1, v24
	v_cndmask_b32_e32 v21, v31, v18, vcc
; %bb.2497:                             ;   in Loop: Header=BB2_2298 Depth=2
	s_or_b64 exec, exec, s[20:21]
.LBB2_2498:                             ;   in Loop: Header=BB2_2298 Depth=2
	s_or_b64 exec, exec, s[18:19]
	v_lshrrev_b32_e32 v30, 16, v15
	v_cmp_ne_u16_sdwa s[20:21], v30, v3 src0_sel:BYTE_0 src1_sel:DWORD
	v_mov_b32_e32 v0, 0
	s_and_saveexec_b64 s[18:19], s[20:21]
	s_cbranch_execz .LBB2_2506
; %bb.2499:                             ;   in Loop: Header=BB2_2298 Depth=2
	v_cmp_ne_u16_sdwa s[88:89], v30, s53 src0_sel:BYTE_0 src1_sel:DWORD
	v_bfrev_b32_e32 v0, 1
	s_and_saveexec_b64 s[20:21], s[88:89]
	s_cbranch_execz .LBB2_2505
; %bb.2500:                             ;   in Loop: Header=BB2_2298 Depth=2
	v_and_b32_e32 v0, 0x7c0000, v15
	v_bfe_u32 v20, v15, 16, 2
	v_cmp_ne_u32_e32 vcc, s55, v0
                                        ; implicit-def: $vgpr0
	s_and_saveexec_b64 s[88:89], vcc
	s_xor_b64 s[88:89], exec, s[88:89]
	s_cbranch_execz .LBB2_2502
; %bb.2501:                             ;   in Loop: Header=BB2_2298 Depth=2
	v_ffbh_u32_e32 v2, v20
	v_min_u32_e32 v2, 32, v2
	v_subrev_u32_e32 v24, 29, v2
	v_lshlrev_b64 v[24:25], v24, v[30:31]
	v_bfe_u32 v0, v15, 18, 5
	v_sub_u32_e32 v2, 30, v2
	v_and_b32_e32 v24, 3, v24
	v_cmp_eq_u32_e32 vcc, 0, v0
	v_cndmask_b32_e32 v0, v0, v2, vcc
	v_cndmask_b32_e32 v2, v20, v24, vcc
	v_lshlrev_b32_e32 v20, 8, v15
	v_and_b32_e32 v20, 0x80000000, v20
	v_lshl_add_u32 v0, v0, 23, v20
	v_lshl_or_b32 v0, v2, 21, v0
	v_add_u32_e32 v0, 0x38000000, v0
                                        ; implicit-def: $vgpr20
                                        ; implicit-def: $vgpr30
.LBB2_2502:                             ;   in Loop: Header=BB2_2298 Depth=2
	s_andn2_saveexec_b64 s[88:89], s[88:89]
; %bb.2503:                             ;   in Loop: Header=BB2_2298 Depth=2
	v_cmp_gt_i16_sdwa vcc, sext(v30), v56 src0_sel:BYTE_0 src1_sel:DWORD
	v_cndmask_b32_e32 v0, v57, v58, vcc
	v_cmp_eq_u32_e32 vcc, 0, v20
	v_cndmask_b32_e32 v0, v59, v0, vcc
; %bb.2504:                             ;   in Loop: Header=BB2_2298 Depth=2
	s_or_b64 exec, exec, s[88:89]
.LBB2_2505:                             ;   in Loop: Header=BB2_2298 Depth=2
	s_or_b64 exec, exec, s[20:21]
.LBB2_2506:                             ;   in Loop: Header=BB2_2298 Depth=2
	s_or_b64 exec, exec, s[18:19]
	v_lshrrev_b32_e32 v30, 16, v11
	v_cmp_gt_i16_sdwa s[20:21], v30, s52 src0_sel:BYTE_0 src1_sel:DWORD
	s_mov_b64 s[18:19], 0
	s_and_saveexec_b64 s[88:89], s[20:21]
	s_xor_b64 s[20:21], exec, s[88:89]
	s_cbranch_execz .LBB2_2829
; %bb.2507:                             ;   in Loop: Header=BB2_2298 Depth=2
	v_cmp_eq_u16_sdwa s[90:91], v30, s53 src0_sel:BYTE_0 src1_sel:DWORD
	s_mov_b64 s[18:19], -1
	s_and_saveexec_b64 s[88:89], s[90:91]
; %bb.2508:                             ;   in Loop: Header=BB2_2298 Depth=2
	s_xor_b64 s[18:19], exec, -1
; %bb.2509:                             ;   in Loop: Header=BB2_2298 Depth=2
	s_or_b64 exec, exec, s[88:89]
	s_and_b64 s[18:19], s[18:19], exec
	s_or_saveexec_b64 s[20:21], s[20:21]
	v_bfrev_b32_e32 v20, 1
	s_xor_b64 exec, exec, s[20:21]
	s_cbranch_execnz .LBB2_2830
.LBB2_2510:                             ;   in Loop: Header=BB2_2298 Depth=2
	s_or_b64 exec, exec, s[20:21]
	s_and_saveexec_b64 s[88:89], s[18:19]
	s_cbranch_execz .LBB2_2512
.LBB2_2511:                             ;   in Loop: Header=BB2_2298 Depth=2
	v_and_b32_e32 v2, 3, v30
	v_and_b32_e32 v24, 0x7c0000, v11
	v_cmp_eq_u32_e32 vcc, s55, v24
	v_ffbh_u32_e32 v24, v2
	v_min_u32_e32 v34, 32, v24
	v_subrev_u32_e32 v24, 29, v34
	v_bfe_u32 v20, v11, 18, 5
	v_lshlrev_b64 v[24:25], v24, v[30:31]
	v_cmp_eq_u32_e64 s[18:19], 0, v20
	v_sub_u32_e32 v25, 30, v34
	v_cndmask_b32_e64 v20, v20, v25, s[18:19]
	v_lshlrev_b32_e32 v25, 24, v30
	v_and_b32_e32 v24, 3, v24
	v_and_b32_e32 v25, 0x80000000, v25
	v_cndmask_b32_e64 v24, v2, v24, s[18:19]
	v_lshl_add_u32 v20, v20, 23, v25
	v_cmp_gt_i16_sdwa s[20:21], sext(v30), v56 src0_sel:BYTE_0 src1_sel:DWORD
	v_lshl_or_b32 v20, v24, 21, v20
	v_cmp_eq_u32_e64 s[18:19], 0, v2
	v_cndmask_b32_e64 v2, v57, v58, s[20:21]
	v_add_u32_e32 v20, 0x38000000, v20
	v_cndmask_b32_e64 v2, v59, v2, s[18:19]
	v_cndmask_b32_e32 v20, v20, v2, vcc
.LBB2_2512:                             ;   in Loop: Header=BB2_2298 Depth=2
	s_or_b64 exec, exec, s[88:89]
	v_mul_f32_e32 v24, v0, v20
	v_and_b32_e32 v34, 0x7f800000, v24
	v_mov_b32_e32 v35, v3
	v_cmp_ne_u64_e32 vcc, s[58:59], v[34:35]
	v_and_b32_e32 v2, 0x7fffff, v24
                                        ; implicit-def: $vgpr43
	s_and_saveexec_b64 s[18:19], vcc
	s_xor_b64 s[20:21], exec, s[18:19]
	s_cbranch_execz .LBB2_2526
; %bb.2513:                             ;   in Loop: Header=BB2_2298 Depth=2
	v_and_b32_e32 v34, 0x7fffffff, v24
	v_mov_b32_e32 v35, v3
	v_cmp_gt_u64_e32 vcc, s[60:61], v[34:35]
	v_and_b32_sdwa v0, v24, s53 dst_sel:DWORD dst_unused:UNUSED_PAD src0_sel:BYTE_3 src1_sel:DWORD
                                        ; implicit-def: $vgpr43
	s_and_saveexec_b64 s[18:19], vcc
	s_xor_b64 s[88:89], exec, s[18:19]
	s_cbranch_execz .LBB2_2523
; %bb.2514:                             ;   in Loop: Header=BB2_2298 Depth=2
	v_mov_b32_e32 v43, 0
	v_cmp_ne_u32_e32 vcc, 0, v24
	s_and_saveexec_b64 s[90:91], vcc
	s_cbranch_execz .LBB2_2522
; %bb.2515:                             ;   in Loop: Header=BB2_2298 Depth=2
	v_bfe_u32 v20, v24, 23, 8
	v_cmp_gt_u32_e64 s[18:19], s54, v20
	v_sub_u32_e32 v24, 0x71, v20
	v_cmp_eq_u32_e32 vcc, 0, v20
	v_cndmask_b32_e64 v24, 0, v24, s[18:19]
	v_mov_b32_e32 v30, 0x70
	v_or_b32_e32 v25, 0x800000, v2
	v_cndmask_b32_e32 v24, v24, v30, vcc
	v_cndmask_b32_e32 v2, v25, v2, vcc
	v_add_u32_e32 v25, 21, v24
	v_lshlrev_b64 v[34:35], v25, -1
	v_add_u32_e32 v25, 20, v24
	v_lshlrev_b64 v[50:51], v25, 1
	v_lshrrev_b64 v[41:42], v24, v[2:3]
	v_bfi_b32 v35, v35, 0, 0
	v_bfi_b32 v34, v34, 0, v2
	v_cmp_eq_u64_e64 s[18:19], v[34:35], v[50:51]
	v_mov_b32_e32 v43, v42
	v_mov_b32_e32 v42, v41
	s_and_saveexec_b64 s[92:93], s[18:19]
; %bb.2516:                             ;   in Loop: Header=BB2_2298 Depth=2
	v_bfe_u32 v2, v41, 21, 1
	v_add_co_u32_e64 v2, s[18:19], v41, v2
	v_add_co_u32_e64 v42, s[18:19], -1, v2
; %bb.2517:                             ;   in Loop: Header=BB2_2298 Depth=2
	s_or_b64 exec, exec, s[92:93]
	v_add_u32_e32 v2, 0xffffff81, v20
	v_cndmask_b32_e32 v2, v2, v61, vcc
	v_lshrrev_b32_e32 v20, 23, v41
	v_add3_u32 v25, v24, v2, v20
	v_add_u32_e32 v24, 14, v25
	v_and_b32_e32 v2, 0x1fffff, v42
	v_add_u32_e32 v2, v2, v41
	v_cmp_ne_u32_e32 vcc, 0, v24
                                        ; implicit-def: $vgpr41_vgpr42
                                        ; implicit-def: $vgpr20
	s_and_saveexec_b64 s[18:19], vcc
	s_xor_b64 s[18:19], exec, s[18:19]
; %bb.2518:                             ;   in Loop: Header=BB2_2298 Depth=2
	v_cmp_lt_u64_e32 vcc, s[62:63], v[2:3]
	v_add_u32_e32 v20, 15, v25
	v_cndmask_b32_e32 v20, v24, v20, vcc
	v_cndmask_b32_e64 v24, 0, 1, vcc
	v_lshrrev_b64 v[41:42], v24, v[2:3]
; %bb.2519:                             ;   in Loop: Header=BB2_2298 Depth=2
	s_andn2_saveexec_b64 s[18:19], s[18:19]
; %bb.2520:                             ;   in Loop: Header=BB2_2298 Depth=2
	v_mov_b32_e32 v42, v3
	v_bfe_u32 v20, v2, 23, 1
	v_mov_b32_e32 v41, v2
; %bb.2521:                             ;   in Loop: Header=BB2_2298 Depth=2
	s_or_b64 exec, exec, s[18:19]
	v_lshrrev_b64 v[24:25], 21, v[41:42]
	v_cmp_gt_i32_e32 vcc, 32, v20
	v_cndmask_b32_e32 v25, 0, v25, vcc
	v_cndmask_b32_e32 v24, 3, v24, vcc
	v_min_i32_e32 v2, 31, v20
	v_cmp_eq_u64_e64 s[18:19], 0, v[24:25]
	v_lshlrev_b32_e32 v2, 2, v2
	v_cmp_eq_u32_e32 vcc, 0, v20
	v_and_b32_e32 v2, 0xfc, v2
	v_and_or_b32 v2, v24, 3, v2
	s_and_b64 s[18:19], vcc, s[18:19]
	v_cndmask_b32_e64 v2, v2, 0, s[18:19]
	v_or_b32_e32 v43, v2, v0
.LBB2_2522:                             ;   in Loop: Header=BB2_2298 Depth=2
	s_or_b64 exec, exec, s[90:91]
                                        ; implicit-def: $vgpr0
.LBB2_2523:                             ;   in Loop: Header=BB2_2298 Depth=2
	s_andn2_saveexec_b64 s[18:19], s[88:89]
; %bb.2524:                             ;   in Loop: Header=BB2_2298 Depth=2
	v_or_b32_e32 v43, 0x7b, v0
; %bb.2525:                             ;   in Loop: Header=BB2_2298 Depth=2
	s_or_b64 exec, exec, s[18:19]
                                        ; implicit-def: $vgpr24
.LBB2_2526:                             ;   in Loop: Header=BB2_2298 Depth=2
	s_andn2_saveexec_b64 s[18:19], s[20:21]
	s_cbranch_execz .LBB2_2532
; %bb.2527:                             ;   in Loop: Header=BB2_2298 Depth=2
	v_cmp_ne_u64_e32 vcc, 0, v[2:3]
                                        ; implicit-def: $vgpr43
	s_and_saveexec_b64 s[20:21], vcc
	s_xor_b64 s[20:21], exec, s[20:21]
; %bb.2528:                             ;   in Loop: Header=BB2_2298 Depth=2
	v_or_b32_sdwa v43, v24, s52 dst_sel:DWORD dst_unused:UNUSED_PAD src0_sel:BYTE_3 src1_sel:DWORD
                                        ; implicit-def: $vgpr24
; %bb.2529:                             ;   in Loop: Header=BB2_2298 Depth=2
	s_andn2_saveexec_b64 s[20:21], s[20:21]
; %bb.2530:                             ;   in Loop: Header=BB2_2298 Depth=2
	v_cmp_lt_i32_e32 vcc, -1, v24
	v_cndmask_b32_e32 v43, v31, v18, vcc
; %bb.2531:                             ;   in Loop: Header=BB2_2298 Depth=2
	s_or_b64 exec, exec, s[20:21]
.LBB2_2532:                             ;   in Loop: Header=BB2_2298 Depth=2
	s_or_b64 exec, exec, s[18:19]
	v_cmp_lt_u64_e32 vcc, s[56:57], v[14:15]
	v_mov_b32_e32 v0, 0
	s_and_saveexec_b64 s[18:19], vcc
	s_cbranch_execz .LBB2_2540
; %bb.2533:                             ;   in Loop: Header=BB2_2298 Depth=2
	v_lshrrev_b32_e32 v30, 24, v15
	v_cmp_ne_u32_e32 vcc, s53, v30
	v_bfrev_b32_e32 v0, 1
	s_and_saveexec_b64 s[20:21], vcc
	s_cbranch_execz .LBB2_2539
; %bb.2534:                             ;   in Loop: Header=BB2_2298 Depth=2
	v_and_b32_e32 v0, 0x7c000000, v15
	v_bfe_u32 v20, v15, 24, 2
	v_cmp_ne_u32_e32 vcc, s64, v0
                                        ; implicit-def: $vgpr0
	s_and_saveexec_b64 s[88:89], vcc
	s_xor_b64 s[88:89], exec, s[88:89]
	s_cbranch_execz .LBB2_2536
; %bb.2535:                             ;   in Loop: Header=BB2_2298 Depth=2
	v_ffbh_u32_e32 v2, v20
	v_min_u32_e32 v2, 32, v2
	v_subrev_u32_e32 v24, 29, v2
	v_lshlrev_b64 v[24:25], v24, v[30:31]
	v_bfe_u32 v0, v15, 26, 5
	v_sub_u32_e32 v2, 30, v2
	v_and_b32_e32 v24, 3, v24
	v_cmp_eq_u32_e32 vcc, 0, v0
	v_cndmask_b32_e32 v0, v0, v2, vcc
	v_cndmask_b32_e32 v2, v20, v24, vcc
	v_and_b32_e32 v20, 0x80000000, v15
	v_lshl_add_u32 v0, v0, 23, v20
	v_lshl_or_b32 v0, v2, 21, v0
	v_add_u32_e32 v0, 0x38000000, v0
                                        ; implicit-def: $vgpr20
.LBB2_2536:                             ;   in Loop: Header=BB2_2298 Depth=2
	s_andn2_saveexec_b64 s[88:89], s[88:89]
; %bb.2537:                             ;   in Loop: Header=BB2_2298 Depth=2
	v_cmp_lt_i64_e32 vcc, -1, v[14:15]
	v_cndmask_b32_e32 v0, v57, v58, vcc
	v_cmp_eq_u32_e32 vcc, 0, v20
	v_cndmask_b32_e32 v0, v59, v0, vcc
; %bb.2538:                             ;   in Loop: Header=BB2_2298 Depth=2
	s_or_b64 exec, exec, s[88:89]
.LBB2_2539:                             ;   in Loop: Header=BB2_2298 Depth=2
	s_or_b64 exec, exec, s[20:21]
.LBB2_2540:                             ;   in Loop: Header=BB2_2298 Depth=2
	s_or_b64 exec, exec, s[18:19]
	v_bfe_u32 v20, v11, 24, 2
	v_and_b32_e32 v14, 0x7c000000, v11
	v_cmp_eq_u32_e32 vcc, s64, v14
	v_ffbh_u32_e32 v14, v20
	v_min_u32_e32 v25, 32, v14
	v_lshrrev_b32_e32 v2, 24, v11
	v_subrev_u32_e32 v14, 29, v25
	v_bfe_u32 v24, v11, 26, 5
	v_lshlrev_b64 v[14:15], v14, v[2:3]
	v_cmp_eq_u32_e64 s[18:19], 0, v24
	v_sub_u32_e32 v15, 30, v25
	v_and_b32_e32 v14, 3, v14
	v_cndmask_b32_e64 v15, v24, v15, s[18:19]
	v_and_b32_e32 v24, 0x80000000, v11
	v_cmp_lt_i64_e64 s[20:21], -1, v[10:11]
	v_cndmask_b32_e64 v14, v20, v14, s[18:19]
	v_lshl_add_u32 v15, v15, 23, v24
	v_lshl_or_b32 v14, v14, 21, v15
	v_cmp_eq_u32_e64 s[18:19], 0, v20
	v_cndmask_b32_e64 v15, v57, v58, s[20:21]
	v_add_u32_e32 v14, 0x38000000, v14
	v_cndmask_b32_e64 v15, v59, v15, s[18:19]
	v_cndmask_b32_e32 v14, v14, v15, vcc
	v_cmp_ne_u32_e32 vcc, s53, v2
	v_cndmask_b32_e32 v2, v19, v14, vcc
	v_cmp_lt_u64_e32 vcc, s[56:57], v[10:11]
	v_mov_b32_e32 v15, v3
	v_cndmask_b32_e32 v2, 0, v2, vcc
	v_mul_f32_e32 v10, v2, v0
	v_and_b32_e32 v14, 0x7f800000, v10
	v_cmp_ne_u64_e32 vcc, s[58:59], v[14:15]
	v_and_b32_e32 v2, 0x7fffff, v10
                                        ; implicit-def: $vgpr30
	s_and_saveexec_b64 s[18:19], vcc
	s_xor_b64 s[20:21], exec, s[18:19]
	s_cbranch_execz .LBB2_2554
; %bb.2541:                             ;   in Loop: Header=BB2_2298 Depth=2
	v_and_b32_e32 v14, 0x7fffffff, v10
	v_mov_b32_e32 v15, v3
	v_cmp_gt_u64_e32 vcc, s[60:61], v[14:15]
	v_and_b32_sdwa v0, v10, s53 dst_sel:DWORD dst_unused:UNUSED_PAD src0_sel:BYTE_3 src1_sel:DWORD
                                        ; implicit-def: $vgpr30
	s_and_saveexec_b64 s[18:19], vcc
	s_xor_b64 s[88:89], exec, s[18:19]
	s_cbranch_execz .LBB2_2551
; %bb.2542:                             ;   in Loop: Header=BB2_2298 Depth=2
	v_mov_b32_e32 v30, 0
	v_cmp_ne_u32_e32 vcc, 0, v10
	s_and_saveexec_b64 s[90:91], vcc
	s_cbranch_execz .LBB2_2550
; %bb.2543:                             ;   in Loop: Header=BB2_2298 Depth=2
	v_bfe_u32 v20, v10, 23, 8
	v_cmp_gt_u32_e64 s[18:19], s54, v20
	v_sub_u32_e32 v10, 0x71, v20
	v_cmp_eq_u32_e32 vcc, 0, v20
	v_cndmask_b32_e64 v10, 0, v10, s[18:19]
	v_mov_b32_e32 v14, 0x70
	v_cndmask_b32_e32 v24, v10, v14, vcc
	v_or_b32_e32 v11, 0x800000, v2
	v_add_u32_e32 v10, 21, v24
	v_cndmask_b32_e32 v2, v11, v2, vcc
	v_lshlrev_b64 v[10:11], v10, -1
	v_add_u32_e32 v14, 20, v24
	v_lshlrev_b64 v[14:15], v14, 1
	v_bfi_b32 v11, v11, 0, 0
	v_bfi_b32 v10, v10, 0, v2
	v_cmp_eq_u64_e64 s[18:19], v[10:11], v[14:15]
	v_lshrrev_b64 v[10:11], v24, v[2:3]
	v_mov_b32_e32 v15, v11
	v_mov_b32_e32 v14, v10
	s_and_saveexec_b64 s[92:93], s[18:19]
; %bb.2544:                             ;   in Loop: Header=BB2_2298 Depth=2
	v_bfe_u32 v2, v10, 21, 1
	v_add_co_u32_e64 v2, s[18:19], v10, v2
	v_add_co_u32_e64 v14, s[18:19], -1, v2
; %bb.2545:                             ;   in Loop: Header=BB2_2298 Depth=2
	s_or_b64 exec, exec, s[92:93]
	v_add_u32_e32 v2, 0xffffff81, v20
	v_cndmask_b32_e32 v2, v2, v61, vcc
	v_lshrrev_b32_e32 v11, 23, v10
	v_add3_u32 v20, v24, v2, v11
	v_add_u32_e32 v15, 14, v20
	v_and_b32_e32 v2, 0x1fffff, v14
	v_add_u32_e32 v2, v2, v10
	v_cmp_ne_u32_e32 vcc, 0, v15
                                        ; implicit-def: $vgpr10_vgpr11
                                        ; implicit-def: $vgpr14
	s_and_saveexec_b64 s[18:19], vcc
	s_xor_b64 s[18:19], exec, s[18:19]
; %bb.2546:                             ;   in Loop: Header=BB2_2298 Depth=2
	v_cmp_lt_u64_e32 vcc, s[62:63], v[2:3]
	v_add_u32_e32 v10, 15, v20
	v_cndmask_b32_e32 v14, v15, v10, vcc
	v_cndmask_b32_e64 v10, 0, 1, vcc
	v_lshrrev_b64 v[10:11], v10, v[2:3]
; %bb.2547:                             ;   in Loop: Header=BB2_2298 Depth=2
	s_andn2_saveexec_b64 s[18:19], s[18:19]
; %bb.2548:                             ;   in Loop: Header=BB2_2298 Depth=2
	v_mov_b32_e32 v11, v3
	v_bfe_u32 v14, v2, 23, 1
	v_mov_b32_e32 v10, v2
; %bb.2549:                             ;   in Loop: Header=BB2_2298 Depth=2
	s_or_b64 exec, exec, s[18:19]
	v_lshrrev_b64 v[10:11], 21, v[10:11]
	v_cmp_gt_i32_e32 vcc, 32, v14
	v_cndmask_b32_e32 v11, 0, v11, vcc
	v_cndmask_b32_e32 v10, 3, v10, vcc
	v_min_i32_e32 v2, 31, v14
	v_cmp_eq_u64_e64 s[18:19], 0, v[10:11]
	v_lshlrev_b32_e32 v2, 2, v2
	v_cmp_eq_u32_e32 vcc, 0, v14
	v_and_b32_e32 v2, 0xfc, v2
	v_and_or_b32 v2, v10, 3, v2
	s_and_b64 s[18:19], vcc, s[18:19]
	v_cndmask_b32_e64 v2, v2, 0, s[18:19]
	v_or_b32_e32 v30, v2, v0
.LBB2_2550:                             ;   in Loop: Header=BB2_2298 Depth=2
	s_or_b64 exec, exec, s[90:91]
                                        ; implicit-def: $vgpr0
.LBB2_2551:                             ;   in Loop: Header=BB2_2298 Depth=2
	s_andn2_saveexec_b64 s[18:19], s[88:89]
; %bb.2552:                             ;   in Loop: Header=BB2_2298 Depth=2
	v_or_b32_e32 v30, 0x7b, v0
; %bb.2553:                             ;   in Loop: Header=BB2_2298 Depth=2
	s_or_b64 exec, exec, s[18:19]
                                        ; implicit-def: $vgpr10
.LBB2_2554:                             ;   in Loop: Header=BB2_2298 Depth=2
	s_andn2_saveexec_b64 s[18:19], s[20:21]
	s_cbranch_execz .LBB2_2560
; %bb.2555:                             ;   in Loop: Header=BB2_2298 Depth=2
	v_cmp_ne_u64_e32 vcc, 0, v[2:3]
                                        ; implicit-def: $vgpr30
	s_and_saveexec_b64 s[20:21], vcc
	s_xor_b64 s[20:21], exec, s[20:21]
; %bb.2556:                             ;   in Loop: Header=BB2_2298 Depth=2
	v_or_b32_sdwa v30, v10, s52 dst_sel:DWORD dst_unused:UNUSED_PAD src0_sel:BYTE_3 src1_sel:DWORD
                                        ; implicit-def: $vgpr10
; %bb.2557:                             ;   in Loop: Header=BB2_2298 Depth=2
	s_andn2_saveexec_b64 s[20:21], s[20:21]
; %bb.2558:                             ;   in Loop: Header=BB2_2298 Depth=2
	v_cmp_lt_i32_e32 vcc, -1, v10
	v_cndmask_b32_e32 v30, v31, v18, vcc
; %bb.2559:                             ;   in Loop: Header=BB2_2298 Depth=2
	s_or_b64 exec, exec, s[20:21]
.LBB2_2560:                             ;   in Loop: Header=BB2_2298 Depth=2
	s_or_b64 exec, exec, s[18:19]
	v_cmp_ne_u16_sdwa s[20:21], v16, v3 src0_sel:BYTE_0 src1_sel:DWORD
	v_mov_b32_e32 v0, 0
	s_and_saveexec_b64 s[18:19], s[20:21]
	s_cbranch_execz .LBB2_2568
; %bb.2561:                             ;   in Loop: Header=BB2_2298 Depth=2
	v_cmp_ne_u16_sdwa s[88:89], sext(v16), s49 src0_sel:BYTE_0 src1_sel:DWORD
	v_bfrev_b32_e32 v0, 1
	s_and_saveexec_b64 s[20:21], s[88:89]
	s_cbranch_execz .LBB2_2567
; %bb.2562:                             ;   in Loop: Header=BB2_2298 Depth=2
	v_and_b32_e32 v0, 0x7c, v16
	v_and_b32_e32 v10, 3, v16
	v_cmp_ne_u32_e32 vcc, s50, v0
                                        ; implicit-def: $vgpr0
	s_and_saveexec_b64 s[88:89], vcc
	s_xor_b64 s[88:89], exec, s[88:89]
	s_cbranch_execz .LBB2_2564
; %bb.2563:                             ;   in Loop: Header=BB2_2298 Depth=2
	v_ffbh_u32_e32 v2, v10
	v_min_u32_e32 v2, 32, v2
	v_subrev_u32_e32 v11, 29, v2
	v_lshlrev_b64 v[14:15], v11, v[16:17]
	v_bfe_u32 v0, v16, 2, 5
	v_sub_u32_e32 v2, 30, v2
	v_and_b32_e32 v11, 3, v14
	v_cmp_eq_u32_e32 vcc, 0, v0
	v_cndmask_b32_e32 v0, v0, v2, vcc
	v_cndmask_b32_e32 v2, v10, v11, vcc
	v_lshlrev_b32_e32 v10, 24, v16
	v_and_b32_e32 v10, 0x80000000, v10
	v_lshl_add_u32 v0, v0, 23, v10
	v_lshl_or_b32 v0, v2, 21, v0
	v_add_u32_e32 v0, 0x38000000, v0
                                        ; implicit-def: $vgpr10
.LBB2_2564:                             ;   in Loop: Header=BB2_2298 Depth=2
	s_andn2_saveexec_b64 s[88:89], s[88:89]
; %bb.2565:                             ;   in Loop: Header=BB2_2298 Depth=2
	v_cmp_gt_i16_sdwa vcc, sext(v16), v56 src0_sel:BYTE_0 src1_sel:DWORD
	v_cndmask_b32_e32 v0, v57, v58, vcc
	v_cmp_eq_u32_e32 vcc, 0, v10
	v_cndmask_b32_e32 v0, v59, v0, vcc
; %bb.2566:                             ;   in Loop: Header=BB2_2298 Depth=2
	s_or_b64 exec, exec, s[88:89]
.LBB2_2567:                             ;   in Loop: Header=BB2_2298 Depth=2
	s_or_b64 exec, exec, s[20:21]
.LBB2_2568:                             ;   in Loop: Header=BB2_2298 Depth=2
	s_or_b64 exec, exec, s[18:19]
	v_cmp_gt_i16_sdwa s[20:21], v12, s52 src0_sel:BYTE_0 src1_sel:DWORD
	s_mov_b64 s[18:19], 0
	s_and_saveexec_b64 s[88:89], s[20:21]
	s_xor_b64 s[20:21], exec, s[88:89]
	s_cbranch_execz .LBB2_2831
; %bb.2569:                             ;   in Loop: Header=BB2_2298 Depth=2
	v_cmp_eq_u16_sdwa s[90:91], v12, s53 src0_sel:BYTE_0 src1_sel:DWORD
	s_mov_b64 s[18:19], -1
	s_and_saveexec_b64 s[88:89], s[90:91]
; %bb.2570:                             ;   in Loop: Header=BB2_2298 Depth=2
	s_xor_b64 s[18:19], exec, -1
; %bb.2571:                             ;   in Loop: Header=BB2_2298 Depth=2
	s_or_b64 exec, exec, s[88:89]
	s_and_b64 s[18:19], s[18:19], exec
	s_or_saveexec_b64 s[20:21], s[20:21]
	v_bfrev_b32_e32 v10, 1
	s_xor_b64 exec, exec, s[20:21]
	s_cbranch_execnz .LBB2_2832
.LBB2_2572:                             ;   in Loop: Header=BB2_2298 Depth=2
	s_or_b64 exec, exec, s[20:21]
	s_and_saveexec_b64 s[88:89], s[18:19]
	s_cbranch_execz .LBB2_2574
.LBB2_2573:                             ;   in Loop: Header=BB2_2298 Depth=2
	v_and_b32_e32 v2, 3, v12
	v_and_b32_e32 v10, 0x7c, v12
	v_cmp_eq_u32_e32 vcc, s50, v10
	v_ffbh_u32_e32 v10, v2
	v_min_u32_e32 v15, 32, v10
	v_subrev_u32_e32 v10, 29, v15
	v_bfe_u32 v14, v12, 2, 5
	v_lshlrev_b64 v[10:11], v10, v[12:13]
	v_cmp_eq_u32_e64 s[18:19], 0, v14
	v_sub_u32_e32 v11, 30, v15
	v_cndmask_b32_e64 v11, v14, v11, s[18:19]
	v_lshlrev_b32_e32 v14, 24, v12
	v_and_b32_e32 v10, 3, v10
	v_and_b32_e32 v14, 0x80000000, v14
	v_cndmask_b32_e64 v10, v2, v10, s[18:19]
	v_lshl_add_u32 v11, v11, 23, v14
	v_cmp_gt_i16_sdwa s[20:21], sext(v12), v56 src0_sel:BYTE_0 src1_sel:DWORD
	v_lshl_or_b32 v10, v10, 21, v11
	v_cmp_eq_u32_e64 s[18:19], 0, v2
	v_cndmask_b32_e64 v2, v57, v58, s[20:21]
	v_add_u32_e32 v10, 0x38000000, v10
	v_cndmask_b32_e64 v2, v59, v2, s[18:19]
	v_cndmask_b32_e32 v10, v10, v2, vcc
.LBB2_2574:                             ;   in Loop: Header=BB2_2298 Depth=2
	s_or_b64 exec, exec, s[88:89]
	v_mul_f32_e32 v10, v0, v10
	v_and_b32_e32 v14, 0x7f800000, v10
	v_mov_b32_e32 v15, v3
	v_cmp_ne_u64_e32 vcc, s[58:59], v[14:15]
	v_and_b32_e32 v2, 0x7fffff, v10
                                        ; implicit-def: $vgpr50
	s_and_saveexec_b64 s[18:19], vcc
	s_xor_b64 s[20:21], exec, s[18:19]
	s_cbranch_execz .LBB2_2588
; %bb.2575:                             ;   in Loop: Header=BB2_2298 Depth=2
	v_and_b32_e32 v14, 0x7fffffff, v10
	v_mov_b32_e32 v15, v3
	v_cmp_gt_u64_e32 vcc, s[60:61], v[14:15]
	v_and_b32_sdwa v0, v10, s53 dst_sel:DWORD dst_unused:UNUSED_PAD src0_sel:BYTE_3 src1_sel:DWORD
                                        ; implicit-def: $vgpr50
	s_and_saveexec_b64 s[18:19], vcc
	s_xor_b64 s[88:89], exec, s[18:19]
	s_cbranch_execz .LBB2_2585
; %bb.2576:                             ;   in Loop: Header=BB2_2298 Depth=2
	v_mov_b32_e32 v50, 0
	v_cmp_ne_u32_e32 vcc, 0, v10
	s_and_saveexec_b64 s[90:91], vcc
	s_cbranch_execz .LBB2_2584
; %bb.2577:                             ;   in Loop: Header=BB2_2298 Depth=2
	v_bfe_u32 v20, v10, 23, 8
	v_cmp_gt_u32_e64 s[18:19], s54, v20
	v_sub_u32_e32 v10, 0x71, v20
	v_cmp_eq_u32_e32 vcc, 0, v20
	v_cndmask_b32_e64 v10, 0, v10, s[18:19]
	v_mov_b32_e32 v14, 0x70
	v_cndmask_b32_e32 v24, v10, v14, vcc
	v_or_b32_e32 v11, 0x800000, v2
	v_add_u32_e32 v10, 21, v24
	v_cndmask_b32_e32 v2, v11, v2, vcc
	v_lshlrev_b64 v[10:11], v10, -1
	v_add_u32_e32 v14, 20, v24
	v_lshlrev_b64 v[14:15], v14, 1
	v_bfi_b32 v11, v11, 0, 0
	v_bfi_b32 v10, v10, 0, v2
	v_cmp_eq_u64_e64 s[18:19], v[10:11], v[14:15]
	v_lshrrev_b64 v[10:11], v24, v[2:3]
	v_mov_b32_e32 v15, v11
	v_mov_b32_e32 v14, v10
	s_and_saveexec_b64 s[92:93], s[18:19]
; %bb.2578:                             ;   in Loop: Header=BB2_2298 Depth=2
	v_bfe_u32 v2, v10, 21, 1
	v_add_co_u32_e64 v2, s[18:19], v10, v2
	v_add_co_u32_e64 v14, s[18:19], -1, v2
; %bb.2579:                             ;   in Loop: Header=BB2_2298 Depth=2
	s_or_b64 exec, exec, s[92:93]
	v_add_u32_e32 v2, 0xffffff81, v20
	v_cndmask_b32_e32 v2, v2, v61, vcc
	v_lshrrev_b32_e32 v11, 23, v10
	v_add3_u32 v20, v24, v2, v11
	v_add_u32_e32 v15, 14, v20
	v_and_b32_e32 v2, 0x1fffff, v14
	v_add_u32_e32 v2, v2, v10
	v_cmp_ne_u32_e32 vcc, 0, v15
                                        ; implicit-def: $vgpr10_vgpr11
                                        ; implicit-def: $vgpr14
	s_and_saveexec_b64 s[18:19], vcc
	s_xor_b64 s[18:19], exec, s[18:19]
; %bb.2580:                             ;   in Loop: Header=BB2_2298 Depth=2
	v_cmp_lt_u64_e32 vcc, s[62:63], v[2:3]
	v_add_u32_e32 v10, 15, v20
	v_cndmask_b32_e32 v14, v15, v10, vcc
	v_cndmask_b32_e64 v10, 0, 1, vcc
	v_lshrrev_b64 v[10:11], v10, v[2:3]
; %bb.2581:                             ;   in Loop: Header=BB2_2298 Depth=2
	s_andn2_saveexec_b64 s[18:19], s[18:19]
; %bb.2582:                             ;   in Loop: Header=BB2_2298 Depth=2
	v_mov_b32_e32 v11, v3
	v_bfe_u32 v14, v2, 23, 1
	v_mov_b32_e32 v10, v2
; %bb.2583:                             ;   in Loop: Header=BB2_2298 Depth=2
	s_or_b64 exec, exec, s[18:19]
	v_lshrrev_b64 v[10:11], 21, v[10:11]
	v_cmp_gt_i32_e32 vcc, 32, v14
	v_cndmask_b32_e32 v11, 0, v11, vcc
	v_cndmask_b32_e32 v10, 3, v10, vcc
	v_min_i32_e32 v2, 31, v14
	v_cmp_eq_u64_e64 s[18:19], 0, v[10:11]
	v_lshlrev_b32_e32 v2, 2, v2
	v_cmp_eq_u32_e32 vcc, 0, v14
	v_and_b32_e32 v2, 0xfc, v2
	v_and_or_b32 v2, v10, 3, v2
	s_and_b64 s[18:19], vcc, s[18:19]
	v_cndmask_b32_e64 v2, v2, 0, s[18:19]
	v_or_b32_e32 v50, v2, v0
.LBB2_2584:                             ;   in Loop: Header=BB2_2298 Depth=2
	s_or_b64 exec, exec, s[90:91]
                                        ; implicit-def: $vgpr0
.LBB2_2585:                             ;   in Loop: Header=BB2_2298 Depth=2
	s_andn2_saveexec_b64 s[18:19], s[88:89]
; %bb.2586:                             ;   in Loop: Header=BB2_2298 Depth=2
	v_or_b32_e32 v50, 0x7b, v0
; %bb.2587:                             ;   in Loop: Header=BB2_2298 Depth=2
	s_or_b64 exec, exec, s[18:19]
                                        ; implicit-def: $vgpr10
.LBB2_2588:                             ;   in Loop: Header=BB2_2298 Depth=2
	s_andn2_saveexec_b64 s[18:19], s[20:21]
	s_cbranch_execz .LBB2_2594
; %bb.2589:                             ;   in Loop: Header=BB2_2298 Depth=2
	v_cmp_ne_u64_e32 vcc, 0, v[2:3]
                                        ; implicit-def: $vgpr50
	s_and_saveexec_b64 s[20:21], vcc
	s_xor_b64 s[20:21], exec, s[20:21]
; %bb.2590:                             ;   in Loop: Header=BB2_2298 Depth=2
	v_or_b32_sdwa v50, v10, s52 dst_sel:DWORD dst_unused:UNUSED_PAD src0_sel:BYTE_3 src1_sel:DWORD
                                        ; implicit-def: $vgpr10
; %bb.2591:                             ;   in Loop: Header=BB2_2298 Depth=2
	s_andn2_saveexec_b64 s[20:21], s[20:21]
; %bb.2592:                             ;   in Loop: Header=BB2_2298 Depth=2
	v_cmp_lt_i32_e32 vcc, -1, v10
	v_cndmask_b32_e32 v50, v31, v18, vcc
; %bb.2593:                             ;   in Loop: Header=BB2_2298 Depth=2
	s_or_b64 exec, exec, s[20:21]
.LBB2_2594:                             ;   in Loop: Header=BB2_2298 Depth=2
	s_or_b64 exec, exec, s[18:19]
	v_lshrrev_b16_e32 v2, 8, v16
	v_cmp_ne_u16_e32 vcc, 0, v2
	v_mov_b32_e32 v0, 0
	s_and_saveexec_b64 s[18:19], vcc
	s_cbranch_execz .LBB2_2602
; %bb.2595:                             ;   in Loop: Header=BB2_2298 Depth=2
	v_cmp_ne_u16_e32 vcc, s53, v2
	v_bfrev_b32_e32 v0, 1
	s_and_saveexec_b64 s[20:21], vcc
	s_cbranch_execz .LBB2_2601
; %bb.2596:                             ;   in Loop: Header=BB2_2298 Depth=2
	v_and_b32_e32 v0, 0x7c, v2
	v_and_b32_e32 v10, 3, v2
	v_cmp_ne_u32_e32 vcc, s50, v0
                                        ; implicit-def: $vgpr0
	s_and_saveexec_b64 s[88:89], vcc
	s_xor_b64 s[88:89], exec, s[88:89]
	s_cbranch_execz .LBB2_2598
; %bb.2597:                             ;   in Loop: Header=BB2_2298 Depth=2
	v_ffbh_u32_e32 v11, v10
	v_min_u32_e32 v11, 32, v11
	v_subrev_u32_e32 v14, 29, v11
	v_lshlrev_b64 v[14:15], v14, v[2:3]
	v_bfe_u32 v0, v2, 2, 5
	v_sub_u32_e32 v2, 30, v11
	v_and_b32_e32 v11, 3, v14
	v_cmp_eq_u32_e32 vcc, 0, v0
	v_cndmask_b32_e32 v0, v0, v2, vcc
	v_cndmask_b32_e32 v2, v10, v11, vcc
	v_lshlrev_b32_e32 v10, 16, v16
	v_and_b32_e32 v10, 0x80000000, v10
	v_lshl_add_u32 v0, v0, 23, v10
	v_lshl_or_b32 v0, v2, 21, v0
	v_add_u32_e32 v0, 0x38000000, v0
                                        ; implicit-def: $vgpr10
.LBB2_2598:                             ;   in Loop: Header=BB2_2298 Depth=2
	s_andn2_saveexec_b64 s[88:89], s[88:89]
; %bb.2599:                             ;   in Loop: Header=BB2_2298 Depth=2
	v_cmp_lt_i16_e32 vcc, -1, v16
	v_cndmask_b32_e32 v0, v57, v58, vcc
	v_cmp_eq_u32_e32 vcc, 0, v10
	v_cndmask_b32_e32 v0, v59, v0, vcc
; %bb.2600:                             ;   in Loop: Header=BB2_2298 Depth=2
	s_or_b64 exec, exec, s[88:89]
.LBB2_2601:                             ;   in Loop: Header=BB2_2298 Depth=2
	s_or_b64 exec, exec, s[20:21]
.LBB2_2602:                             ;   in Loop: Header=BB2_2298 Depth=2
	s_or_b64 exec, exec, s[18:19]
	v_lshrrev_b16_e32 v2, 8, v12
	v_cmp_lt_i16_e32 vcc, s52, v2
	s_mov_b64 s[18:19], 0
	s_and_saveexec_b64 s[20:21], vcc
	s_xor_b64 s[20:21], exec, s[20:21]
	s_cbranch_execz .LBB2_2833
; %bb.2603:                             ;   in Loop: Header=BB2_2298 Depth=2
	v_cmp_eq_u16_e32 vcc, s53, v2
	s_mov_b64 s[18:19], -1
	s_and_saveexec_b64 s[88:89], vcc
; %bb.2604:                             ;   in Loop: Header=BB2_2298 Depth=2
	s_xor_b64 s[18:19], exec, -1
; %bb.2605:                             ;   in Loop: Header=BB2_2298 Depth=2
	s_or_b64 exec, exec, s[88:89]
	s_and_b64 s[18:19], s[18:19], exec
	s_or_saveexec_b64 s[20:21], s[20:21]
	v_bfrev_b32_e32 v10, 1
	s_xor_b64 exec, exec, s[20:21]
	s_cbranch_execnz .LBB2_2834
.LBB2_2606:                             ;   in Loop: Header=BB2_2298 Depth=2
	s_or_b64 exec, exec, s[20:21]
	s_and_saveexec_b64 s[88:89], s[18:19]
	s_cbranch_execz .LBB2_2608
.LBB2_2607:                             ;   in Loop: Header=BB2_2298 Depth=2
	v_and_b32_e32 v14, 3, v2
	v_and_b32_e32 v10, 0x7c, v2
	v_cmp_eq_u32_e32 vcc, s50, v10
	v_ffbh_u32_e32 v10, v14
	v_min_u32_e32 v20, 32, v10
	v_subrev_u32_e32 v10, 29, v20
	v_bfe_u32 v15, v2, 2, 5
	v_lshlrev_b64 v[10:11], v10, v[2:3]
	v_cmp_eq_u32_e64 s[18:19], 0, v15
	v_sub_u32_e32 v11, 30, v20
	v_lshlrev_b32_e32 v2, 24, v2
	v_and_b32_e32 v10, 3, v10
	v_cndmask_b32_e64 v11, v15, v11, s[18:19]
	v_and_b32_e32 v2, 0x80000000, v2
	v_cndmask_b32_e64 v10, v14, v10, s[18:19]
	v_lshl_add_u32 v2, v11, 23, v2
	v_cmp_lt_i16_e64 s[20:21], -1, v12
	v_lshl_or_b32 v2, v10, 21, v2
	v_cmp_eq_u32_e64 s[18:19], 0, v14
	v_cndmask_b32_e64 v10, v57, v58, s[20:21]
	v_add_u32_e32 v2, 0x38000000, v2
	v_cndmask_b32_e64 v10, v59, v10, s[18:19]
	v_cndmask_b32_e32 v10, v2, v10, vcc
.LBB2_2608:                             ;   in Loop: Header=BB2_2298 Depth=2
	s_or_b64 exec, exec, s[88:89]
	v_mul_f32_e32 v10, v0, v10
	v_and_b32_e32 v14, 0x7f800000, v10
	v_mov_b32_e32 v15, v3
	v_cmp_ne_u64_e32 vcc, s[58:59], v[14:15]
	v_and_b32_e32 v2, 0x7fffff, v10
                                        ; implicit-def: $vgpr51
	s_and_saveexec_b64 s[18:19], vcc
	s_xor_b64 s[20:21], exec, s[18:19]
	s_cbranch_execz .LBB2_2622
; %bb.2609:                             ;   in Loop: Header=BB2_2298 Depth=2
	v_and_b32_e32 v14, 0x7fffffff, v10
	v_mov_b32_e32 v15, v3
	v_cmp_gt_u64_e32 vcc, s[60:61], v[14:15]
	v_and_b32_sdwa v0, v10, s53 dst_sel:DWORD dst_unused:UNUSED_PAD src0_sel:BYTE_3 src1_sel:DWORD
                                        ; implicit-def: $vgpr51
	s_and_saveexec_b64 s[18:19], vcc
	s_xor_b64 s[88:89], exec, s[18:19]
	s_cbranch_execz .LBB2_2619
; %bb.2610:                             ;   in Loop: Header=BB2_2298 Depth=2
	v_mov_b32_e32 v51, 0
	v_cmp_ne_u32_e32 vcc, 0, v10
	s_and_saveexec_b64 s[90:91], vcc
	s_cbranch_execz .LBB2_2618
; %bb.2611:                             ;   in Loop: Header=BB2_2298 Depth=2
	v_bfe_u32 v20, v10, 23, 8
	v_cmp_gt_u32_e64 s[18:19], s54, v20
	v_sub_u32_e32 v10, 0x71, v20
	v_cmp_eq_u32_e32 vcc, 0, v20
	v_cndmask_b32_e64 v10, 0, v10, s[18:19]
	v_mov_b32_e32 v14, 0x70
	v_cndmask_b32_e32 v24, v10, v14, vcc
	v_or_b32_e32 v11, 0x800000, v2
	v_add_u32_e32 v10, 21, v24
	v_cndmask_b32_e32 v2, v11, v2, vcc
	v_lshlrev_b64 v[10:11], v10, -1
	v_add_u32_e32 v14, 20, v24
	v_lshlrev_b64 v[14:15], v14, 1
	v_bfi_b32 v11, v11, 0, 0
	v_bfi_b32 v10, v10, 0, v2
	v_cmp_eq_u64_e64 s[18:19], v[10:11], v[14:15]
	v_lshrrev_b64 v[10:11], v24, v[2:3]
	v_mov_b32_e32 v15, v11
	v_mov_b32_e32 v14, v10
	s_and_saveexec_b64 s[92:93], s[18:19]
; %bb.2612:                             ;   in Loop: Header=BB2_2298 Depth=2
	v_bfe_u32 v2, v10, 21, 1
	v_add_co_u32_e64 v2, s[18:19], v10, v2
	v_add_co_u32_e64 v14, s[18:19], -1, v2
; %bb.2613:                             ;   in Loop: Header=BB2_2298 Depth=2
	s_or_b64 exec, exec, s[92:93]
	v_add_u32_e32 v2, 0xffffff81, v20
	v_cndmask_b32_e32 v2, v2, v61, vcc
	v_lshrrev_b32_e32 v11, 23, v10
	v_add3_u32 v20, v24, v2, v11
	v_add_u32_e32 v15, 14, v20
	v_and_b32_e32 v2, 0x1fffff, v14
	v_add_u32_e32 v2, v2, v10
	v_cmp_ne_u32_e32 vcc, 0, v15
                                        ; implicit-def: $vgpr10_vgpr11
                                        ; implicit-def: $vgpr14
	s_and_saveexec_b64 s[18:19], vcc
	s_xor_b64 s[18:19], exec, s[18:19]
; %bb.2614:                             ;   in Loop: Header=BB2_2298 Depth=2
	v_cmp_lt_u64_e32 vcc, s[62:63], v[2:3]
	v_add_u32_e32 v10, 15, v20
	v_cndmask_b32_e32 v14, v15, v10, vcc
	v_cndmask_b32_e64 v10, 0, 1, vcc
	v_lshrrev_b64 v[10:11], v10, v[2:3]
; %bb.2615:                             ;   in Loop: Header=BB2_2298 Depth=2
	s_andn2_saveexec_b64 s[18:19], s[18:19]
; %bb.2616:                             ;   in Loop: Header=BB2_2298 Depth=2
	v_mov_b32_e32 v11, v3
	v_bfe_u32 v14, v2, 23, 1
	v_mov_b32_e32 v10, v2
; %bb.2617:                             ;   in Loop: Header=BB2_2298 Depth=2
	s_or_b64 exec, exec, s[18:19]
	v_lshrrev_b64 v[10:11], 21, v[10:11]
	v_cmp_gt_i32_e32 vcc, 32, v14
	v_cndmask_b32_e32 v11, 0, v11, vcc
	v_cndmask_b32_e32 v10, 3, v10, vcc
	v_min_i32_e32 v2, 31, v14
	v_cmp_eq_u64_e64 s[18:19], 0, v[10:11]
	v_lshlrev_b32_e32 v2, 2, v2
	v_cmp_eq_u32_e32 vcc, 0, v14
	v_and_b32_e32 v2, 0xfc, v2
	v_and_or_b32 v2, v10, 3, v2
	s_and_b64 s[18:19], vcc, s[18:19]
	v_cndmask_b32_e64 v2, v2, 0, s[18:19]
	v_or_b32_e32 v51, v2, v0
.LBB2_2618:                             ;   in Loop: Header=BB2_2298 Depth=2
	s_or_b64 exec, exec, s[90:91]
                                        ; implicit-def: $vgpr0
.LBB2_2619:                             ;   in Loop: Header=BB2_2298 Depth=2
	s_andn2_saveexec_b64 s[18:19], s[88:89]
; %bb.2620:                             ;   in Loop: Header=BB2_2298 Depth=2
	v_or_b32_e32 v51, 0x7b, v0
; %bb.2621:                             ;   in Loop: Header=BB2_2298 Depth=2
	s_or_b64 exec, exec, s[18:19]
                                        ; implicit-def: $vgpr10
.LBB2_2622:                             ;   in Loop: Header=BB2_2298 Depth=2
	s_andn2_saveexec_b64 s[18:19], s[20:21]
	s_cbranch_execz .LBB2_2628
; %bb.2623:                             ;   in Loop: Header=BB2_2298 Depth=2
	v_cmp_ne_u64_e32 vcc, 0, v[2:3]
                                        ; implicit-def: $vgpr51
	s_and_saveexec_b64 s[20:21], vcc
	s_xor_b64 s[20:21], exec, s[20:21]
; %bb.2624:                             ;   in Loop: Header=BB2_2298 Depth=2
	v_or_b32_sdwa v51, v10, s52 dst_sel:DWORD dst_unused:UNUSED_PAD src0_sel:BYTE_3 src1_sel:DWORD
                                        ; implicit-def: $vgpr10
; %bb.2625:                             ;   in Loop: Header=BB2_2298 Depth=2
	s_andn2_saveexec_b64 s[20:21], s[20:21]
; %bb.2626:                             ;   in Loop: Header=BB2_2298 Depth=2
	v_cmp_lt_i32_e32 vcc, -1, v10
	v_cndmask_b32_e32 v51, v31, v18, vcc
; %bb.2627:                             ;   in Loop: Header=BB2_2298 Depth=2
	s_or_b64 exec, exec, s[20:21]
.LBB2_2628:                             ;   in Loop: Header=BB2_2298 Depth=2
	s_or_b64 exec, exec, s[18:19]
	v_lshrrev_b32_e32 v10, 16, v16
	v_cmp_ne_u16_sdwa s[20:21], v10, v3 src0_sel:BYTE_0 src1_sel:DWORD
	v_mov_b32_e32 v0, 0
	s_and_saveexec_b64 s[18:19], s[20:21]
	s_cbranch_execz .LBB2_2636
; %bb.2629:                             ;   in Loop: Header=BB2_2298 Depth=2
	v_cmp_ne_u16_sdwa s[88:89], v10, s53 src0_sel:BYTE_0 src1_sel:DWORD
	v_bfrev_b32_e32 v0, 1
	s_and_saveexec_b64 s[20:21], s[88:89]
	s_cbranch_execz .LBB2_2635
; %bb.2630:                             ;   in Loop: Header=BB2_2298 Depth=2
	v_and_b32_e32 v0, 0x7c0000, v16
	v_bfe_u32 v11, v16, 16, 2
	v_cmp_ne_u32_e32 vcc, s55, v0
                                        ; implicit-def: $vgpr0
	s_and_saveexec_b64 s[88:89], vcc
	s_xor_b64 s[88:89], exec, s[88:89]
	s_cbranch_execz .LBB2_2632
; %bb.2631:                             ;   in Loop: Header=BB2_2298 Depth=2
	v_ffbh_u32_e32 v2, v11
	v_min_u32_e32 v2, 32, v2
	v_subrev_u32_e32 v14, 29, v2
	v_lshlrev_b64 v[14:15], v14, v[10:11]
	v_bfe_u32 v0, v16, 18, 5
	v_sub_u32_e32 v2, 30, v2
	v_and_b32_e32 v10, 3, v14
	v_cmp_eq_u32_e32 vcc, 0, v0
	v_cndmask_b32_e32 v0, v0, v2, vcc
	v_cndmask_b32_e32 v2, v11, v10, vcc
	v_lshlrev_b32_e32 v10, 8, v16
	v_and_b32_e32 v10, 0x80000000, v10
	v_lshl_add_u32 v0, v0, 23, v10
	v_lshl_or_b32 v0, v2, 21, v0
	v_add_u32_e32 v0, 0x38000000, v0
                                        ; implicit-def: $vgpr11
                                        ; implicit-def: $vgpr10
.LBB2_2632:                             ;   in Loop: Header=BB2_2298 Depth=2
	s_andn2_saveexec_b64 s[88:89], s[88:89]
; %bb.2633:                             ;   in Loop: Header=BB2_2298 Depth=2
	v_cmp_gt_i16_sdwa vcc, sext(v10), v56 src0_sel:BYTE_0 src1_sel:DWORD
	v_cndmask_b32_e32 v0, v57, v58, vcc
	v_cmp_eq_u32_e32 vcc, 0, v11
	v_cndmask_b32_e32 v0, v59, v0, vcc
; %bb.2634:                             ;   in Loop: Header=BB2_2298 Depth=2
	s_or_b64 exec, exec, s[88:89]
.LBB2_2635:                             ;   in Loop: Header=BB2_2298 Depth=2
	s_or_b64 exec, exec, s[20:21]
.LBB2_2636:                             ;   in Loop: Header=BB2_2298 Depth=2
	s_or_b64 exec, exec, s[18:19]
	v_lshrrev_b32_e32 v10, 16, v12
	v_cmp_gt_i16_sdwa s[20:21], v10, s52 src0_sel:BYTE_0 src1_sel:DWORD
	s_mov_b64 s[18:19], 0
	s_and_saveexec_b64 s[88:89], s[20:21]
	s_xor_b64 s[20:21], exec, s[88:89]
	s_cbranch_execz .LBB2_2835
; %bb.2637:                             ;   in Loop: Header=BB2_2298 Depth=2
	v_cmp_eq_u16_sdwa s[90:91], v10, s53 src0_sel:BYTE_0 src1_sel:DWORD
	s_mov_b64 s[18:19], -1
	s_and_saveexec_b64 s[88:89], s[90:91]
; %bb.2638:                             ;   in Loop: Header=BB2_2298 Depth=2
	s_xor_b64 s[18:19], exec, -1
; %bb.2639:                             ;   in Loop: Header=BB2_2298 Depth=2
	s_or_b64 exec, exec, s[88:89]
	s_and_b64 s[18:19], s[18:19], exec
	s_or_saveexec_b64 s[20:21], s[20:21]
	v_bfrev_b32_e32 v11, 1
	s_xor_b64 exec, exec, s[20:21]
	s_cbranch_execnz .LBB2_2836
.LBB2_2640:                             ;   in Loop: Header=BB2_2298 Depth=2
	s_or_b64 exec, exec, s[20:21]
	s_and_saveexec_b64 s[88:89], s[18:19]
	s_cbranch_execz .LBB2_2642
.LBB2_2641:                             ;   in Loop: Header=BB2_2298 Depth=2
	v_and_b32_e32 v2, 3, v10
	v_and_b32_e32 v14, 0x7c0000, v12
	v_cmp_eq_u32_e32 vcc, s55, v14
	v_ffbh_u32_e32 v14, v2
	v_min_u32_e32 v20, 32, v14
	v_bfe_u32 v11, v12, 18, 5
	v_subrev_u32_e32 v14, 29, v20
	v_lshlrev_b64 v[14:15], v14, v[10:11]
	v_cmp_eq_u32_e64 s[18:19], 0, v11
	v_sub_u32_e32 v15, 30, v20
	v_cndmask_b32_e64 v11, v11, v15, s[18:19]
	v_lshlrev_b32_e32 v15, 24, v10
	v_and_b32_e32 v14, 3, v14
	v_and_b32_e32 v15, 0x80000000, v15
	v_cndmask_b32_e64 v14, v2, v14, s[18:19]
	v_lshl_add_u32 v11, v11, 23, v15
	v_cmp_gt_i16_sdwa s[20:21], sext(v10), v56 src0_sel:BYTE_0 src1_sel:DWORD
	v_lshl_or_b32 v11, v14, 21, v11
	v_cmp_eq_u32_e64 s[18:19], 0, v2
	v_cndmask_b32_e64 v2, v57, v58, s[20:21]
	v_add_u32_e32 v11, 0x38000000, v11
	v_cndmask_b32_e64 v2, v59, v2, s[18:19]
	v_cndmask_b32_e32 v11, v11, v2, vcc
.LBB2_2642:                             ;   in Loop: Header=BB2_2298 Depth=2
	s_or_b64 exec, exec, s[88:89]
	v_mul_f32_e32 v10, v0, v11
	v_and_b32_e32 v14, 0x7f800000, v10
	v_mov_b32_e32 v15, v3
	v_cmp_ne_u64_e32 vcc, s[58:59], v[14:15]
	v_and_b32_e32 v2, 0x7fffff, v10
                                        ; implicit-def: $vgpr0
	s_and_saveexec_b64 s[18:19], vcc
	s_xor_b64 s[20:21], exec, s[18:19]
	s_cbranch_execz .LBB2_2656
; %bb.2643:                             ;   in Loop: Header=BB2_2298 Depth=2
	v_and_b32_e32 v14, 0x7fffffff, v10
	v_mov_b32_e32 v15, v3
	v_cmp_gt_u64_e32 vcc, s[60:61], v[14:15]
	v_and_b32_sdwa v24, v10, s53 dst_sel:DWORD dst_unused:UNUSED_PAD src0_sel:BYTE_3 src1_sel:DWORD
                                        ; implicit-def: $vgpr0
	s_and_saveexec_b64 s[18:19], vcc
	s_xor_b64 s[88:89], exec, s[18:19]
	s_cbranch_execz .LBB2_2653
; %bb.2644:                             ;   in Loop: Header=BB2_2298 Depth=2
	v_mov_b32_e32 v0, 0
	v_cmp_ne_u32_e32 vcc, 0, v10
	s_and_saveexec_b64 s[90:91], vcc
	s_cbranch_execz .LBB2_2652
; %bb.2645:                             ;   in Loop: Header=BB2_2298 Depth=2
	v_bfe_u32 v0, v10, 23, 8
	v_cmp_gt_u32_e64 s[18:19], s54, v0
	v_sub_u32_e32 v10, 0x71, v0
	v_cmp_eq_u32_e32 vcc, 0, v0
	v_cndmask_b32_e64 v10, 0, v10, s[18:19]
	v_mov_b32_e32 v14, 0x70
	v_cndmask_b32_e32 v20, v10, v14, vcc
	v_or_b32_e32 v11, 0x800000, v2
	v_add_u32_e32 v10, 21, v20
	v_cndmask_b32_e32 v2, v11, v2, vcc
	v_lshlrev_b64 v[10:11], v10, -1
	v_add_u32_e32 v14, 20, v20
	v_lshlrev_b64 v[14:15], v14, 1
	v_bfi_b32 v11, v11, 0, 0
	v_bfi_b32 v10, v10, 0, v2
	v_cmp_eq_u64_e64 s[18:19], v[10:11], v[14:15]
	v_lshrrev_b64 v[10:11], v20, v[2:3]
	v_mov_b32_e32 v15, v11
	v_mov_b32_e32 v14, v10
	s_and_saveexec_b64 s[92:93], s[18:19]
; %bb.2646:                             ;   in Loop: Header=BB2_2298 Depth=2
	v_bfe_u32 v2, v10, 21, 1
	v_add_co_u32_e64 v2, s[18:19], v10, v2
	v_add_co_u32_e64 v14, s[18:19], -1, v2
; %bb.2647:                             ;   in Loop: Header=BB2_2298 Depth=2
	s_or_b64 exec, exec, s[92:93]
	v_add_u32_e32 v0, 0xffffff81, v0
	v_cndmask_b32_e32 v0, v0, v61, vcc
	v_lshrrev_b32_e32 v2, 23, v10
	v_add3_u32 v20, v20, v0, v2
	v_add_u32_e32 v15, 14, v20
	v_and_b32_e32 v0, 0x1fffff, v14
	v_add_u32_e32 v2, v0, v10
	v_cmp_ne_u32_e32 vcc, 0, v15
                                        ; implicit-def: $vgpr10_vgpr11
                                        ; implicit-def: $vgpr0
	s_and_saveexec_b64 s[18:19], vcc
	s_xor_b64 s[18:19], exec, s[18:19]
; %bb.2648:                             ;   in Loop: Header=BB2_2298 Depth=2
	v_cmp_lt_u64_e32 vcc, s[62:63], v[2:3]
	v_add_u32_e32 v0, 15, v20
	v_cndmask_b32_e64 v10, 0, 1, vcc
	v_cndmask_b32_e32 v0, v15, v0, vcc
	v_lshrrev_b64 v[10:11], v10, v[2:3]
; %bb.2649:                             ;   in Loop: Header=BB2_2298 Depth=2
	s_andn2_saveexec_b64 s[18:19], s[18:19]
; %bb.2650:                             ;   in Loop: Header=BB2_2298 Depth=2
	v_mov_b32_e32 v11, v3
	v_bfe_u32 v0, v2, 23, 1
	v_mov_b32_e32 v10, v2
; %bb.2651:                             ;   in Loop: Header=BB2_2298 Depth=2
	s_or_b64 exec, exec, s[18:19]
	v_lshrrev_b64 v[10:11], 21, v[10:11]
	v_cmp_gt_i32_e32 vcc, 32, v0
	v_cndmask_b32_e32 v11, 0, v11, vcc
	v_cndmask_b32_e32 v10, 3, v10, vcc
	v_cmp_eq_u32_e32 vcc, 0, v0
	v_min_i32_e32 v0, 31, v0
	v_cmp_eq_u64_e64 s[18:19], 0, v[10:11]
	v_lshlrev_b32_e32 v0, 2, v0
	v_and_b32_e32 v0, 0xfc, v0
	v_and_or_b32 v0, v10, 3, v0
	s_and_b64 s[18:19], vcc, s[18:19]
	v_cndmask_b32_e64 v0, v0, 0, s[18:19]
	v_or_b32_e32 v0, v0, v24
.LBB2_2652:                             ;   in Loop: Header=BB2_2298 Depth=2
	s_or_b64 exec, exec, s[90:91]
                                        ; implicit-def: $vgpr24
.LBB2_2653:                             ;   in Loop: Header=BB2_2298 Depth=2
	s_andn2_saveexec_b64 s[18:19], s[88:89]
; %bb.2654:                             ;   in Loop: Header=BB2_2298 Depth=2
	v_or_b32_e32 v0, 0x7b, v24
; %bb.2655:                             ;   in Loop: Header=BB2_2298 Depth=2
	s_or_b64 exec, exec, s[18:19]
                                        ; implicit-def: $vgpr10
.LBB2_2656:                             ;   in Loop: Header=BB2_2298 Depth=2
	s_andn2_saveexec_b64 s[18:19], s[20:21]
	s_cbranch_execz .LBB2_2662
; %bb.2657:                             ;   in Loop: Header=BB2_2298 Depth=2
	v_cmp_ne_u64_e32 vcc, 0, v[2:3]
                                        ; implicit-def: $vgpr0
	s_and_saveexec_b64 s[20:21], vcc
	s_xor_b64 s[20:21], exec, s[20:21]
; %bb.2658:                             ;   in Loop: Header=BB2_2298 Depth=2
	v_or_b32_sdwa v0, v10, s52 dst_sel:DWORD dst_unused:UNUSED_PAD src0_sel:BYTE_3 src1_sel:DWORD
                                        ; implicit-def: $vgpr10
; %bb.2659:                             ;   in Loop: Header=BB2_2298 Depth=2
	s_andn2_saveexec_b64 s[20:21], s[20:21]
; %bb.2660:                             ;   in Loop: Header=BB2_2298 Depth=2
	v_cmp_lt_i32_e32 vcc, -1, v10
	v_cndmask_b32_e32 v0, v31, v18, vcc
; %bb.2661:                             ;   in Loop: Header=BB2_2298 Depth=2
	s_or_b64 exec, exec, s[20:21]
.LBB2_2662:                             ;   in Loop: Header=BB2_2298 Depth=2
	s_or_b64 exec, exec, s[18:19]
	v_cmp_lt_u32_e32 vcc, s57, v16
	v_mov_b32_e32 v11, 0
	s_and_saveexec_b64 s[18:19], vcc
	s_cbranch_execz .LBB2_2670
; %bb.2663:                             ;   in Loop: Header=BB2_2298 Depth=2
	v_lshrrev_b32_e32 v10, 24, v16
	v_cmp_ne_u32_e32 vcc, s53, v10
	v_bfrev_b32_e32 v11, 1
	s_and_saveexec_b64 s[20:21], vcc
	s_cbranch_execz .LBB2_2669
; %bb.2664:                             ;   in Loop: Header=BB2_2298 Depth=2
	v_and_b32_e32 v2, 0x7c000000, v16
	v_bfe_u32 v14, v16, 24, 2
	v_cmp_ne_u32_e32 vcc, s64, v2
                                        ; implicit-def: $vgpr11
	s_and_saveexec_b64 s[88:89], vcc
	s_xor_b64 s[88:89], exec, s[88:89]
	s_cbranch_execz .LBB2_2666
; %bb.2665:                             ;   in Loop: Header=BB2_2298 Depth=2
	v_ffbh_u32_e32 v11, v14
	v_min_u32_e32 v15, 32, v11
	v_subrev_u32_e32 v11, 29, v15
	v_bfe_u32 v2, v16, 26, 5
	v_lshlrev_b64 v[10:11], v11, v[10:11]
	v_sub_u32_e32 v11, 30, v15
	v_cmp_eq_u32_e32 vcc, 0, v2
	v_and_b32_e32 v10, 3, v10
	v_cndmask_b32_e32 v2, v2, v11, vcc
	v_and_b32_e32 v11, 0x80000000, v16
	v_cndmask_b32_e32 v10, v14, v10, vcc
	v_lshl_add_u32 v2, v2, 23, v11
	v_lshl_or_b32 v2, v10, 21, v2
	v_add_u32_e32 v11, 0x38000000, v2
                                        ; implicit-def: $vgpr14
.LBB2_2666:                             ;   in Loop: Header=BB2_2298 Depth=2
	s_andn2_saveexec_b64 s[88:89], s[88:89]
; %bb.2667:                             ;   in Loop: Header=BB2_2298 Depth=2
	v_cmp_lt_i32_e32 vcc, -1, v16
	v_cndmask_b32_e32 v2, v57, v58, vcc
	v_cmp_eq_u32_e32 vcc, 0, v14
	v_cndmask_b32_e32 v11, v59, v2, vcc
; %bb.2668:                             ;   in Loop: Header=BB2_2298 Depth=2
	s_or_b64 exec, exec, s[88:89]
.LBB2_2669:                             ;   in Loop: Header=BB2_2298 Depth=2
	s_or_b64 exec, exec, s[20:21]
.LBB2_2670:                             ;   in Loop: Header=BB2_2298 Depth=2
	s_or_b64 exec, exec, s[18:19]
	v_bfe_u32 v10, v12, 24, 2
	v_and_b32_e32 v14, 0x7c000000, v12
	v_cmp_eq_u32_e32 vcc, s64, v14
	v_ffbh_u32_e32 v14, v10
	v_min_u32_e32 v24, 32, v14
	v_lshrrev_b32_e32 v2, 24, v12
	v_subrev_u32_e32 v14, 29, v24
	v_bfe_u32 v20, v12, 26, 5
	v_lshlrev_b64 v[14:15], v14, v[2:3]
	v_cmp_eq_u32_e64 s[18:19], 0, v20
	v_sub_u32_e32 v15, 30, v24
	v_and_b32_e32 v14, 3, v14
	v_cndmask_b32_e64 v15, v20, v15, s[18:19]
	v_and_b32_e32 v20, 0x80000000, v12
	v_cndmask_b32_e64 v14, v10, v14, s[18:19]
	v_lshl_add_u32 v15, v15, 23, v20
	v_cmp_lt_i32_e64 s[20:21], -1, v12
	v_lshl_or_b32 v14, v14, 21, v15
	v_cmp_eq_u32_e64 s[18:19], 0, v10
	v_cndmask_b32_e64 v10, v57, v58, s[20:21]
	v_add_u32_e32 v14, 0x38000000, v14
	v_cndmask_b32_e64 v10, v59, v10, s[18:19]
	v_cndmask_b32_e32 v10, v14, v10, vcc
	v_cmp_ne_u32_e32 vcc, s53, v2
	v_cndmask_b32_e32 v2, v19, v10, vcc
	v_cmp_lt_u32_e32 vcc, s57, v12
	v_cndmask_b32_e32 v2, 0, v2, vcc
	v_mul_f32_e32 v10, v2, v11
	v_and_b32_e32 v14, 0x7f800000, v10
	v_mov_b32_e32 v15, v3
	v_cmp_ne_u64_e32 vcc, s[58:59], v[14:15]
	v_and_b32_e32 v2, 0x7fffff, v10
                                        ; implicit-def: $vgpr24
	s_and_saveexec_b64 s[18:19], vcc
	s_xor_b64 s[20:21], exec, s[18:19]
	s_cbranch_execz .LBB2_2684
; %bb.2671:                             ;   in Loop: Header=BB2_2298 Depth=2
	v_and_b32_e32 v14, 0x7fffffff, v10
	v_mov_b32_e32 v15, v3
	v_cmp_gt_u64_e32 vcc, s[60:61], v[14:15]
	v_and_b32_sdwa v25, v10, s53 dst_sel:DWORD dst_unused:UNUSED_PAD src0_sel:BYTE_3 src1_sel:DWORD
                                        ; implicit-def: $vgpr24
	s_and_saveexec_b64 s[18:19], vcc
	s_xor_b64 s[88:89], exec, s[18:19]
	s_cbranch_execz .LBB2_2681
; %bb.2672:                             ;   in Loop: Header=BB2_2298 Depth=2
	v_mov_b32_e32 v24, 0
	v_cmp_ne_u32_e32 vcc, 0, v10
	s_and_saveexec_b64 s[90:91], vcc
	s_cbranch_execz .LBB2_2680
; %bb.2673:                             ;   in Loop: Header=BB2_2298 Depth=2
	v_bfe_u32 v20, v10, 23, 8
	v_cmp_gt_u32_e64 s[18:19], s54, v20
	v_sub_u32_e32 v10, 0x71, v20
	v_cmp_eq_u32_e32 vcc, 0, v20
	v_cndmask_b32_e64 v10, 0, v10, s[18:19]
	v_mov_b32_e32 v14, 0x70
	v_cndmask_b32_e32 v24, v10, v14, vcc
	v_or_b32_e32 v11, 0x800000, v2
	v_add_u32_e32 v10, 21, v24
	v_cndmask_b32_e32 v2, v11, v2, vcc
	v_lshlrev_b64 v[10:11], v10, -1
	v_add_u32_e32 v14, 20, v24
	v_lshlrev_b64 v[14:15], v14, 1
	v_bfi_b32 v11, v11, 0, 0
	v_bfi_b32 v10, v10, 0, v2
	v_cmp_eq_u64_e64 s[18:19], v[10:11], v[14:15]
	v_lshrrev_b64 v[10:11], v24, v[2:3]
	v_mov_b32_e32 v15, v11
	v_mov_b32_e32 v14, v10
	s_and_saveexec_b64 s[92:93], s[18:19]
; %bb.2674:                             ;   in Loop: Header=BB2_2298 Depth=2
	v_bfe_u32 v2, v10, 21, 1
	v_add_co_u32_e64 v2, s[18:19], v10, v2
	v_add_co_u32_e64 v14, s[18:19], -1, v2
; %bb.2675:                             ;   in Loop: Header=BB2_2298 Depth=2
	s_or_b64 exec, exec, s[92:93]
	v_add_u32_e32 v2, 0xffffff81, v20
	v_cndmask_b32_e32 v2, v2, v61, vcc
	v_lshrrev_b32_e32 v11, 23, v10
	v_add3_u32 v20, v24, v2, v11
	v_add_u32_e32 v15, 14, v20
	v_and_b32_e32 v2, 0x1fffff, v14
	v_add_u32_e32 v2, v2, v10
	v_cmp_ne_u32_e32 vcc, 0, v15
                                        ; implicit-def: $vgpr10_vgpr11
                                        ; implicit-def: $vgpr14
	s_and_saveexec_b64 s[18:19], vcc
	s_xor_b64 s[18:19], exec, s[18:19]
; %bb.2676:                             ;   in Loop: Header=BB2_2298 Depth=2
	v_cmp_lt_u64_e32 vcc, s[62:63], v[2:3]
	v_add_u32_e32 v10, 15, v20
	v_cndmask_b32_e32 v14, v15, v10, vcc
	v_cndmask_b32_e64 v10, 0, 1, vcc
	v_lshrrev_b64 v[10:11], v10, v[2:3]
; %bb.2677:                             ;   in Loop: Header=BB2_2298 Depth=2
	s_andn2_saveexec_b64 s[18:19], s[18:19]
; %bb.2678:                             ;   in Loop: Header=BB2_2298 Depth=2
	v_mov_b32_e32 v11, v3
	v_bfe_u32 v14, v2, 23, 1
	v_mov_b32_e32 v10, v2
; %bb.2679:                             ;   in Loop: Header=BB2_2298 Depth=2
	s_or_b64 exec, exec, s[18:19]
	v_lshrrev_b64 v[10:11], 21, v[10:11]
	v_cmp_gt_i32_e32 vcc, 32, v14
	v_cndmask_b32_e32 v11, 0, v11, vcc
	v_cndmask_b32_e32 v10, 3, v10, vcc
	v_min_i32_e32 v2, 31, v14
	v_cmp_eq_u64_e64 s[18:19], 0, v[10:11]
	v_lshlrev_b32_e32 v2, 2, v2
	v_cmp_eq_u32_e32 vcc, 0, v14
	v_and_b32_e32 v2, 0xfc, v2
	v_and_or_b32 v2, v10, 3, v2
	s_and_b64 s[18:19], vcc, s[18:19]
	v_cndmask_b32_e64 v2, v2, 0, s[18:19]
	v_or_b32_e32 v24, v2, v25
.LBB2_2680:                             ;   in Loop: Header=BB2_2298 Depth=2
	s_or_b64 exec, exec, s[90:91]
                                        ; implicit-def: $vgpr25
.LBB2_2681:                             ;   in Loop: Header=BB2_2298 Depth=2
	s_andn2_saveexec_b64 s[18:19], s[88:89]
; %bb.2682:                             ;   in Loop: Header=BB2_2298 Depth=2
	v_or_b32_e32 v24, 0x7b, v25
; %bb.2683:                             ;   in Loop: Header=BB2_2298 Depth=2
	s_or_b64 exec, exec, s[18:19]
                                        ; implicit-def: $vgpr10
.LBB2_2684:                             ;   in Loop: Header=BB2_2298 Depth=2
	s_andn2_saveexec_b64 s[18:19], s[20:21]
	s_cbranch_execz .LBB2_2690
; %bb.2685:                             ;   in Loop: Header=BB2_2298 Depth=2
	v_cmp_ne_u64_e32 vcc, 0, v[2:3]
                                        ; implicit-def: $vgpr24
	s_and_saveexec_b64 s[20:21], vcc
	s_xor_b64 s[20:21], exec, s[20:21]
; %bb.2686:                             ;   in Loop: Header=BB2_2298 Depth=2
	v_or_b32_sdwa v24, v10, s52 dst_sel:DWORD dst_unused:UNUSED_PAD src0_sel:BYTE_3 src1_sel:DWORD
                                        ; implicit-def: $vgpr10
; %bb.2687:                             ;   in Loop: Header=BB2_2298 Depth=2
	s_andn2_saveexec_b64 s[20:21], s[20:21]
; %bb.2688:                             ;   in Loop: Header=BB2_2298 Depth=2
	v_cmp_lt_i32_e32 vcc, -1, v10
	v_cndmask_b32_e32 v24, v31, v18, vcc
; %bb.2689:                             ;   in Loop: Header=BB2_2298 Depth=2
	s_or_b64 exec, exec, s[20:21]
.LBB2_2690:                             ;   in Loop: Header=BB2_2298 Depth=2
	s_or_b64 exec, exec, s[18:19]
	v_mov_b32_e32 v2, v17
	v_cmp_ne_u16_sdwa s[20:21], v17, v3 src0_sel:BYTE_0 src1_sel:DWORD
	v_mov_b32_e32 v14, 0
	s_and_saveexec_b64 s[18:19], s[20:21]
	s_cbranch_execz .LBB2_2698
; %bb.2691:                             ;   in Loop: Header=BB2_2298 Depth=2
	v_cmp_ne_u16_sdwa s[88:89], v17, s53 src0_sel:BYTE_0 src1_sel:DWORD
	v_bfrev_b32_e32 v14, 1
	s_and_saveexec_b64 s[20:21], s[88:89]
	s_cbranch_execz .LBB2_2697
; %bb.2692:                             ;   in Loop: Header=BB2_2298 Depth=2
	v_and_b32_e32 v11, 0x7c, v17
	v_and_b32_e32 v10, 3, v17
	v_cmp_ne_u32_e32 vcc, s50, v11
                                        ; implicit-def: $vgpr14
	s_and_saveexec_b64 s[88:89], vcc
	s_xor_b64 s[88:89], exec, s[88:89]
	s_cbranch_execz .LBB2_2694
; %bb.2693:                             ;   in Loop: Header=BB2_2298 Depth=2
	v_ffbh_u32_e32 v14, v10
	v_min_u32_e32 v20, 32, v14
	v_subrev_u32_e32 v14, 29, v20
	v_lshlrev_b64 v[14:15], v14, v[2:3]
	v_bfe_u32 v11, v17, 2, 5
	v_and_b32_e32 v14, 3, v14
	v_cmp_eq_u32_e32 vcc, 0, v11
	v_sub_u32_e32 v15, 30, v20
	v_cndmask_b32_e32 v10, v10, v14, vcc
	v_lshlrev_b32_e32 v14, 24, v17
	v_cndmask_b32_e32 v11, v11, v15, vcc
	v_and_b32_e32 v14, 0x80000000, v14
	v_lshl_add_u32 v11, v11, 23, v14
	v_lshl_or_b32 v10, v10, 21, v11
	v_add_u32_e32 v14, 0x38000000, v10
                                        ; implicit-def: $vgpr10
.LBB2_2694:                             ;   in Loop: Header=BB2_2298 Depth=2
	s_andn2_saveexec_b64 s[88:89], s[88:89]
; %bb.2695:                             ;   in Loop: Header=BB2_2298 Depth=2
	v_cmp_gt_i16_sdwa vcc, sext(v17), v56 src0_sel:BYTE_0 src1_sel:DWORD
	v_cndmask_b32_e32 v11, v57, v58, vcc
	v_cmp_eq_u32_e32 vcc, 0, v10
	v_cndmask_b32_e32 v14, v59, v11, vcc
; %bb.2696:                             ;   in Loop: Header=BB2_2298 Depth=2
	s_or_b64 exec, exec, s[88:89]
.LBB2_2697:                             ;   in Loop: Header=BB2_2298 Depth=2
	s_or_b64 exec, exec, s[20:21]
.LBB2_2698:                             ;   in Loop: Header=BB2_2298 Depth=2
	s_or_b64 exec, exec, s[18:19]
	v_cmp_gt_i16_sdwa s[20:21], v13, s52 src0_sel:BYTE_0 src1_sel:DWORD
	s_mov_b64 s[18:19], 0
	s_and_saveexec_b64 s[88:89], s[20:21]
	s_xor_b64 s[20:21], exec, s[88:89]
	s_cbranch_execz .LBB2_2702
; %bb.2699:                             ;   in Loop: Header=BB2_2298 Depth=2
	v_cmp_eq_u16_sdwa s[90:91], v13, s53 src0_sel:BYTE_0 src1_sel:DWORD
	s_mov_b64 s[18:19], -1
	s_and_saveexec_b64 s[88:89], s[90:91]
; %bb.2700:                             ;   in Loop: Header=BB2_2298 Depth=2
	s_xor_b64 s[18:19], exec, -1
; %bb.2701:                             ;   in Loop: Header=BB2_2298 Depth=2
	s_or_b64 exec, exec, s[88:89]
	s_and_b64 s[18:19], s[18:19], exec
.LBB2_2702:                             ;   in Loop: Header=BB2_2298 Depth=2
	s_or_saveexec_b64 s[20:21], s[20:21]
	v_bfrev_b32_e32 v15, 1
	s_xor_b64 exec, exec, s[20:21]
; %bb.2703:                             ;   in Loop: Header=BB2_2298 Depth=2
	v_cmp_ne_u16_sdwa s[88:89], v13, v3 src0_sel:BYTE_0 src1_sel:DWORD
	s_andn2_b64 s[18:19], s[18:19], exec
	s_and_b64 s[88:89], s[88:89], exec
	v_mov_b32_e32 v15, 0
	s_or_b64 s[18:19], s[18:19], s[88:89]
; %bb.2704:                             ;   in Loop: Header=BB2_2298 Depth=2
	s_or_b64 exec, exec, s[20:21]
	v_mov_b32_e32 v10, v13
	v_mov_b32_e32 v11, v3
	s_and_saveexec_b64 s[88:89], s[18:19]
	s_cbranch_execz .LBB2_2706
; %bb.2705:                             ;   in Loop: Header=BB2_2298 Depth=2
	v_and_b32_e32 v15, 3, v13
	v_and_b32_e32 v25, 0x7c, v13
	v_cmp_eq_u32_e32 vcc, s50, v25
	v_ffbh_u32_e32 v25, v15
	v_min_u32_e32 v25, 32, v25
	v_subrev_u32_e32 v34, 29, v25
	v_lshlrev_b64 v[34:35], v34, v[10:11]
	v_bfe_u32 v20, v13, 2, 5
	v_cmp_eq_u32_e64 s[18:19], 0, v20
	v_sub_u32_e32 v11, 30, v25
	v_and_b32_e32 v25, 3, v34
	v_cndmask_b32_e64 v11, v20, v11, s[18:19]
	v_cndmask_b32_e64 v20, v15, v25, s[18:19]
	v_lshlrev_b32_e32 v25, 24, v13
	v_and_b32_e32 v25, 0x80000000, v25
	v_lshl_add_u32 v11, v11, 23, v25
	v_cmp_gt_i16_sdwa s[20:21], sext(v13), v56 src0_sel:BYTE_0 src1_sel:DWORD
	v_lshl_or_b32 v11, v20, 21, v11
	v_cmp_eq_u32_e64 s[18:19], 0, v15
	v_cndmask_b32_e64 v15, v57, v58, s[20:21]
	v_add_u32_e32 v11, 0x38000000, v11
	v_cndmask_b32_e64 v15, v59, v15, s[18:19]
	v_cndmask_b32_e32 v15, v11, v15, vcc
.LBB2_2706:                             ;   in Loop: Header=BB2_2298 Depth=2
	s_or_b64 exec, exec, s[88:89]
	v_mul_f32_e32 v41, v14, v15
	v_and_b32_e32 v34, 0x7f800000, v41
	v_mov_b32_e32 v35, v3
	v_cmp_ne_u64_e32 vcc, s[58:59], v[34:35]
	v_and_b32_e32 v14, 0x7fffff, v41
	v_mov_b32_e32 v15, v3
                                        ; implicit-def: $vgpr25
	s_and_saveexec_b64 s[18:19], vcc
	s_xor_b64 s[20:21], exec, s[18:19]
	s_cbranch_execz .LBB2_2720
; %bb.2707:                             ;   in Loop: Header=BB2_2298 Depth=2
	v_and_b32_e32 v34, 0x7fffffff, v41
	v_mov_b32_e32 v35, v3
	v_cmp_gt_u64_e32 vcc, s[60:61], v[34:35]
	v_and_b32_sdwa v11, v41, s53 dst_sel:DWORD dst_unused:UNUSED_PAD src0_sel:BYTE_3 src1_sel:DWORD
                                        ; implicit-def: $vgpr25
	s_and_saveexec_b64 s[18:19], vcc
	s_xor_b64 s[88:89], exec, s[18:19]
	s_cbranch_execz .LBB2_2717
; %bb.2708:                             ;   in Loop: Header=BB2_2298 Depth=2
	v_mov_b32_e32 v25, 0
	v_cmp_ne_u32_e32 vcc, 0, v41
	s_and_saveexec_b64 s[90:91], vcc
	s_cbranch_execz .LBB2_2716
; %bb.2709:                             ;   in Loop: Header=BB2_2298 Depth=2
	v_bfe_u32 v20, v41, 23, 8
	v_cmp_gt_u32_e64 s[18:19], s54, v20
	v_sub_u32_e32 v25, 0x71, v20
	v_cmp_eq_u32_e32 vcc, 0, v20
	v_cndmask_b32_e64 v25, 0, v25, s[18:19]
	v_mov_b32_e32 v35, 0x70
	v_or_b32_e32 v34, 0x800000, v14
	v_cndmask_b32_e32 v25, v25, v35, vcc
	v_cndmask_b32_e32 v14, v34, v14, vcc
	v_add_u32_e32 v34, 21, v25
	v_lshlrev_b64 v[34:35], v34, -1
	v_add_u32_e32 v41, 20, v25
	v_bfi_b32 v34, v34, 0, v14
	v_lshlrev_b64 v[41:42], v41, 1
	v_lshrrev_b64 v[14:15], v25, v[14:15]
	v_bfi_b32 v35, v35, 0, 0
	v_cmp_eq_u64_e64 s[18:19], v[34:35], v[41:42]
	v_mov_b32_e32 v42, v15
	v_mov_b32_e32 v41, v14
	s_and_saveexec_b64 s[92:93], s[18:19]
; %bb.2710:                             ;   in Loop: Header=BB2_2298 Depth=2
	v_bfe_u32 v15, v14, 21, 1
	v_add_co_u32_e64 v15, s[18:19], v14, v15
	v_add_co_u32_e64 v41, s[18:19], -1, v15
; %bb.2711:                             ;   in Loop: Header=BB2_2298 Depth=2
	s_or_b64 exec, exec, s[92:93]
	v_add_u32_e32 v15, 0xffffff81, v20
	v_cndmask_b32_e32 v15, v15, v61, vcc
	v_lshrrev_b32_e32 v20, 23, v14
	v_add3_u32 v42, v25, v15, v20
	v_add_u32_e32 v25, 14, v42
	v_and_b32_e32 v15, 0x1fffff, v41
	v_add_u32_e32 v14, v15, v14
	v_mov_b32_e32 v15, v3
	v_cmp_ne_u32_e32 vcc, 0, v25
                                        ; implicit-def: $vgpr20
	s_and_saveexec_b64 s[18:19], vcc
	s_xor_b64 s[18:19], exec, s[18:19]
; %bb.2712:                             ;   in Loop: Header=BB2_2298 Depth=2
	v_cmp_lt_u64_e32 vcc, s[62:63], v[14:15]
	v_add_u32_e32 v20, 15, v42
	v_cndmask_b32_e32 v20, v25, v20, vcc
	v_cndmask_b32_e64 v25, 0, 1, vcc
	v_lshrrev_b64 v[14:15], v25, v[14:15]
; %bb.2713:                             ;   in Loop: Header=BB2_2298 Depth=2
	s_andn2_saveexec_b64 s[18:19], s[18:19]
; %bb.2714:                             ;   in Loop: Header=BB2_2298 Depth=2
	v_bfe_u32 v20, v14, 23, 1
; %bb.2715:                             ;   in Loop: Header=BB2_2298 Depth=2
	s_or_b64 exec, exec, s[18:19]
	v_lshrrev_b64 v[14:15], 21, v[14:15]
	v_cmp_gt_i32_e32 vcc, 32, v20
	v_cndmask_b32_e32 v15, 0, v15, vcc
	v_cndmask_b32_e32 v14, 3, v14, vcc
	v_cmp_eq_u64_e64 s[18:19], 0, v[14:15]
	v_min_i32_e32 v15, 31, v20
	v_lshlrev_b32_e32 v15, 2, v15
	v_cmp_eq_u32_e32 vcc, 0, v20
	v_and_b32_e32 v15, 0xfc, v15
	v_and_or_b32 v14, v14, 3, v15
	s_and_b64 s[18:19], vcc, s[18:19]
	v_cndmask_b32_e64 v14, v14, 0, s[18:19]
	v_or_b32_e32 v25, v14, v11
.LBB2_2716:                             ;   in Loop: Header=BB2_2298 Depth=2
	s_or_b64 exec, exec, s[90:91]
                                        ; implicit-def: $vgpr11
.LBB2_2717:                             ;   in Loop: Header=BB2_2298 Depth=2
	s_andn2_saveexec_b64 s[18:19], s[88:89]
; %bb.2718:                             ;   in Loop: Header=BB2_2298 Depth=2
	v_or_b32_e32 v25, 0x7b, v11
; %bb.2719:                             ;   in Loop: Header=BB2_2298 Depth=2
	s_or_b64 exec, exec, s[18:19]
                                        ; implicit-def: $vgpr41
                                        ; implicit-def: $vgpr14_vgpr15
.LBB2_2720:                             ;   in Loop: Header=BB2_2298 Depth=2
	s_andn2_saveexec_b64 s[18:19], s[20:21]
	s_cbranch_execz .LBB2_2726
; %bb.2721:                             ;   in Loop: Header=BB2_2298 Depth=2
	v_cmp_ne_u64_e32 vcc, 0, v[14:15]
                                        ; implicit-def: $vgpr25
	s_and_saveexec_b64 s[20:21], vcc
	s_xor_b64 s[20:21], exec, s[20:21]
; %bb.2722:                             ;   in Loop: Header=BB2_2298 Depth=2
	v_or_b32_sdwa v25, v41, s52 dst_sel:DWORD dst_unused:UNUSED_PAD src0_sel:BYTE_3 src1_sel:DWORD
                                        ; implicit-def: $vgpr41
; %bb.2723:                             ;   in Loop: Header=BB2_2298 Depth=2
	s_andn2_saveexec_b64 s[20:21], s[20:21]
; %bb.2724:                             ;   in Loop: Header=BB2_2298 Depth=2
	v_cmp_lt_i32_e32 vcc, -1, v41
	v_cndmask_b32_e32 v25, v31, v18, vcc
; %bb.2725:                             ;   in Loop: Header=BB2_2298 Depth=2
	s_or_b64 exec, exec, s[20:21]
.LBB2_2726:                             ;   in Loop: Header=BB2_2298 Depth=2
	s_or_b64 exec, exec, s[18:19]
	v_lshrrev_b16_e32 v14, 8, v2
	v_cmp_ne_u16_e32 vcc, 0, v14
	v_mov_b32_e32 v11, 0
	s_and_saveexec_b64 s[18:19], vcc
	s_cbranch_execz .LBB2_2734
; %bb.2727:                             ;   in Loop: Header=BB2_2298 Depth=2
	v_cmp_ne_u16_e32 vcc, s53, v14
	v_bfrev_b32_e32 v11, 1
	s_and_saveexec_b64 s[20:21], vcc
	s_cbranch_execz .LBB2_2733
; %bb.2728:                             ;   in Loop: Header=BB2_2298 Depth=2
	v_and_b32_e32 v11, 0x7c, v14
	v_and_b32_e32 v20, 3, v14
	v_cmp_ne_u32_e32 vcc, s50, v11
                                        ; implicit-def: $vgpr11
	s_and_saveexec_b64 s[88:89], vcc
	s_xor_b64 s[88:89], exec, s[88:89]
	s_cbranch_execz .LBB2_2730
; %bb.2729:                             ;   in Loop: Header=BB2_2298 Depth=2
	v_ffbh_u32_e32 v34, v20
	v_min_u32_e32 v34, 32, v34
	v_mov_b32_e32 v15, v3
	v_subrev_u32_e32 v35, 29, v34
	v_bfe_u32 v11, v14, 2, 5
	v_lshlrev_b64 v[14:15], v35, v[14:15]
	v_sub_u32_e32 v15, 30, v34
	v_cmp_eq_u32_e32 vcc, 0, v11
	v_lshlrev_b32_e32 v2, 16, v2
	v_and_b32_e32 v14, 3, v14
	v_cndmask_b32_e32 v11, v11, v15, vcc
	v_and_b32_e32 v2, 0x80000000, v2
	v_cndmask_b32_e32 v14, v20, v14, vcc
	v_lshl_add_u32 v2, v11, 23, v2
	v_lshl_or_b32 v2, v14, 21, v2
	v_add_u32_e32 v11, 0x38000000, v2
                                        ; implicit-def: $vgpr20
.LBB2_2730:                             ;   in Loop: Header=BB2_2298 Depth=2
	s_andn2_saveexec_b64 s[88:89], s[88:89]
; %bb.2731:                             ;   in Loop: Header=BB2_2298 Depth=2
	v_cmp_lt_i16_e32 vcc, -1, v2
	v_cndmask_b32_e32 v2, v57, v58, vcc
	v_cmp_eq_u32_e32 vcc, 0, v20
	v_cndmask_b32_e32 v11, v59, v2, vcc
; %bb.2732:                             ;   in Loop: Header=BB2_2298 Depth=2
	s_or_b64 exec, exec, s[88:89]
.LBB2_2733:                             ;   in Loop: Header=BB2_2298 Depth=2
	s_or_b64 exec, exec, s[20:21]
.LBB2_2734:                             ;   in Loop: Header=BB2_2298 Depth=2
	s_or_b64 exec, exec, s[18:19]
	v_lshrrev_b16_e32 v2, 8, v10
	v_cmp_lt_i16_e32 vcc, s52, v2
	s_mov_b64 s[18:19], 0
	s_and_saveexec_b64 s[20:21], vcc
	s_xor_b64 s[20:21], exec, s[20:21]
	s_cbranch_execz .LBB2_2837
; %bb.2735:                             ;   in Loop: Header=BB2_2298 Depth=2
	v_cmp_eq_u16_e32 vcc, s53, v2
	s_mov_b64 s[18:19], -1
	s_and_saveexec_b64 s[88:89], vcc
; %bb.2736:                             ;   in Loop: Header=BB2_2298 Depth=2
	s_xor_b64 s[18:19], exec, -1
; %bb.2737:                             ;   in Loop: Header=BB2_2298 Depth=2
	s_or_b64 exec, exec, s[88:89]
	s_and_b64 s[18:19], s[18:19], exec
	s_or_saveexec_b64 s[20:21], s[20:21]
	v_bfrev_b32_e32 v14, 1
	s_xor_b64 exec, exec, s[20:21]
	s_cbranch_execnz .LBB2_2838
.LBB2_2738:                             ;   in Loop: Header=BB2_2298 Depth=2
	s_or_b64 exec, exec, s[20:21]
	s_and_saveexec_b64 s[88:89], s[18:19]
	s_cbranch_execz .LBB2_2740
.LBB2_2739:                             ;   in Loop: Header=BB2_2298 Depth=2
	v_and_b32_e32 v20, 3, v2
	v_and_b32_e32 v14, 0x7c, v2
	v_cmp_eq_u32_e32 vcc, s50, v14
	v_ffbh_u32_e32 v14, v20
	v_min_u32_e32 v35, 32, v14
	v_subrev_u32_e32 v14, 29, v35
	v_bfe_u32 v34, v2, 2, 5
	v_lshlrev_b64 v[14:15], v14, v[2:3]
	v_cmp_eq_u32_e64 s[18:19], 0, v34
	v_sub_u32_e32 v15, 30, v35
	v_lshlrev_b32_e32 v2, 24, v2
	v_and_b32_e32 v14, 3, v14
	v_cndmask_b32_e64 v15, v34, v15, s[18:19]
	v_and_b32_e32 v2, 0x80000000, v2
	v_cndmask_b32_e64 v14, v20, v14, s[18:19]
	v_lshl_add_u32 v2, v15, 23, v2
	v_cmp_lt_i16_e64 s[20:21], -1, v10
	v_lshl_or_b32 v2, v14, 21, v2
	v_cmp_eq_u32_e64 s[18:19], 0, v20
	v_cndmask_b32_e64 v10, v57, v58, s[20:21]
	v_add_u32_e32 v2, 0x38000000, v2
	v_cndmask_b32_e64 v10, v59, v10, s[18:19]
	v_cndmask_b32_e32 v14, v2, v10, vcc
.LBB2_2740:                             ;   in Loop: Header=BB2_2298 Depth=2
	s_or_b64 exec, exec, s[88:89]
	v_mul_f32_e32 v10, v11, v14
	v_and_b32_e32 v14, 0x7f800000, v10
	v_mov_b32_e32 v15, v3
	v_cmp_ne_u64_e32 vcc, s[58:59], v[14:15]
	v_and_b32_e32 v2, 0x7fffff, v10
                                        ; implicit-def: $vgpr41
	s_and_saveexec_b64 s[18:19], vcc
	s_xor_b64 s[20:21], exec, s[18:19]
	s_cbranch_execz .LBB2_2754
; %bb.2741:                             ;   in Loop: Header=BB2_2298 Depth=2
	v_and_b32_e32 v14, 0x7fffffff, v10
	v_mov_b32_e32 v15, v3
	v_cmp_gt_u64_e32 vcc, s[60:61], v[14:15]
	v_and_b32_sdwa v42, v10, s53 dst_sel:DWORD dst_unused:UNUSED_PAD src0_sel:BYTE_3 src1_sel:DWORD
                                        ; implicit-def: $vgpr41
	s_and_saveexec_b64 s[18:19], vcc
	s_xor_b64 s[88:89], exec, s[18:19]
	s_cbranch_execz .LBB2_2751
; %bb.2742:                             ;   in Loop: Header=BB2_2298 Depth=2
	v_mov_b32_e32 v41, 0
	v_cmp_ne_u32_e32 vcc, 0, v10
	s_and_saveexec_b64 s[90:91], vcc
	s_cbranch_execz .LBB2_2750
; %bb.2743:                             ;   in Loop: Header=BB2_2298 Depth=2
	v_bfe_u32 v20, v10, 23, 8
	v_cmp_gt_u32_e64 s[18:19], s54, v20
	v_sub_u32_e32 v10, 0x71, v20
	v_cmp_eq_u32_e32 vcc, 0, v20
	v_cndmask_b32_e64 v10, 0, v10, s[18:19]
	v_mov_b32_e32 v14, 0x70
	v_cndmask_b32_e32 v41, v10, v14, vcc
	v_or_b32_e32 v11, 0x800000, v2
	v_add_u32_e32 v10, 21, v41
	v_cndmask_b32_e32 v2, v11, v2, vcc
	v_lshlrev_b64 v[10:11], v10, -1
	v_add_u32_e32 v14, 20, v41
	v_lshlrev_b64 v[14:15], v14, 1
	v_bfi_b32 v11, v11, 0, 0
	v_bfi_b32 v10, v10, 0, v2
	v_cmp_eq_u64_e64 s[18:19], v[10:11], v[14:15]
	v_lshrrev_b64 v[10:11], v41, v[2:3]
	v_mov_b32_e32 v15, v11
	v_mov_b32_e32 v14, v10
	s_and_saveexec_b64 s[92:93], s[18:19]
; %bb.2744:                             ;   in Loop: Header=BB2_2298 Depth=2
	v_bfe_u32 v2, v10, 21, 1
	v_add_co_u32_e64 v2, s[18:19], v10, v2
	v_add_co_u32_e64 v14, s[18:19], -1, v2
; %bb.2745:                             ;   in Loop: Header=BB2_2298 Depth=2
	s_or_b64 exec, exec, s[92:93]
	v_add_u32_e32 v2, 0xffffff81, v20
	v_cndmask_b32_e32 v2, v2, v61, vcc
	v_lshrrev_b32_e32 v11, 23, v10
	v_add3_u32 v20, v41, v2, v11
	v_add_u32_e32 v15, 14, v20
	v_and_b32_e32 v2, 0x1fffff, v14
	v_add_u32_e32 v2, v2, v10
	v_cmp_ne_u32_e32 vcc, 0, v15
                                        ; implicit-def: $vgpr10_vgpr11
                                        ; implicit-def: $vgpr14
	s_and_saveexec_b64 s[18:19], vcc
	s_xor_b64 s[18:19], exec, s[18:19]
; %bb.2746:                             ;   in Loop: Header=BB2_2298 Depth=2
	v_cmp_lt_u64_e32 vcc, s[62:63], v[2:3]
	v_add_u32_e32 v10, 15, v20
	v_cndmask_b32_e32 v14, v15, v10, vcc
	v_cndmask_b32_e64 v10, 0, 1, vcc
	v_lshrrev_b64 v[10:11], v10, v[2:3]
; %bb.2747:                             ;   in Loop: Header=BB2_2298 Depth=2
	s_andn2_saveexec_b64 s[18:19], s[18:19]
; %bb.2748:                             ;   in Loop: Header=BB2_2298 Depth=2
	v_mov_b32_e32 v11, v3
	v_bfe_u32 v14, v2, 23, 1
	v_mov_b32_e32 v10, v2
; %bb.2749:                             ;   in Loop: Header=BB2_2298 Depth=2
	s_or_b64 exec, exec, s[18:19]
	v_lshrrev_b64 v[10:11], 21, v[10:11]
	v_cmp_gt_i32_e32 vcc, 32, v14
	v_cndmask_b32_e32 v11, 0, v11, vcc
	v_cndmask_b32_e32 v10, 3, v10, vcc
	v_min_i32_e32 v2, 31, v14
	v_cmp_eq_u64_e64 s[18:19], 0, v[10:11]
	v_lshlrev_b32_e32 v2, 2, v2
	v_cmp_eq_u32_e32 vcc, 0, v14
	v_and_b32_e32 v2, 0xfc, v2
	v_and_or_b32 v2, v10, 3, v2
	s_and_b64 s[18:19], vcc, s[18:19]
	v_cndmask_b32_e64 v2, v2, 0, s[18:19]
	v_or_b32_e32 v41, v2, v42
.LBB2_2750:                             ;   in Loop: Header=BB2_2298 Depth=2
	s_or_b64 exec, exec, s[90:91]
                                        ; implicit-def: $vgpr42
.LBB2_2751:                             ;   in Loop: Header=BB2_2298 Depth=2
	s_andn2_saveexec_b64 s[18:19], s[88:89]
; %bb.2752:                             ;   in Loop: Header=BB2_2298 Depth=2
	v_or_b32_e32 v41, 0x7b, v42
; %bb.2753:                             ;   in Loop: Header=BB2_2298 Depth=2
	s_or_b64 exec, exec, s[18:19]
                                        ; implicit-def: $vgpr10
.LBB2_2754:                             ;   in Loop: Header=BB2_2298 Depth=2
	s_andn2_saveexec_b64 s[18:19], s[20:21]
	s_cbranch_execz .LBB2_2760
; %bb.2755:                             ;   in Loop: Header=BB2_2298 Depth=2
	v_cmp_ne_u64_e32 vcc, 0, v[2:3]
                                        ; implicit-def: $vgpr41
	s_and_saveexec_b64 s[20:21], vcc
	s_xor_b64 s[20:21], exec, s[20:21]
; %bb.2756:                             ;   in Loop: Header=BB2_2298 Depth=2
	v_or_b32_sdwa v41, v10, s52 dst_sel:DWORD dst_unused:UNUSED_PAD src0_sel:BYTE_3 src1_sel:DWORD
                                        ; implicit-def: $vgpr10
; %bb.2757:                             ;   in Loop: Header=BB2_2298 Depth=2
	s_andn2_saveexec_b64 s[20:21], s[20:21]
; %bb.2758:                             ;   in Loop: Header=BB2_2298 Depth=2
	v_cmp_lt_i32_e32 vcc, -1, v10
	v_cndmask_b32_e32 v41, v31, v18, vcc
; %bb.2759:                             ;   in Loop: Header=BB2_2298 Depth=2
	s_or_b64 exec, exec, s[20:21]
.LBB2_2760:                             ;   in Loop: Header=BB2_2298 Depth=2
	s_or_b64 exec, exec, s[18:19]
	v_lshrrev_b32_e32 v10, 16, v17
	v_cmp_ne_u16_sdwa s[20:21], v10, v3 src0_sel:BYTE_0 src1_sel:DWORD
	v_mov_b32_e32 v11, 0
	s_and_saveexec_b64 s[18:19], s[20:21]
	s_cbranch_execz .LBB2_2768
; %bb.2761:                             ;   in Loop: Header=BB2_2298 Depth=2
	v_cmp_ne_u16_sdwa s[88:89], v10, s53 src0_sel:BYTE_0 src1_sel:DWORD
	v_bfrev_b32_e32 v11, 1
	s_and_saveexec_b64 s[20:21], s[88:89]
	s_cbranch_execz .LBB2_2767
; %bb.2762:                             ;   in Loop: Header=BB2_2298 Depth=2
	v_and_b32_e32 v2, 0x7c0000, v17
	v_bfe_u32 v14, v17, 16, 2
	v_cmp_ne_u32_e32 vcc, s55, v2
                                        ; implicit-def: $vgpr11
	s_and_saveexec_b64 s[88:89], vcc
	s_xor_b64 s[88:89], exec, s[88:89]
	s_cbranch_execz .LBB2_2764
; %bb.2763:                             ;   in Loop: Header=BB2_2298 Depth=2
	v_ffbh_u32_e32 v11, v14
	v_min_u32_e32 v15, 32, v11
	v_subrev_u32_e32 v11, 29, v15
	v_bfe_u32 v2, v17, 18, 5
	v_lshlrev_b64 v[10:11], v11, v[10:11]
	v_sub_u32_e32 v11, 30, v15
	v_cmp_eq_u32_e32 vcc, 0, v2
	v_cndmask_b32_e32 v2, v2, v11, vcc
	v_lshlrev_b32_e32 v11, 8, v17
	v_and_b32_e32 v10, 3, v10
	v_and_b32_e32 v11, 0x80000000, v11
	v_cndmask_b32_e32 v10, v14, v10, vcc
	v_lshl_add_u32 v2, v2, 23, v11
	v_lshl_or_b32 v2, v10, 21, v2
	v_add_u32_e32 v11, 0x38000000, v2
                                        ; implicit-def: $vgpr14
                                        ; implicit-def: $vgpr10
.LBB2_2764:                             ;   in Loop: Header=BB2_2298 Depth=2
	s_andn2_saveexec_b64 s[88:89], s[88:89]
; %bb.2765:                             ;   in Loop: Header=BB2_2298 Depth=2
	v_cmp_gt_i16_sdwa vcc, sext(v10), v56 src0_sel:BYTE_0 src1_sel:DWORD
	v_cndmask_b32_e32 v2, v57, v58, vcc
	v_cmp_eq_u32_e32 vcc, 0, v14
	v_cndmask_b32_e32 v11, v59, v2, vcc
; %bb.2766:                             ;   in Loop: Header=BB2_2298 Depth=2
	s_or_b64 exec, exec, s[88:89]
.LBB2_2767:                             ;   in Loop: Header=BB2_2298 Depth=2
	s_or_b64 exec, exec, s[20:21]
.LBB2_2768:                             ;   in Loop: Header=BB2_2298 Depth=2
	s_or_b64 exec, exec, s[18:19]
	v_lshrrev_b32_e32 v10, 16, v13
	v_cmp_gt_i16_sdwa s[20:21], v10, s52 src0_sel:BYTE_0 src1_sel:DWORD
	s_mov_b64 s[18:19], 0
	s_and_saveexec_b64 s[88:89], s[20:21]
	s_xor_b64 s[20:21], exec, s[88:89]
	s_cbranch_execz .LBB2_2839
; %bb.2769:                             ;   in Loop: Header=BB2_2298 Depth=2
	v_cmp_eq_u16_sdwa s[90:91], v10, s53 src0_sel:BYTE_0 src1_sel:DWORD
	s_mov_b64 s[18:19], -1
	s_and_saveexec_b64 s[88:89], s[90:91]
; %bb.2770:                             ;   in Loop: Header=BB2_2298 Depth=2
	s_xor_b64 s[18:19], exec, -1
; %bb.2771:                             ;   in Loop: Header=BB2_2298 Depth=2
	s_or_b64 exec, exec, s[88:89]
	s_and_b64 s[18:19], s[18:19], exec
	s_or_saveexec_b64 s[20:21], s[20:21]
	v_bfrev_b32_e32 v14, 1
	s_xor_b64 exec, exec, s[20:21]
	s_cbranch_execnz .LBB2_2840
.LBB2_2772:                             ;   in Loop: Header=BB2_2298 Depth=2
	s_or_b64 exec, exec, s[20:21]
	s_and_saveexec_b64 s[88:89], s[18:19]
	s_cbranch_execz .LBB2_2774
.LBB2_2773:                             ;   in Loop: Header=BB2_2298 Depth=2
	v_and_b32_e32 v2, 3, v10
	v_and_b32_e32 v14, 0x7c0000, v13
	v_cmp_eq_u32_e32 vcc, s55, v14
	v_ffbh_u32_e32 v14, v2
	v_min_u32_e32 v34, 32, v14
	v_subrev_u32_e32 v14, 29, v34
	v_bfe_u32 v20, v13, 18, 5
	v_lshlrev_b64 v[14:15], v14, v[10:11]
	v_cmp_eq_u32_e64 s[18:19], 0, v20
	v_sub_u32_e32 v15, 30, v34
	v_cndmask_b32_e64 v15, v20, v15, s[18:19]
	v_lshlrev_b32_e32 v20, 24, v10
	v_and_b32_e32 v14, 3, v14
	v_and_b32_e32 v20, 0x80000000, v20
	v_cndmask_b32_e64 v14, v2, v14, s[18:19]
	v_lshl_add_u32 v15, v15, 23, v20
	v_cmp_gt_i16_sdwa s[20:21], sext(v10), v56 src0_sel:BYTE_0 src1_sel:DWORD
	v_lshl_or_b32 v14, v14, 21, v15
	v_cmp_eq_u32_e64 s[18:19], 0, v2
	v_cndmask_b32_e64 v2, v57, v58, s[20:21]
	v_add_u32_e32 v14, 0x38000000, v14
	v_cndmask_b32_e64 v2, v59, v2, s[18:19]
	v_cndmask_b32_e32 v14, v14, v2, vcc
.LBB2_2774:                             ;   in Loop: Header=BB2_2298 Depth=2
	s_or_b64 exec, exec, s[88:89]
	v_mul_f32_e32 v10, v11, v14
	v_and_b32_e32 v14, 0x7f800000, v10
	v_mov_b32_e32 v15, v3
	v_cmp_ne_u64_e32 vcc, s[58:59], v[14:15]
	v_and_b32_e32 v2, 0x7fffff, v10
                                        ; implicit-def: $vgpr14
	s_and_saveexec_b64 s[18:19], vcc
	s_xor_b64 s[20:21], exec, s[18:19]
	s_cbranch_execz .LBB2_2788
; %bb.2775:                             ;   in Loop: Header=BB2_2298 Depth=2
	v_and_b32_e32 v14, 0x7fffffff, v10
	v_mov_b32_e32 v15, v3
	v_cmp_gt_u64_e32 vcc, s[60:61], v[14:15]
	v_and_b32_sdwa v42, v10, s53 dst_sel:DWORD dst_unused:UNUSED_PAD src0_sel:BYTE_3 src1_sel:DWORD
                                        ; implicit-def: $vgpr14
	s_and_saveexec_b64 s[18:19], vcc
	s_xor_b64 s[88:89], exec, s[18:19]
	s_cbranch_execz .LBB2_2785
; %bb.2776:                             ;   in Loop: Header=BB2_2298 Depth=2
	v_mov_b32_e32 v14, 0
	v_cmp_ne_u32_e32 vcc, 0, v10
	s_and_saveexec_b64 s[90:91], vcc
	s_cbranch_execz .LBB2_2784
; %bb.2777:                             ;   in Loop: Header=BB2_2298 Depth=2
	v_bfe_u32 v20, v10, 23, 8
	v_cmp_gt_u32_e64 s[18:19], s54, v20
	v_sub_u32_e32 v10, 0x71, v20
	v_cmp_eq_u32_e32 vcc, 0, v20
	v_cndmask_b32_e64 v10, 0, v10, s[18:19]
	v_mov_b32_e32 v14, 0x70
	v_cndmask_b32_e32 v61, v10, v14, vcc
	v_or_b32_e32 v11, 0x800000, v2
	v_add_u32_e32 v10, 21, v61
	v_cndmask_b32_e32 v2, v11, v2, vcc
	v_lshlrev_b64 v[10:11], v10, -1
	v_add_u32_e32 v14, 20, v61
	v_lshlrev_b64 v[14:15], v14, 1
	v_bfi_b32 v11, v11, 0, 0
	v_bfi_b32 v10, v10, 0, v2
	v_cmp_eq_u64_e64 s[18:19], v[10:11], v[14:15]
	v_lshrrev_b64 v[10:11], v61, v[2:3]
	v_mov_b32_e32 v34, 0xffffff82
	v_mov_b32_e32 v15, v11
	;; [unrolled: 1-line block ×3, first 2 shown]
	s_and_saveexec_b64 s[92:93], s[18:19]
; %bb.2778:                             ;   in Loop: Header=BB2_2298 Depth=2
	v_bfe_u32 v2, v10, 21, 1
	v_add_co_u32_e64 v2, s[18:19], v10, v2
	v_add_co_u32_e64 v14, s[18:19], -1, v2
; %bb.2779:                             ;   in Loop: Header=BB2_2298 Depth=2
	s_or_b64 exec, exec, s[92:93]
	v_add_u32_e32 v2, 0xffffff81, v20
	v_cndmask_b32_e32 v2, v2, v34, vcc
	v_lshrrev_b32_e32 v11, 23, v10
	v_add3_u32 v20, v61, v2, v11
	v_add_u32_e32 v15, 14, v20
	v_and_b32_e32 v2, 0x1fffff, v14
	v_add_u32_e32 v2, v2, v10
	v_cmp_ne_u32_e32 vcc, 0, v15
                                        ; implicit-def: $vgpr10_vgpr11
                                        ; implicit-def: $vgpr14
	s_and_saveexec_b64 s[18:19], vcc
	s_xor_b64 s[18:19], exec, s[18:19]
; %bb.2780:                             ;   in Loop: Header=BB2_2298 Depth=2
	v_cmp_lt_u64_e32 vcc, s[62:63], v[2:3]
	v_add_u32_e32 v10, 15, v20
	v_cndmask_b32_e32 v14, v15, v10, vcc
	v_cndmask_b32_e64 v10, 0, 1, vcc
	v_lshrrev_b64 v[10:11], v10, v[2:3]
; %bb.2781:                             ;   in Loop: Header=BB2_2298 Depth=2
	s_andn2_saveexec_b64 s[18:19], s[18:19]
; %bb.2782:                             ;   in Loop: Header=BB2_2298 Depth=2
	v_mov_b32_e32 v11, v3
	v_bfe_u32 v14, v2, 23, 1
	v_mov_b32_e32 v10, v2
; %bb.2783:                             ;   in Loop: Header=BB2_2298 Depth=2
	s_or_b64 exec, exec, s[18:19]
	v_lshrrev_b64 v[10:11], 21, v[10:11]
	v_cmp_gt_i32_e32 vcc, 32, v14
	v_cndmask_b32_e32 v11, 0, v11, vcc
	v_cndmask_b32_e32 v10, 3, v10, vcc
	v_min_i32_e32 v2, 31, v14
	v_cmp_eq_u64_e64 s[18:19], 0, v[10:11]
	v_lshlrev_b32_e32 v2, 2, v2
	v_cmp_eq_u32_e32 vcc, 0, v14
	v_and_b32_e32 v2, 0xfc, v2
	v_and_or_b32 v2, v10, 3, v2
	s_and_b64 s[18:19], vcc, s[18:19]
	v_cndmask_b32_e64 v2, v2, 0, s[18:19]
	v_or_b32_e32 v14, v2, v42
	v_mov_b32_e32 v61, 0xffffff82
.LBB2_2784:                             ;   in Loop: Header=BB2_2298 Depth=2
	s_or_b64 exec, exec, s[90:91]
                                        ; implicit-def: $vgpr42
.LBB2_2785:                             ;   in Loop: Header=BB2_2298 Depth=2
	s_andn2_saveexec_b64 s[18:19], s[88:89]
; %bb.2786:                             ;   in Loop: Header=BB2_2298 Depth=2
	v_or_b32_e32 v14, 0x7b, v42
; %bb.2787:                             ;   in Loop: Header=BB2_2298 Depth=2
	s_or_b64 exec, exec, s[18:19]
                                        ; implicit-def: $vgpr10
.LBB2_2788:                             ;   in Loop: Header=BB2_2298 Depth=2
	s_andn2_saveexec_b64 s[18:19], s[20:21]
	s_cbranch_execz .LBB2_2794
; %bb.2789:                             ;   in Loop: Header=BB2_2298 Depth=2
	v_cmp_ne_u64_e32 vcc, 0, v[2:3]
                                        ; implicit-def: $vgpr14
	s_and_saveexec_b64 s[20:21], vcc
	s_xor_b64 s[20:21], exec, s[20:21]
; %bb.2790:                             ;   in Loop: Header=BB2_2298 Depth=2
	v_or_b32_sdwa v14, v10, s52 dst_sel:DWORD dst_unused:UNUSED_PAD src0_sel:BYTE_3 src1_sel:DWORD
                                        ; implicit-def: $vgpr10
; %bb.2791:                             ;   in Loop: Header=BB2_2298 Depth=2
	s_andn2_saveexec_b64 s[20:21], s[20:21]
; %bb.2792:                             ;   in Loop: Header=BB2_2298 Depth=2
	v_cmp_lt_i32_e32 vcc, -1, v10
	v_cndmask_b32_e32 v14, v31, v18, vcc
; %bb.2793:                             ;   in Loop: Header=BB2_2298 Depth=2
	s_or_b64 exec, exec, s[20:21]
.LBB2_2794:                             ;   in Loop: Header=BB2_2298 Depth=2
	s_or_b64 exec, exec, s[18:19]
	v_cmp_lt_u64_e32 vcc, s[56:57], v[16:17]
	v_mov_b32_e32 v11, 0
	s_and_saveexec_b64 s[18:19], vcc
	s_cbranch_execz .LBB2_2802
; %bb.2795:                             ;   in Loop: Header=BB2_2298 Depth=2
	v_lshrrev_b32_e32 v10, 24, v17
	v_cmp_ne_u32_e32 vcc, s53, v10
	v_bfrev_b32_e32 v11, 1
	s_and_saveexec_b64 s[20:21], vcc
	s_cbranch_execz .LBB2_2801
; %bb.2796:                             ;   in Loop: Header=BB2_2298 Depth=2
	v_and_b32_e32 v2, 0x7c000000, v17
	v_bfe_u32 v15, v17, 24, 2
	v_cmp_ne_u32_e32 vcc, s64, v2
                                        ; implicit-def: $vgpr11
	s_and_saveexec_b64 s[88:89], vcc
	s_xor_b64 s[88:89], exec, s[88:89]
	s_cbranch_execz .LBB2_2798
; %bb.2797:                             ;   in Loop: Header=BB2_2298 Depth=2
	v_ffbh_u32_e32 v11, v15
	v_min_u32_e32 v16, 32, v11
	v_subrev_u32_e32 v11, 29, v16
	v_bfe_u32 v2, v17, 26, 5
	v_lshlrev_b64 v[10:11], v11, v[10:11]
	v_sub_u32_e32 v11, 30, v16
	v_cmp_eq_u32_e32 vcc, 0, v2
	v_and_b32_e32 v10, 3, v10
	v_cndmask_b32_e32 v2, v2, v11, vcc
	v_and_b32_e32 v11, 0x80000000, v17
	v_cndmask_b32_e32 v10, v15, v10, vcc
	v_lshl_add_u32 v2, v2, 23, v11
	v_lshl_or_b32 v2, v10, 21, v2
	v_add_u32_e32 v11, 0x38000000, v2
                                        ; implicit-def: $vgpr15
                                        ; implicit-def: $vgpr16_vgpr17
.LBB2_2798:                             ;   in Loop: Header=BB2_2298 Depth=2
	s_andn2_saveexec_b64 s[88:89], s[88:89]
; %bb.2799:                             ;   in Loop: Header=BB2_2298 Depth=2
	v_cmp_lt_i64_e32 vcc, -1, v[16:17]
	v_cndmask_b32_e32 v2, v57, v58, vcc
	v_cmp_eq_u32_e32 vcc, 0, v15
	v_cndmask_b32_e32 v11, v59, v2, vcc
; %bb.2800:                             ;   in Loop: Header=BB2_2298 Depth=2
	s_or_b64 exec, exec, s[88:89]
.LBB2_2801:                             ;   in Loop: Header=BB2_2298 Depth=2
	s_or_b64 exec, exec, s[20:21]
.LBB2_2802:                             ;   in Loop: Header=BB2_2298 Depth=2
	s_or_b64 exec, exec, s[18:19]
	v_bfe_u32 v10, v13, 24, 2
	v_and_b32_e32 v15, 0x7c000000, v13
	v_cmp_eq_u32_e32 vcc, s64, v15
	v_ffbh_u32_e32 v15, v10
	v_min_u32_e32 v20, 32, v15
	v_lshrrev_b32_e32 v2, 24, v13
	v_subrev_u32_e32 v15, 29, v20
	v_bfe_u32 v17, v13, 26, 5
	v_lshlrev_b64 v[15:16], v15, v[2:3]
	v_cmp_eq_u32_e64 s[18:19], 0, v17
	v_sub_u32_e32 v16, 30, v20
	v_and_b32_e32 v15, 3, v15
	v_cndmask_b32_e64 v16, v17, v16, s[18:19]
	v_and_b32_e32 v17, 0x80000000, v13
	v_cmp_lt_i64_e64 s[20:21], -1, v[12:13]
	v_cndmask_b32_e64 v15, v10, v15, s[18:19]
	v_lshl_add_u32 v16, v16, 23, v17
	v_lshl_or_b32 v15, v15, 21, v16
	v_cmp_eq_u32_e64 s[18:19], 0, v10
	v_cndmask_b32_e64 v10, v57, v58, s[20:21]
	v_add_u32_e32 v15, 0x38000000, v15
	v_cndmask_b32_e64 v10, v59, v10, s[18:19]
	v_cndmask_b32_e32 v10, v15, v10, vcc
	v_cmp_ne_u32_e32 vcc, s53, v2
	v_cndmask_b32_e32 v2, v19, v10, vcc
	v_cmp_lt_u64_e32 vcc, s[56:57], v[12:13]
	v_mov_b32_e32 v13, v3
	v_cndmask_b32_e32 v2, 0, v2, vcc
	v_mul_f32_e32 v11, v2, v11
	v_and_b32_e32 v12, 0x7f800000, v11
	v_cmp_ne_u64_e32 vcc, s[58:59], v[12:13]
	v_and_b32_e32 v2, 0x7fffff, v11
                                        ; implicit-def: $vgpr10
	s_and_saveexec_b64 s[18:19], vcc
	s_xor_b64 s[20:21], exec, s[18:19]
	s_cbranch_execz .LBB2_2816
; %bb.2803:                             ;   in Loop: Header=BB2_2298 Depth=2
	v_and_b32_e32 v12, 0x7fffffff, v11
	v_mov_b32_e32 v13, v3
	v_cmp_gt_u64_e32 vcc, s[60:61], v[12:13]
	v_and_b32_sdwa v13, v11, s53 dst_sel:DWORD dst_unused:UNUSED_PAD src0_sel:BYTE_3 src1_sel:DWORD
                                        ; implicit-def: $vgpr10
	s_and_saveexec_b64 s[18:19], vcc
	s_xor_b64 s[88:89], exec, s[18:19]
	s_cbranch_execz .LBB2_2813
; %bb.2804:                             ;   in Loop: Header=BB2_2298 Depth=2
	v_mov_b32_e32 v10, 0
	v_cmp_ne_u32_e32 vcc, 0, v11
	s_and_saveexec_b64 s[90:91], vcc
	s_cbranch_execz .LBB2_2812
; %bb.2805:                             ;   in Loop: Header=BB2_2298 Depth=2
	v_bfe_u32 v15, v11, 23, 8
	v_cmp_gt_u32_e64 s[18:19], s54, v15
	v_sub_u32_e32 v10, 0x71, v15
	v_cmp_eq_u32_e32 vcc, 0, v15
	v_cndmask_b32_e64 v10, 0, v10, s[18:19]
	v_mov_b32_e32 v12, 0x70
	v_cndmask_b32_e32 v16, v10, v12, vcc
	v_or_b32_e32 v11, 0x800000, v2
	v_add_u32_e32 v10, 21, v16
	v_cndmask_b32_e32 v2, v11, v2, vcc
	v_lshlrev_b64 v[10:11], v10, -1
	v_add_u32_e32 v12, 20, v16
	v_lshlrev_b64 v[34:35], v12, 1
	v_bfi_b32 v11, v11, 0, 0
	v_bfi_b32 v10, v10, 0, v2
	v_cmp_eq_u64_e64 s[18:19], v[10:11], v[34:35]
	v_lshrrev_b64 v[10:11], v16, v[2:3]
	v_mov_b32_e32 v12, v11
	v_mov_b32_e32 v11, v10
	s_and_saveexec_b64 s[92:93], s[18:19]
; %bb.2806:                             ;   in Loop: Header=BB2_2298 Depth=2
	v_bfe_u32 v2, v10, 21, 1
	v_add_co_u32_e64 v2, s[18:19], v10, v2
	v_add_co_u32_e64 v11, s[18:19], -1, v2
; %bb.2807:                             ;   in Loop: Header=BB2_2298 Depth=2
	s_or_b64 exec, exec, s[92:93]
	v_add_u32_e32 v2, 0xffffff81, v15
	v_cndmask_b32_e32 v2, v2, v61, vcc
	v_lshrrev_b32_e32 v12, 23, v10
	v_add3_u32 v16, v16, v2, v12
	v_add_u32_e32 v15, 14, v16
	v_and_b32_e32 v2, 0x1fffff, v11
	v_add_u32_e32 v2, v2, v10
	v_cmp_ne_u32_e32 vcc, 0, v15
                                        ; implicit-def: $vgpr10_vgpr11
                                        ; implicit-def: $vgpr12
	s_and_saveexec_b64 s[18:19], vcc
	s_xor_b64 s[18:19], exec, s[18:19]
; %bb.2808:                             ;   in Loop: Header=BB2_2298 Depth=2
	v_cmp_lt_u64_e32 vcc, s[62:63], v[2:3]
	v_add_u32_e32 v10, 15, v16
	v_cndmask_b32_e32 v12, v15, v10, vcc
	v_cndmask_b32_e64 v10, 0, 1, vcc
	v_lshrrev_b64 v[10:11], v10, v[2:3]
; %bb.2809:                             ;   in Loop: Header=BB2_2298 Depth=2
	s_andn2_saveexec_b64 s[18:19], s[18:19]
; %bb.2810:                             ;   in Loop: Header=BB2_2298 Depth=2
	v_mov_b32_e32 v11, v3
	v_bfe_u32 v12, v2, 23, 1
	v_mov_b32_e32 v10, v2
; %bb.2811:                             ;   in Loop: Header=BB2_2298 Depth=2
	s_or_b64 exec, exec, s[18:19]
	v_lshrrev_b64 v[10:11], 21, v[10:11]
	v_cmp_gt_i32_e32 vcc, 32, v12
	v_cndmask_b32_e32 v11, 0, v11, vcc
	v_cndmask_b32_e32 v10, 3, v10, vcc
	v_min_i32_e32 v2, 31, v12
	v_cmp_eq_u64_e64 s[18:19], 0, v[10:11]
	v_lshlrev_b32_e32 v2, 2, v2
	v_cmp_eq_u32_e32 vcc, 0, v12
	v_and_b32_e32 v2, 0xfc, v2
	v_and_or_b32 v2, v10, 3, v2
	s_and_b64 s[18:19], vcc, s[18:19]
	v_cndmask_b32_e64 v2, v2, 0, s[18:19]
	v_or_b32_e32 v10, v2, v13
.LBB2_2812:                             ;   in Loop: Header=BB2_2298 Depth=2
	s_or_b64 exec, exec, s[90:91]
                                        ; implicit-def: $vgpr13
.LBB2_2813:                             ;   in Loop: Header=BB2_2298 Depth=2
	s_andn2_saveexec_b64 s[18:19], s[88:89]
; %bb.2814:                             ;   in Loop: Header=BB2_2298 Depth=2
	v_or_b32_e32 v10, 0x7b, v13
; %bb.2815:                             ;   in Loop: Header=BB2_2298 Depth=2
	s_or_b64 exec, exec, s[18:19]
                                        ; implicit-def: $vgpr11
.LBB2_2816:                             ;   in Loop: Header=BB2_2298 Depth=2
	s_andn2_saveexec_b64 s[18:19], s[20:21]
	s_cbranch_execz .LBB2_2297
; %bb.2817:                             ;   in Loop: Header=BB2_2298 Depth=2
	v_cmp_ne_u64_e32 vcc, 0, v[2:3]
                                        ; implicit-def: $vgpr10
	s_and_saveexec_b64 s[20:21], vcc
	s_xor_b64 s[20:21], exec, s[20:21]
; %bb.2818:                             ;   in Loop: Header=BB2_2298 Depth=2
	v_or_b32_sdwa v10, v11, s52 dst_sel:DWORD dst_unused:UNUSED_PAD src0_sel:BYTE_3 src1_sel:DWORD
                                        ; implicit-def: $vgpr11
; %bb.2819:                             ;   in Loop: Header=BB2_2298 Depth=2
	s_andn2_saveexec_b64 s[20:21], s[20:21]
	s_cbranch_execz .LBB2_2296
; %bb.2820:                             ;   in Loop: Header=BB2_2298 Depth=2
	v_cmp_lt_i32_e32 vcc, -1, v11
	v_cndmask_b32_e32 v10, v31, v18, vcc
	s_branch .LBB2_2296
.LBB2_2821:                             ;   in Loop: Header=BB2_2298 Depth=2
	s_or_saveexec_b64 s[20:21], s[20:21]
	v_bfrev_b32_e32 v1, 1
	s_xor_b64 exec, exec, s[20:21]
	s_cbranch_execz .LBB2_2310
.LBB2_2822:                             ;   in Loop: Header=BB2_2298 Depth=2
	v_cmp_ne_u16_sdwa s[88:89], v10, v3 src0_sel:BYTE_0 src1_sel:DWORD
	s_andn2_b64 s[18:19], s[18:19], exec
	s_and_b64 s[88:89], s[88:89], exec
	v_mov_b32_e32 v1, 0
	s_or_b64 s[18:19], s[18:19], s[88:89]
	s_or_b64 exec, exec, s[20:21]
	s_and_saveexec_b64 s[88:89], s[18:19]
	s_cbranch_execnz .LBB2_2311
	s_branch .LBB2_2312
.LBB2_2823:                             ;   in Loop: Header=BB2_2298 Depth=2
	s_or_saveexec_b64 s[20:21], s[20:21]
	v_bfrev_b32_e32 v1, 1
	s_xor_b64 exec, exec, s[20:21]
	s_cbranch_execz .LBB2_2344
.LBB2_2824:                             ;   in Loop: Header=BB2_2298 Depth=2
	v_cmp_ne_u16_e32 vcc, 0, v2
	s_andn2_b64 s[18:19], s[18:19], exec
	s_and_b64 s[88:89], vcc, exec
	v_mov_b32_e32 v1, 0
	s_or_b64 s[18:19], s[18:19], s[88:89]
	s_or_b64 exec, exec, s[20:21]
	s_and_saveexec_b64 s[88:89], s[18:19]
	s_cbranch_execnz .LBB2_2345
	s_branch .LBB2_2346
.LBB2_2825:                             ;   in Loop: Header=BB2_2298 Depth=2
	s_or_saveexec_b64 s[20:21], s[20:21]
	v_bfrev_b32_e32 v1, 1
	s_xor_b64 exec, exec, s[20:21]
	s_cbranch_execz .LBB2_2378
.LBB2_2826:                             ;   in Loop: Header=BB2_2298 Depth=2
	v_cmp_ne_u16_sdwa s[88:89], v30, v3 src0_sel:BYTE_0 src1_sel:DWORD
	s_andn2_b64 s[18:19], s[18:19], exec
	s_and_b64 s[88:89], s[88:89], exec
	v_mov_b32_e32 v1, 0
	s_or_b64 s[18:19], s[18:19], s[88:89]
	s_or_b64 exec, exec, s[20:21]
	s_and_saveexec_b64 s[88:89], s[18:19]
	s_cbranch_execnz .LBB2_2379
	s_branch .LBB2_2380
.LBB2_2827:                             ;   in Loop: Header=BB2_2298 Depth=2
	s_or_saveexec_b64 s[20:21], s[20:21]
	v_bfrev_b32_e32 v20, 1
	s_xor_b64 exec, exec, s[20:21]
	s_cbranch_execz .LBB2_2476
.LBB2_2828:                             ;   in Loop: Header=BB2_2298 Depth=2
	v_cmp_ne_u16_e32 vcc, 0, v2
	s_andn2_b64 s[18:19], s[18:19], exec
	s_and_b64 s[88:89], vcc, exec
	v_mov_b32_e32 v20, 0
	s_or_b64 s[18:19], s[18:19], s[88:89]
	s_or_b64 exec, exec, s[20:21]
	s_and_saveexec_b64 s[88:89], s[18:19]
	s_cbranch_execnz .LBB2_2477
	s_branch .LBB2_2478
.LBB2_2829:                             ;   in Loop: Header=BB2_2298 Depth=2
	s_or_saveexec_b64 s[20:21], s[20:21]
	v_bfrev_b32_e32 v20, 1
	s_xor_b64 exec, exec, s[20:21]
	s_cbranch_execz .LBB2_2510
.LBB2_2830:                             ;   in Loop: Header=BB2_2298 Depth=2
	v_cmp_ne_u16_sdwa s[88:89], v30, v3 src0_sel:BYTE_0 src1_sel:DWORD
	s_andn2_b64 s[18:19], s[18:19], exec
	s_and_b64 s[88:89], s[88:89], exec
	v_mov_b32_e32 v20, 0
	s_or_b64 s[18:19], s[18:19], s[88:89]
	s_or_b64 exec, exec, s[20:21]
	s_and_saveexec_b64 s[88:89], s[18:19]
	s_cbranch_execnz .LBB2_2511
	s_branch .LBB2_2512
.LBB2_2831:                             ;   in Loop: Header=BB2_2298 Depth=2
	s_or_saveexec_b64 s[20:21], s[20:21]
	v_bfrev_b32_e32 v10, 1
	s_xor_b64 exec, exec, s[20:21]
	s_cbranch_execz .LBB2_2572
.LBB2_2832:                             ;   in Loop: Header=BB2_2298 Depth=2
	v_cmp_ne_u16_sdwa s[88:89], v12, v3 src0_sel:BYTE_0 src1_sel:DWORD
	s_andn2_b64 s[18:19], s[18:19], exec
	s_and_b64 s[88:89], s[88:89], exec
	v_mov_b32_e32 v10, 0
	s_or_b64 s[18:19], s[18:19], s[88:89]
	s_or_b64 exec, exec, s[20:21]
	s_and_saveexec_b64 s[88:89], s[18:19]
	s_cbranch_execnz .LBB2_2573
	s_branch .LBB2_2574
.LBB2_2833:                             ;   in Loop: Header=BB2_2298 Depth=2
	s_or_saveexec_b64 s[20:21], s[20:21]
	v_bfrev_b32_e32 v10, 1
	s_xor_b64 exec, exec, s[20:21]
	s_cbranch_execz .LBB2_2606
.LBB2_2834:                             ;   in Loop: Header=BB2_2298 Depth=2
	v_cmp_ne_u16_e32 vcc, 0, v2
	s_andn2_b64 s[18:19], s[18:19], exec
	s_and_b64 s[88:89], vcc, exec
	v_mov_b32_e32 v10, 0
	s_or_b64 s[18:19], s[18:19], s[88:89]
	s_or_b64 exec, exec, s[20:21]
	s_and_saveexec_b64 s[88:89], s[18:19]
	s_cbranch_execnz .LBB2_2607
	s_branch .LBB2_2608
.LBB2_2835:                             ;   in Loop: Header=BB2_2298 Depth=2
	s_or_saveexec_b64 s[20:21], s[20:21]
	v_bfrev_b32_e32 v11, 1
	s_xor_b64 exec, exec, s[20:21]
	s_cbranch_execz .LBB2_2640
.LBB2_2836:                             ;   in Loop: Header=BB2_2298 Depth=2
	v_cmp_ne_u16_sdwa s[88:89], v10, v3 src0_sel:BYTE_0 src1_sel:DWORD
	s_andn2_b64 s[18:19], s[18:19], exec
	s_and_b64 s[88:89], s[88:89], exec
	v_mov_b32_e32 v11, 0
	s_or_b64 s[18:19], s[18:19], s[88:89]
	s_or_b64 exec, exec, s[20:21]
	s_and_saveexec_b64 s[88:89], s[18:19]
	s_cbranch_execnz .LBB2_2641
	s_branch .LBB2_2642
.LBB2_2837:                             ;   in Loop: Header=BB2_2298 Depth=2
	s_or_saveexec_b64 s[20:21], s[20:21]
	v_bfrev_b32_e32 v14, 1
	s_xor_b64 exec, exec, s[20:21]
	s_cbranch_execz .LBB2_2738
.LBB2_2838:                             ;   in Loop: Header=BB2_2298 Depth=2
	v_cmp_ne_u16_e32 vcc, 0, v2
	s_andn2_b64 s[18:19], s[18:19], exec
	s_and_b64 s[88:89], vcc, exec
	v_mov_b32_e32 v14, 0
	s_or_b64 s[18:19], s[18:19], s[88:89]
	s_or_b64 exec, exec, s[20:21]
	s_and_saveexec_b64 s[88:89], s[18:19]
	s_cbranch_execnz .LBB2_2739
	s_branch .LBB2_2740
.LBB2_2839:                             ;   in Loop: Header=BB2_2298 Depth=2
	s_or_saveexec_b64 s[20:21], s[20:21]
	v_bfrev_b32_e32 v14, 1
	s_xor_b64 exec, exec, s[20:21]
	s_cbranch_execz .LBB2_2772
.LBB2_2840:                             ;   in Loop: Header=BB2_2298 Depth=2
	v_cmp_ne_u16_sdwa s[88:89], v10, v3 src0_sel:BYTE_0 src1_sel:DWORD
	s_andn2_b64 s[18:19], s[18:19], exec
	s_and_b64 s[88:89], s[88:89], exec
	v_mov_b32_e32 v14, 0
	s_or_b64 s[18:19], s[18:19], s[88:89]
	s_or_b64 exec, exec, s[20:21]
	s_and_saveexec_b64 s[88:89], s[18:19]
	s_cbranch_execnz .LBB2_2773
	s_branch .LBB2_2774
.LBB2_2841:                             ;   in Loop: Header=BB2_1673 Depth=1
	s_or_b64 exec, exec, s[78:79]
	buffer_load_dword v54, off, s[0:3], s33 offset:76 ; 4-byte Folded Reload
	buffer_load_dword v55, off, s[0:3], s33 offset:80 ; 4-byte Folded Reload
	;; [unrolled: 1-line block ×13, first 2 shown]
.LBB2_2842:                             ;   in Loop: Header=BB2_1673 Depth=1
	s_or_b64 exec, exec, s[76:77]
	v_cmp_lt_i32_e32 vcc, 0, v45
	v_cndmask_b32_e32 v0, 0, v62, vcc
	v_sub_u32_e32 v0, v0, v45
	s_mov_b64 s[76:77], exec
	s_waitcnt vmcnt(0)
	v_lshl_add_u32 v1, v0, 6, v1
.LBB2_2843:                             ;   in Loop: Header=BB2_1673 Depth=1
	s_or_b64 exec, exec, s[22:23]
	buffer_store_dword v10, off, s[0:3], s33 offset:88 ; 4-byte Folded Spill
	s_and_saveexec_b64 s[20:21], s[76:77]
	s_cbranch_execz .LBB2_3212
.LBB2_2844:                             ;   in Loop: Header=BB2_1673 Depth=1
	s_waitcnt vmcnt(1)
	v_ashrrev_i32_e32 v0, 31, v1
	v_lshrrev_b32_e32 v0, 26, v0
	v_add_u32_e32 v0, v1, v0
	v_ashrrev_i32_e32 v21, 6, v0
	buffer_store_dword v2, off, s[0:3], s33 offset:92 ; 4-byte Folded Spill
	v_lshrrev_b32_e32 v2, 9, v2
	v_sub_u32_e32 v30, v2, v21
	v_cmp_lt_i32_e32 vcc, 0, v30
	s_and_saveexec_b64 s[22:23], vcc
	s_cbranch_execz .LBB2_3168
; %bb.2845:                             ;   in Loop: Header=BB2_1673 Depth=1
	buffer_store_dword v39, off, s[0:3], s33 offset:112 ; 4-byte Folded Spill
	buffer_store_dword v35, off, s[0:3], s33 offset:108 ; 4-byte Folded Spill
	buffer_load_dword v10, off, s[0:3], s33 offset:88 ; 4-byte Folded Reload
	v_and_b32_e32 v0, 0xffffffc0, v0
	v_sub_u32_e32 v0, v1, v0
	v_lshlrev_b32_e32 v2, 9, v21
	s_trap 2
	s_mov_b64 s[76:77], 0
	s_waitcnt vmcnt(0)
	v_add3_u32 v0, v10, v0, v2
	ds_read_b64 v[12:13], v0
	v_ashrrev_i32_e32 v2, 31, v0
	v_add_co_u32_e32 v10, vcc, v0, v16
	v_addc_co_u32_e32 v11, vcc, v2, v17, vcc
	s_waitcnt lgkmcnt(0)
	v_add_co_u32_e32 v12, vcc, v12, v0
	v_addc_co_u32_e32 v13, vcc, v13, v2, vcc
	v_add_co_u32_e32 v14, vcc, 0x1c0, v14
	v_addc_co_u32_e32 v15, vcc, 0, v15, vcc
	;; [unrolled: 2-line block ×3, first 2 shown]
	s_branch .LBB2_2848
.LBB2_2846:                             ;   in Loop: Header=BB2_2848 Depth=2
	s_or_b64 exec, exec, s[78:79]
.LBB2_2847:                             ;   in Loop: Header=BB2_2848 Depth=2
	s_or_b64 exec, exec, s[18:19]
	v_add_co_u32_e32 v34, vcc, 0xfffffe40, v14
	v_addc_co_u32_e32 v35, vcc, -1, v15, vcc
	flat_store_byte v[34:35], v46 glc slc
	v_add_co_u32_e32 v34, vcc, 0xfffffe80, v14
	v_addc_co_u32_e32 v35, vcc, -1, v15, vcc
	flat_store_byte v[34:35], v44 glc slc
	;; [unrolled: 3-line block ×5, first 2 shown]
	v_add_co_u32_e32 v34, vcc, s49, v14
	v_addc_co_u32_e32 v35, vcc, -1, v15, vcc
	v_add_co_u32_e32 v24, vcc, s39, v14
	flat_store_byte v[34:35], v25 glc slc
	v_addc_co_u32_e32 v25, vcc, -1, v15, vcc
	flat_store_byte v[24:25], v39 glc slc
	flat_store_byte v[14:15], v17 glc slc
	buffer_load_dword v0, off, s[0:3], s33 offset:64 ; 4-byte Folded Reload
	v_sub_u32_e32 v30, v30, v62
	s_waitcnt vmcnt(0)
	v_add_co_u32_e32 v10, vcc, v10, v0
	v_addc_co_u32_e32 v11, vcc, 0, v11, vcc
	v_add_co_u32_e32 v12, vcc, v12, v0
	v_addc_co_u32_e32 v13, vcc, 0, v13, vcc
	v_cmp_gt_i32_e32 vcc, 1, v30
	s_or_b64 s[76:77], vcc, s[76:77]
	v_add_co_u32_e32 v14, vcc, v14, v0
	v_addc_co_u32_e32 v15, vcc, 0, v15, vcc
	s_andn2_b64 exec, exec, s[76:77]
	s_cbranch_execz .LBB2_3167
.LBB2_2848:                             ;   Parent Loop BB2_1673 Depth=1
                                        ; =>  This Inner Loop Header: Depth=2
	flat_load_sbyte v2, v[10:11] glc slc
	flat_load_sbyte v44, v[10:11] offset:64 glc slc
	flat_load_sbyte v42, v[10:11] offset:128 glc slc
	;; [unrolled: 1-line block ×7, first 2 shown]
	flat_load_sbyte v45, v[12:13] glc slc
	flat_load_sbyte v43, v[12:13] offset:64 glc slc
	flat_load_sbyte v41, v[12:13] offset:128 glc slc
	;; [unrolled: 1-line block ×7, first 2 shown]
	v_mov_b32_e32 v0, 0
	v_mov_b32_e32 v17, 0
	s_waitcnt vmcnt(0) lgkmcnt(0)
	v_cmp_ne_u16_e32 vcc, 0, v2
	s_and_saveexec_b64 s[18:19], vcc
	s_cbranch_execz .LBB2_2856
; %bb.2849:                             ;   in Loop: Header=BB2_2848 Depth=2
	v_cmp_ne_u16_e32 vcc, s49, v2
	v_bfrev_b32_e32 v17, 1
	s_and_saveexec_b64 s[78:79], vcc
	s_cbranch_execz .LBB2_2855
; %bb.2850:                             ;   in Loop: Header=BB2_2848 Depth=2
	v_and_b32_e32 v17, 0x7c, v2
	v_and_b32_e32 v20, 3, v2
	v_cmp_ne_u32_e32 vcc, s50, v17
                                        ; implicit-def: $vgpr17
	s_and_saveexec_b64 s[88:89], vcc
	s_xor_b64 s[88:89], exec, s[88:89]
	s_cbranch_execz .LBB2_2852
; %bb.2851:                             ;   in Loop: Header=BB2_2848 Depth=2
	v_ffbh_u32_e32 v24, v20
	v_min_u32_e32 v34, 32, v24
	v_and_b32_e32 v17, 0xff, v2
	v_subrev_u32_e32 v24, 29, v34
	v_bfe_u32 v17, v17, 2, 5
	v_lshlrev_b64 v[24:25], v24, v[2:3]
	v_sub_u32_e32 v25, 30, v34
	v_cmp_eq_u32_e32 vcc, 0, v17
	v_and_b32_e32 v24, 3, v24
	v_cndmask_b32_e32 v17, v17, v25, vcc
	v_and_b32_sdwa v2, sext(v2), s51 dst_sel:DWORD dst_unused:UNUSED_PAD src0_sel:WORD_0 src1_sel:DWORD
	v_cndmask_b32_e32 v20, v20, v24, vcc
	v_lshl_add_u32 v2, v17, 23, v2
	v_lshl_or_b32 v2, v20, 21, v2
	v_add_u32_e32 v17, 0x38000000, v2
                                        ; implicit-def: $vgpr20
.LBB2_2852:                             ;   in Loop: Header=BB2_2848 Depth=2
	s_andn2_saveexec_b64 s[88:89], s[88:89]
; %bb.2853:                             ;   in Loop: Header=BB2_2848 Depth=2
	v_cmp_lt_i16_e32 vcc, -1, v2
	v_cndmask_b32_e32 v2, v57, v58, vcc
	v_cmp_eq_u32_e32 vcc, 0, v20
	v_cndmask_b32_e32 v17, v59, v2, vcc
; %bb.2854:                             ;   in Loop: Header=BB2_2848 Depth=2
	s_or_b64 exec, exec, s[88:89]
.LBB2_2855:                             ;   in Loop: Header=BB2_2848 Depth=2
	s_or_b64 exec, exec, s[78:79]
.LBB2_2856:                             ;   in Loop: Header=BB2_2848 Depth=2
	s_or_b64 exec, exec, s[18:19]
	v_cmp_ne_u16_e32 vcc, 0, v45
	s_and_saveexec_b64 s[18:19], vcc
	s_cbranch_execz .LBB2_2864
; %bb.2857:                             ;   in Loop: Header=BB2_2848 Depth=2
	v_cmp_ne_u16_e32 vcc, s49, v45
	v_bfrev_b32_e32 v0, 1
	s_and_saveexec_b64 s[78:79], vcc
	s_cbranch_execz .LBB2_2863
; %bb.2858:                             ;   in Loop: Header=BB2_2848 Depth=2
	v_and_b32_e32 v0, 0x7c, v45
	v_and_b32_e32 v20, 3, v45
	v_cmp_ne_u32_e32 vcc, s50, v0
                                        ; implicit-def: $vgpr0
	s_and_saveexec_b64 s[88:89], vcc
	s_xor_b64 s[88:89], exec, s[88:89]
	s_cbranch_execz .LBB2_2860
; %bb.2859:                             ;   in Loop: Header=BB2_2848 Depth=2
	v_ffbh_u32_e32 v2, v20
	v_min_u32_e32 v2, 32, v2
	v_mov_b32_e32 v46, v3
	v_subrev_u32_e32 v24, 29, v2
	v_and_b32_e32 v0, 0xff, v45
	v_lshlrev_b64 v[24:25], v24, v[45:46]
	v_bfe_u32 v0, v0, 2, 5
	v_sub_u32_e32 v2, 30, v2
	v_and_b32_e32 v24, 3, v24
	v_cmp_eq_u32_e32 vcc, 0, v0
	v_cndmask_b32_e32 v0, v0, v2, vcc
	v_cndmask_b32_e32 v2, v20, v24, vcc
	v_and_b32_sdwa v20, sext(v45), s51 dst_sel:DWORD dst_unused:UNUSED_PAD src0_sel:WORD_0 src1_sel:DWORD
	v_lshl_add_u32 v0, v0, 23, v20
	v_lshl_or_b32 v0, v2, 21, v0
	v_add_u32_e32 v0, 0x38000000, v0
                                        ; implicit-def: $vgpr20
                                        ; implicit-def: $vgpr45
.LBB2_2860:                             ;   in Loop: Header=BB2_2848 Depth=2
	s_andn2_saveexec_b64 s[88:89], s[88:89]
; %bb.2861:                             ;   in Loop: Header=BB2_2848 Depth=2
	v_cmp_lt_i16_e32 vcc, -1, v45
	v_cndmask_b32_e32 v0, v57, v58, vcc
	v_cmp_eq_u32_e32 vcc, 0, v20
	v_cndmask_b32_e32 v0, v59, v0, vcc
; %bb.2862:                             ;   in Loop: Header=BB2_2848 Depth=2
	s_or_b64 exec, exec, s[88:89]
.LBB2_2863:                             ;   in Loop: Header=BB2_2848 Depth=2
	s_or_b64 exec, exec, s[78:79]
.LBB2_2864:                             ;   in Loop: Header=BB2_2848 Depth=2
	s_or_b64 exec, exec, s[18:19]
	v_mul_f32_e32 v17, v17, v0
	v_and_b32_e32 v24, 0x7f800000, v17
	v_mov_b32_e32 v25, v3
	v_cmp_ne_u64_e32 vcc, s[58:59], v[24:25]
	v_and_b32_e32 v2, 0x7fffff, v17
                                        ; implicit-def: $vgpr46
	s_and_saveexec_b64 s[18:19], vcc
	s_xor_b64 s[78:79], exec, s[18:19]
	s_cbranch_execz .LBB2_2882
; %bb.2865:                             ;   in Loop: Header=BB2_2848 Depth=2
	v_and_b32_e32 v24, 0x7fffffff, v17
	v_mov_b32_e32 v25, v3
	v_cmp_gt_u64_e32 vcc, s[60:61], v[24:25]
	v_and_b32_sdwa v0, v17, s53 dst_sel:DWORD dst_unused:UNUSED_PAD src0_sel:BYTE_3 src1_sel:DWORD
                                        ; implicit-def: $vgpr46
	s_and_saveexec_b64 s[18:19], vcc
	s_xor_b64 s[88:89], exec, s[18:19]
	s_cbranch_execz .LBB2_2879
; %bb.2866:                             ;   in Loop: Header=BB2_2848 Depth=2
	v_cmp_ne_u32_e32 vcc, 0, v17
	v_mov_b32_e32 v46, 0
	s_and_saveexec_b64 s[90:91], vcc
	s_cbranch_execz .LBB2_2878
; %bb.2867:                             ;   in Loop: Header=BB2_2848 Depth=2
	v_bfe_u32 v17, v17, 23, 8
	v_cmp_gt_u32_e64 s[18:19], s54, v17
	v_sub_u32_e32 v20, 0x71, v17
	v_cmp_eq_u32_e32 vcc, 0, v17
	v_cndmask_b32_e64 v20, 0, v20, s[18:19]
	v_mov_b32_e32 v25, 0x70
	v_or_b32_e32 v24, 0x800000, v2
	v_cndmask_b32_e32 v20, v20, v25, vcc
	v_cndmask_b32_e32 v2, v24, v2, vcc
	v_add_u32_e32 v24, 21, v20
	v_lshlrev_b64 v[24:25], v24, -1
	v_add_u32_e32 v34, 20, v20
	v_lshlrev_b64 v[34:35], v34, 1
	v_lshrrev_b64 v[45:46], v20, v[2:3]
	v_bfi_b32 v25, v25, 0, 0
	v_bfi_b32 v24, v24, 0, v2
	v_cmp_eq_u64_e64 s[18:19], v[24:25], v[34:35]
	v_mov_b32_e32 v47, v46
	v_mov_b32_e32 v46, v45
	s_and_saveexec_b64 s[92:93], s[18:19]
; %bb.2868:                             ;   in Loop: Header=BB2_2848 Depth=2
	v_bfe_u32 v2, v45, 21, 1
	v_add_co_u32_e64 v2, s[18:19], v45, v2
	v_add_co_u32_e64 v46, s[18:19], -1, v2
; %bb.2869:                             ;   in Loop: Header=BB2_2848 Depth=2
	s_or_b64 exec, exec, s[92:93]
	v_add_u32_e32 v2, 0xffffff81, v17
	v_cndmask_b32_e32 v2, v2, v61, vcc
	v_lshrrev_b32_e32 v17, 23, v45
	v_add3_u32 v24, v20, v2, v17
	v_add_u32_e32 v20, 14, v24
	v_and_b32_e32 v2, 0x1fffff, v46
	v_add_u32_e32 v2, v2, v45
	v_cmp_ne_u32_e32 vcc, 0, v20
                                        ; implicit-def: $vgpr45_vgpr46
                                        ; implicit-def: $vgpr17
	s_and_saveexec_b64 s[18:19], vcc
	s_xor_b64 s[18:19], exec, s[18:19]
; %bb.2870:                             ;   in Loop: Header=BB2_2848 Depth=2
	v_cmp_lt_u64_e32 vcc, s[62:63], v[2:3]
	v_add_u32_e32 v17, 15, v24
	v_cndmask_b32_e32 v17, v20, v17, vcc
	v_cndmask_b32_e64 v20, 0, 1, vcc
	v_lshrrev_b64 v[45:46], v20, v[2:3]
; %bb.2871:                             ;   in Loop: Header=BB2_2848 Depth=2
	s_andn2_saveexec_b64 s[18:19], s[18:19]
; %bb.2872:                             ;   in Loop: Header=BB2_2848 Depth=2
	v_mov_b32_e32 v46, v3
	v_bfe_u32 v17, v2, 23, 1
	v_mov_b32_e32 v45, v2
; %bb.2873:                             ;   in Loop: Header=BB2_2848 Depth=2
	s_or_b64 exec, exec, s[18:19]
	v_lshrrev_b64 v[24:25], 21, v[45:46]
	v_cmp_gt_i32_e32 vcc, 32, v17
	v_cndmask_b32_e32 v46, 0, v25, vcc
	v_cndmask_b32_e32 v45, 3, v24, vcc
	v_cmp_ne_u64_e32 vcc, 0, v[45:46]
	v_cmp_ne_u32_e64 s[18:19], 0, v17
	s_or_b64 s[18:19], s[18:19], vcc
                                        ; implicit-def: $vgpr46
	s_and_saveexec_b64 s[92:93], s[18:19]
	s_xor_b64 s[18:19], exec, s[92:93]
; %bb.2874:                             ;   in Loop: Header=BB2_2848 Depth=2
	v_min_i32_e32 v2, 31, v17
	v_lshl_or_b32 v0, v2, 2, v0
	v_and_or_b32 v46, v45, 3, v0
                                        ; implicit-def: $vgpr0
; %bb.2875:                             ;   in Loop: Header=BB2_2848 Depth=2
	s_andn2_saveexec_b64 s[18:19], s[18:19]
; %bb.2876:                             ;   in Loop: Header=BB2_2848 Depth=2
	v_mov_b32_e32 v46, v0
; %bb.2877:                             ;   in Loop: Header=BB2_2848 Depth=2
	s_or_b64 exec, exec, s[18:19]
.LBB2_2878:                             ;   in Loop: Header=BB2_2848 Depth=2
	s_or_b64 exec, exec, s[90:91]
                                        ; implicit-def: $vgpr0
.LBB2_2879:                             ;   in Loop: Header=BB2_2848 Depth=2
	s_andn2_saveexec_b64 s[18:19], s[88:89]
; %bb.2880:                             ;   in Loop: Header=BB2_2848 Depth=2
	v_or_b32_e32 v46, 0x7b, v0
; %bb.2881:                             ;   in Loop: Header=BB2_2848 Depth=2
	s_or_b64 exec, exec, s[18:19]
                                        ; implicit-def: $vgpr17
.LBB2_2882:                             ;   in Loop: Header=BB2_2848 Depth=2
	s_andn2_saveexec_b64 s[18:19], s[78:79]
	s_cbranch_execz .LBB2_2888
; %bb.2883:                             ;   in Loop: Header=BB2_2848 Depth=2
	v_cmp_ne_u64_e32 vcc, 0, v[2:3]
                                        ; implicit-def: $vgpr46
	s_and_saveexec_b64 s[78:79], vcc
	s_xor_b64 s[78:79], exec, s[78:79]
; %bb.2884:                             ;   in Loop: Header=BB2_2848 Depth=2
	v_or_b32_sdwa v46, v17, s52 dst_sel:DWORD dst_unused:UNUSED_PAD src0_sel:BYTE_3 src1_sel:DWORD
                                        ; implicit-def: $vgpr17
; %bb.2885:                             ;   in Loop: Header=BB2_2848 Depth=2
	s_andn2_saveexec_b64 s[78:79], s[78:79]
; %bb.2886:                             ;   in Loop: Header=BB2_2848 Depth=2
	v_cmp_lt_i32_e32 vcc, -1, v17
	v_cndmask_b32_e32 v46, -4, v18, vcc
; %bb.2887:                             ;   in Loop: Header=BB2_2848 Depth=2
	s_or_b64 exec, exec, s[78:79]
.LBB2_2888:                             ;   in Loop: Header=BB2_2848 Depth=2
	s_or_b64 exec, exec, s[18:19]
	v_cmp_ne_u16_e32 vcc, 0, v44
	v_mov_b32_e32 v0, 0
	v_mov_b32_e32 v17, 0
	s_and_saveexec_b64 s[18:19], vcc
	s_cbranch_execz .LBB2_2896
; %bb.2889:                             ;   in Loop: Header=BB2_2848 Depth=2
	v_cmp_ne_u16_e32 vcc, s49, v44
	v_bfrev_b32_e32 v17, 1
	s_and_saveexec_b64 s[78:79], vcc
	s_cbranch_execz .LBB2_2895
; %bb.2890:                             ;   in Loop: Header=BB2_2848 Depth=2
	v_and_b32_e32 v2, 0x7c, v44
	v_and_b32_e32 v20, 3, v44
	v_cmp_ne_u32_e32 vcc, s50, v2
                                        ; implicit-def: $vgpr17
	s_and_saveexec_b64 s[88:89], vcc
	s_xor_b64 s[88:89], exec, s[88:89]
	s_cbranch_execz .LBB2_2892
; %bb.2891:                             ;   in Loop: Header=BB2_2848 Depth=2
	v_ffbh_u32_e32 v17, v20
	v_min_u32_e32 v17, 32, v17
	v_mov_b32_e32 v45, v3
	v_subrev_u32_e32 v24, 29, v17
	v_and_b32_e32 v2, 0xff, v44
	v_lshlrev_b64 v[24:25], v24, v[44:45]
	v_bfe_u32 v2, v2, 2, 5
	v_sub_u32_e32 v17, 30, v17
	v_and_b32_e32 v24, 3, v24
	v_cmp_eq_u32_e32 vcc, 0, v2
	v_cndmask_b32_e32 v2, v2, v17, vcc
	v_cndmask_b32_e32 v17, v20, v24, vcc
	v_and_b32_sdwa v20, sext(v44), s51 dst_sel:DWORD dst_unused:UNUSED_PAD src0_sel:WORD_0 src1_sel:DWORD
	v_lshl_add_u32 v2, v2, 23, v20
	v_lshl_or_b32 v2, v17, 21, v2
	v_add_u32_e32 v17, 0x38000000, v2
                                        ; implicit-def: $vgpr20
                                        ; implicit-def: $vgpr44
.LBB2_2892:                             ;   in Loop: Header=BB2_2848 Depth=2
	s_andn2_saveexec_b64 s[88:89], s[88:89]
; %bb.2893:                             ;   in Loop: Header=BB2_2848 Depth=2
	v_cmp_lt_i16_e32 vcc, -1, v44
	v_cndmask_b32_e32 v2, v57, v58, vcc
	v_cmp_eq_u32_e32 vcc, 0, v20
	v_cndmask_b32_e32 v17, v59, v2, vcc
; %bb.2894:                             ;   in Loop: Header=BB2_2848 Depth=2
	s_or_b64 exec, exec, s[88:89]
.LBB2_2895:                             ;   in Loop: Header=BB2_2848 Depth=2
	s_or_b64 exec, exec, s[78:79]
.LBB2_2896:                             ;   in Loop: Header=BB2_2848 Depth=2
	s_or_b64 exec, exec, s[18:19]
	v_cmp_ne_u16_e32 vcc, 0, v43
	s_and_saveexec_b64 s[18:19], vcc
	s_cbranch_execz .LBB2_2904
; %bb.2897:                             ;   in Loop: Header=BB2_2848 Depth=2
	v_cmp_ne_u16_e32 vcc, s49, v43
	v_bfrev_b32_e32 v0, 1
	s_and_saveexec_b64 s[78:79], vcc
	s_cbranch_execz .LBB2_2903
; %bb.2898:                             ;   in Loop: Header=BB2_2848 Depth=2
	v_and_b32_e32 v0, 0x7c, v43
	v_and_b32_e32 v20, 3, v43
	v_cmp_ne_u32_e32 vcc, s50, v0
                                        ; implicit-def: $vgpr0
	s_and_saveexec_b64 s[88:89], vcc
	s_xor_b64 s[88:89], exec, s[88:89]
	s_cbranch_execz .LBB2_2900
; %bb.2899:                             ;   in Loop: Header=BB2_2848 Depth=2
	v_ffbh_u32_e32 v2, v20
	v_min_u32_e32 v2, 32, v2
	v_mov_b32_e32 v44, v3
	v_subrev_u32_e32 v24, 29, v2
	v_and_b32_e32 v0, 0xff, v43
	v_lshlrev_b64 v[24:25], v24, v[43:44]
	v_bfe_u32 v0, v0, 2, 5
	v_sub_u32_e32 v2, 30, v2
	v_and_b32_e32 v24, 3, v24
	v_cmp_eq_u32_e32 vcc, 0, v0
	v_cndmask_b32_e32 v0, v0, v2, vcc
	v_cndmask_b32_e32 v2, v20, v24, vcc
	v_and_b32_sdwa v20, sext(v43), s51 dst_sel:DWORD dst_unused:UNUSED_PAD src0_sel:WORD_0 src1_sel:DWORD
	v_lshl_add_u32 v0, v0, 23, v20
	v_lshl_or_b32 v0, v2, 21, v0
	v_add_u32_e32 v0, 0x38000000, v0
                                        ; implicit-def: $vgpr20
                                        ; implicit-def: $vgpr43
.LBB2_2900:                             ;   in Loop: Header=BB2_2848 Depth=2
	s_andn2_saveexec_b64 s[88:89], s[88:89]
; %bb.2901:                             ;   in Loop: Header=BB2_2848 Depth=2
	v_cmp_lt_i16_e32 vcc, -1, v43
	v_cndmask_b32_e32 v0, v57, v58, vcc
	v_cmp_eq_u32_e32 vcc, 0, v20
	v_cndmask_b32_e32 v0, v59, v0, vcc
; %bb.2902:                             ;   in Loop: Header=BB2_2848 Depth=2
	s_or_b64 exec, exec, s[88:89]
.LBB2_2903:                             ;   in Loop: Header=BB2_2848 Depth=2
	s_or_b64 exec, exec, s[78:79]
.LBB2_2904:                             ;   in Loop: Header=BB2_2848 Depth=2
	s_or_b64 exec, exec, s[18:19]
	v_mul_f32_e32 v17, v17, v0
	v_and_b32_e32 v24, 0x7f800000, v17
	v_mov_b32_e32 v25, v3
	v_cmp_ne_u64_e32 vcc, s[58:59], v[24:25]
	v_and_b32_e32 v2, 0x7fffff, v17
                                        ; implicit-def: $vgpr44
	s_and_saveexec_b64 s[18:19], vcc
	s_xor_b64 s[78:79], exec, s[18:19]
	s_cbranch_execz .LBB2_2922
; %bb.2905:                             ;   in Loop: Header=BB2_2848 Depth=2
	v_and_b32_e32 v24, 0x7fffffff, v17
	v_mov_b32_e32 v25, v3
	v_cmp_gt_u64_e32 vcc, s[60:61], v[24:25]
	v_and_b32_sdwa v0, v17, s53 dst_sel:DWORD dst_unused:UNUSED_PAD src0_sel:BYTE_3 src1_sel:DWORD
                                        ; implicit-def: $vgpr44
	s_and_saveexec_b64 s[18:19], vcc
	s_xor_b64 s[88:89], exec, s[18:19]
	s_cbranch_execz .LBB2_2919
; %bb.2906:                             ;   in Loop: Header=BB2_2848 Depth=2
	v_cmp_ne_u32_e32 vcc, 0, v17
	v_mov_b32_e32 v44, 0
	s_and_saveexec_b64 s[90:91], vcc
	s_cbranch_execz .LBB2_2918
; %bb.2907:                             ;   in Loop: Header=BB2_2848 Depth=2
	v_bfe_u32 v17, v17, 23, 8
	v_cmp_gt_u32_e64 s[18:19], s54, v17
	v_sub_u32_e32 v20, 0x71, v17
	v_cmp_eq_u32_e32 vcc, 0, v17
	v_cndmask_b32_e64 v20, 0, v20, s[18:19]
	v_mov_b32_e32 v25, 0x70
	v_or_b32_e32 v24, 0x800000, v2
	v_cndmask_b32_e32 v20, v20, v25, vcc
	v_cndmask_b32_e32 v2, v24, v2, vcc
	v_add_u32_e32 v24, 21, v20
	v_lshlrev_b64 v[24:25], v24, -1
	v_add_u32_e32 v34, 20, v20
	v_lshlrev_b64 v[34:35], v34, 1
	v_lshrrev_b64 v[43:44], v20, v[2:3]
	v_bfi_b32 v25, v25, 0, 0
	v_bfi_b32 v24, v24, 0, v2
	v_cmp_eq_u64_e64 s[18:19], v[24:25], v[34:35]
	v_mov_b32_e32 v45, v44
	v_mov_b32_e32 v44, v43
	s_and_saveexec_b64 s[92:93], s[18:19]
; %bb.2908:                             ;   in Loop: Header=BB2_2848 Depth=2
	v_bfe_u32 v2, v43, 21, 1
	v_add_co_u32_e64 v2, s[18:19], v43, v2
	v_add_co_u32_e64 v44, s[18:19], -1, v2
; %bb.2909:                             ;   in Loop: Header=BB2_2848 Depth=2
	s_or_b64 exec, exec, s[92:93]
	v_add_u32_e32 v2, 0xffffff81, v17
	v_cndmask_b32_e32 v2, v2, v61, vcc
	v_lshrrev_b32_e32 v17, 23, v43
	v_add3_u32 v24, v20, v2, v17
	v_add_u32_e32 v20, 14, v24
	v_and_b32_e32 v2, 0x1fffff, v44
	v_add_u32_e32 v2, v2, v43
	v_cmp_ne_u32_e32 vcc, 0, v20
                                        ; implicit-def: $vgpr43_vgpr44
                                        ; implicit-def: $vgpr17
	s_and_saveexec_b64 s[18:19], vcc
	s_xor_b64 s[18:19], exec, s[18:19]
; %bb.2910:                             ;   in Loop: Header=BB2_2848 Depth=2
	v_cmp_lt_u64_e32 vcc, s[62:63], v[2:3]
	v_add_u32_e32 v17, 15, v24
	v_cndmask_b32_e32 v17, v20, v17, vcc
	v_cndmask_b32_e64 v20, 0, 1, vcc
	v_lshrrev_b64 v[43:44], v20, v[2:3]
; %bb.2911:                             ;   in Loop: Header=BB2_2848 Depth=2
	s_andn2_saveexec_b64 s[18:19], s[18:19]
; %bb.2912:                             ;   in Loop: Header=BB2_2848 Depth=2
	v_mov_b32_e32 v44, v3
	v_bfe_u32 v17, v2, 23, 1
	v_mov_b32_e32 v43, v2
; %bb.2913:                             ;   in Loop: Header=BB2_2848 Depth=2
	s_or_b64 exec, exec, s[18:19]
	v_lshrrev_b64 v[24:25], 21, v[43:44]
	v_cmp_gt_i32_e32 vcc, 32, v17
	v_cndmask_b32_e32 v44, 0, v25, vcc
	v_cndmask_b32_e32 v43, 3, v24, vcc
	v_cmp_ne_u64_e32 vcc, 0, v[43:44]
	v_cmp_ne_u32_e64 s[18:19], 0, v17
	s_or_b64 s[18:19], s[18:19], vcc
                                        ; implicit-def: $vgpr44
	s_and_saveexec_b64 s[92:93], s[18:19]
	s_xor_b64 s[18:19], exec, s[92:93]
; %bb.2914:                             ;   in Loop: Header=BB2_2848 Depth=2
	v_min_i32_e32 v2, 31, v17
	v_lshl_or_b32 v0, v2, 2, v0
	v_and_or_b32 v44, v43, 3, v0
                                        ; implicit-def: $vgpr0
; %bb.2915:                             ;   in Loop: Header=BB2_2848 Depth=2
	s_andn2_saveexec_b64 s[18:19], s[18:19]
; %bb.2916:                             ;   in Loop: Header=BB2_2848 Depth=2
	v_mov_b32_e32 v44, v0
; %bb.2917:                             ;   in Loop: Header=BB2_2848 Depth=2
	s_or_b64 exec, exec, s[18:19]
.LBB2_2918:                             ;   in Loop: Header=BB2_2848 Depth=2
	s_or_b64 exec, exec, s[90:91]
                                        ; implicit-def: $vgpr0
.LBB2_2919:                             ;   in Loop: Header=BB2_2848 Depth=2
	s_andn2_saveexec_b64 s[18:19], s[88:89]
; %bb.2920:                             ;   in Loop: Header=BB2_2848 Depth=2
	v_or_b32_e32 v44, 0x7b, v0
; %bb.2921:                             ;   in Loop: Header=BB2_2848 Depth=2
	s_or_b64 exec, exec, s[18:19]
                                        ; implicit-def: $vgpr17
.LBB2_2922:                             ;   in Loop: Header=BB2_2848 Depth=2
	s_andn2_saveexec_b64 s[18:19], s[78:79]
	s_cbranch_execz .LBB2_2928
; %bb.2923:                             ;   in Loop: Header=BB2_2848 Depth=2
	v_cmp_ne_u64_e32 vcc, 0, v[2:3]
                                        ; implicit-def: $vgpr44
	s_and_saveexec_b64 s[78:79], vcc
	s_xor_b64 s[78:79], exec, s[78:79]
; %bb.2924:                             ;   in Loop: Header=BB2_2848 Depth=2
	v_or_b32_sdwa v44, v17, s52 dst_sel:DWORD dst_unused:UNUSED_PAD src0_sel:BYTE_3 src1_sel:DWORD
                                        ; implicit-def: $vgpr17
; %bb.2925:                             ;   in Loop: Header=BB2_2848 Depth=2
	s_andn2_saveexec_b64 s[78:79], s[78:79]
; %bb.2926:                             ;   in Loop: Header=BB2_2848 Depth=2
	v_cmp_lt_i32_e32 vcc, -1, v17
	v_cndmask_b32_e32 v44, -4, v18, vcc
; %bb.2927:                             ;   in Loop: Header=BB2_2848 Depth=2
	s_or_b64 exec, exec, s[78:79]
.LBB2_2928:                             ;   in Loop: Header=BB2_2848 Depth=2
	s_or_b64 exec, exec, s[18:19]
	v_cmp_ne_u16_e32 vcc, 0, v42
	v_mov_b32_e32 v0, 0
	v_mov_b32_e32 v17, 0
	s_and_saveexec_b64 s[18:19], vcc
	s_cbranch_execz .LBB2_2936
; %bb.2929:                             ;   in Loop: Header=BB2_2848 Depth=2
	v_cmp_ne_u16_e32 vcc, s49, v42
	v_bfrev_b32_e32 v17, 1
	s_and_saveexec_b64 s[78:79], vcc
	s_cbranch_execz .LBB2_2935
; %bb.2930:                             ;   in Loop: Header=BB2_2848 Depth=2
	v_and_b32_e32 v2, 0x7c, v42
	v_and_b32_e32 v20, 3, v42
	v_cmp_ne_u32_e32 vcc, s50, v2
                                        ; implicit-def: $vgpr17
	s_and_saveexec_b64 s[88:89], vcc
	s_xor_b64 s[88:89], exec, s[88:89]
	s_cbranch_execz .LBB2_2932
; %bb.2931:                             ;   in Loop: Header=BB2_2848 Depth=2
	v_ffbh_u32_e32 v17, v20
	v_min_u32_e32 v17, 32, v17
	v_mov_b32_e32 v43, v3
	v_subrev_u32_e32 v24, 29, v17
	v_and_b32_e32 v2, 0xff, v42
	v_lshlrev_b64 v[24:25], v24, v[42:43]
	v_bfe_u32 v2, v2, 2, 5
	v_sub_u32_e32 v17, 30, v17
	v_and_b32_e32 v24, 3, v24
	v_cmp_eq_u32_e32 vcc, 0, v2
	v_cndmask_b32_e32 v2, v2, v17, vcc
	v_cndmask_b32_e32 v17, v20, v24, vcc
	v_and_b32_sdwa v20, sext(v42), s51 dst_sel:DWORD dst_unused:UNUSED_PAD src0_sel:WORD_0 src1_sel:DWORD
	v_lshl_add_u32 v2, v2, 23, v20
	v_lshl_or_b32 v2, v17, 21, v2
	v_add_u32_e32 v17, 0x38000000, v2
                                        ; implicit-def: $vgpr20
                                        ; implicit-def: $vgpr42
.LBB2_2932:                             ;   in Loop: Header=BB2_2848 Depth=2
	s_andn2_saveexec_b64 s[88:89], s[88:89]
; %bb.2933:                             ;   in Loop: Header=BB2_2848 Depth=2
	v_cmp_lt_i16_e32 vcc, -1, v42
	v_cndmask_b32_e32 v2, v57, v58, vcc
	v_cmp_eq_u32_e32 vcc, 0, v20
	v_cndmask_b32_e32 v17, v59, v2, vcc
; %bb.2934:                             ;   in Loop: Header=BB2_2848 Depth=2
	s_or_b64 exec, exec, s[88:89]
.LBB2_2935:                             ;   in Loop: Header=BB2_2848 Depth=2
	s_or_b64 exec, exec, s[78:79]
.LBB2_2936:                             ;   in Loop: Header=BB2_2848 Depth=2
	s_or_b64 exec, exec, s[18:19]
	v_cmp_ne_u16_e32 vcc, 0, v41
	s_and_saveexec_b64 s[18:19], vcc
	s_cbranch_execz .LBB2_2944
; %bb.2937:                             ;   in Loop: Header=BB2_2848 Depth=2
	v_cmp_ne_u16_e32 vcc, s49, v41
	v_bfrev_b32_e32 v0, 1
	s_and_saveexec_b64 s[78:79], vcc
	s_cbranch_execz .LBB2_2943
; %bb.2938:                             ;   in Loop: Header=BB2_2848 Depth=2
	v_and_b32_e32 v0, 0x7c, v41
	v_and_b32_e32 v20, 3, v41
	v_cmp_ne_u32_e32 vcc, s50, v0
                                        ; implicit-def: $vgpr0
	s_and_saveexec_b64 s[88:89], vcc
	s_xor_b64 s[88:89], exec, s[88:89]
	s_cbranch_execz .LBB2_2940
; %bb.2939:                             ;   in Loop: Header=BB2_2848 Depth=2
	v_ffbh_u32_e32 v2, v20
	v_min_u32_e32 v2, 32, v2
	v_mov_b32_e32 v42, v3
	v_subrev_u32_e32 v24, 29, v2
	v_and_b32_e32 v0, 0xff, v41
	v_lshlrev_b64 v[24:25], v24, v[41:42]
	v_bfe_u32 v0, v0, 2, 5
	v_sub_u32_e32 v2, 30, v2
	v_and_b32_e32 v24, 3, v24
	v_cmp_eq_u32_e32 vcc, 0, v0
	v_cndmask_b32_e32 v0, v0, v2, vcc
	v_cndmask_b32_e32 v2, v20, v24, vcc
	v_and_b32_sdwa v20, sext(v41), s51 dst_sel:DWORD dst_unused:UNUSED_PAD src0_sel:WORD_0 src1_sel:DWORD
	v_lshl_add_u32 v0, v0, 23, v20
	v_lshl_or_b32 v0, v2, 21, v0
	v_add_u32_e32 v0, 0x38000000, v0
                                        ; implicit-def: $vgpr20
                                        ; implicit-def: $vgpr41
.LBB2_2940:                             ;   in Loop: Header=BB2_2848 Depth=2
	s_andn2_saveexec_b64 s[88:89], s[88:89]
; %bb.2941:                             ;   in Loop: Header=BB2_2848 Depth=2
	v_cmp_lt_i16_e32 vcc, -1, v41
	v_cndmask_b32_e32 v0, v57, v58, vcc
	v_cmp_eq_u32_e32 vcc, 0, v20
	v_cndmask_b32_e32 v0, v59, v0, vcc
; %bb.2942:                             ;   in Loop: Header=BB2_2848 Depth=2
	s_or_b64 exec, exec, s[88:89]
.LBB2_2943:                             ;   in Loop: Header=BB2_2848 Depth=2
	s_or_b64 exec, exec, s[78:79]
.LBB2_2944:                             ;   in Loop: Header=BB2_2848 Depth=2
	s_or_b64 exec, exec, s[18:19]
	v_mul_f32_e32 v17, v17, v0
	v_and_b32_e32 v24, 0x7f800000, v17
	v_mov_b32_e32 v25, v3
	v_cmp_ne_u64_e32 vcc, s[58:59], v[24:25]
	v_and_b32_e32 v2, 0x7fffff, v17
                                        ; implicit-def: $vgpr42
	s_and_saveexec_b64 s[18:19], vcc
	s_xor_b64 s[78:79], exec, s[18:19]
	s_cbranch_execz .LBB2_2962
; %bb.2945:                             ;   in Loop: Header=BB2_2848 Depth=2
	v_and_b32_e32 v24, 0x7fffffff, v17
	v_mov_b32_e32 v25, v3
	v_cmp_gt_u64_e32 vcc, s[60:61], v[24:25]
	v_and_b32_sdwa v0, v17, s53 dst_sel:DWORD dst_unused:UNUSED_PAD src0_sel:BYTE_3 src1_sel:DWORD
                                        ; implicit-def: $vgpr42
	s_and_saveexec_b64 s[18:19], vcc
	s_xor_b64 s[88:89], exec, s[18:19]
	s_cbranch_execz .LBB2_2959
; %bb.2946:                             ;   in Loop: Header=BB2_2848 Depth=2
	v_cmp_ne_u32_e32 vcc, 0, v17
	v_mov_b32_e32 v42, 0
	s_and_saveexec_b64 s[90:91], vcc
	s_cbranch_execz .LBB2_2958
; %bb.2947:                             ;   in Loop: Header=BB2_2848 Depth=2
	v_bfe_u32 v17, v17, 23, 8
	v_cmp_gt_u32_e64 s[18:19], s54, v17
	v_sub_u32_e32 v20, 0x71, v17
	v_cmp_eq_u32_e32 vcc, 0, v17
	v_cndmask_b32_e64 v20, 0, v20, s[18:19]
	v_mov_b32_e32 v25, 0x70
	v_or_b32_e32 v24, 0x800000, v2
	v_cndmask_b32_e32 v20, v20, v25, vcc
	v_cndmask_b32_e32 v2, v24, v2, vcc
	v_add_u32_e32 v24, 21, v20
	v_lshlrev_b64 v[24:25], v24, -1
	v_add_u32_e32 v34, 20, v20
	v_lshlrev_b64 v[34:35], v34, 1
	v_lshrrev_b64 v[41:42], v20, v[2:3]
	v_bfi_b32 v25, v25, 0, 0
	v_bfi_b32 v24, v24, 0, v2
	v_cmp_eq_u64_e64 s[18:19], v[24:25], v[34:35]
	v_mov_b32_e32 v43, v42
	v_mov_b32_e32 v42, v41
	s_and_saveexec_b64 s[92:93], s[18:19]
; %bb.2948:                             ;   in Loop: Header=BB2_2848 Depth=2
	v_bfe_u32 v2, v41, 21, 1
	v_add_co_u32_e64 v2, s[18:19], v41, v2
	v_add_co_u32_e64 v42, s[18:19], -1, v2
; %bb.2949:                             ;   in Loop: Header=BB2_2848 Depth=2
	s_or_b64 exec, exec, s[92:93]
	v_add_u32_e32 v2, 0xffffff81, v17
	v_cndmask_b32_e32 v2, v2, v61, vcc
	v_lshrrev_b32_e32 v17, 23, v41
	v_add3_u32 v24, v20, v2, v17
	v_add_u32_e32 v20, 14, v24
	v_and_b32_e32 v2, 0x1fffff, v42
	v_add_u32_e32 v2, v2, v41
	v_cmp_ne_u32_e32 vcc, 0, v20
                                        ; implicit-def: $vgpr41_vgpr42
                                        ; implicit-def: $vgpr17
	s_and_saveexec_b64 s[18:19], vcc
	s_xor_b64 s[18:19], exec, s[18:19]
; %bb.2950:                             ;   in Loop: Header=BB2_2848 Depth=2
	v_cmp_lt_u64_e32 vcc, s[62:63], v[2:3]
	v_add_u32_e32 v17, 15, v24
	v_cndmask_b32_e32 v17, v20, v17, vcc
	v_cndmask_b32_e64 v20, 0, 1, vcc
	v_lshrrev_b64 v[41:42], v20, v[2:3]
; %bb.2951:                             ;   in Loop: Header=BB2_2848 Depth=2
	s_andn2_saveexec_b64 s[18:19], s[18:19]
; %bb.2952:                             ;   in Loop: Header=BB2_2848 Depth=2
	v_mov_b32_e32 v42, v3
	v_bfe_u32 v17, v2, 23, 1
	v_mov_b32_e32 v41, v2
; %bb.2953:                             ;   in Loop: Header=BB2_2848 Depth=2
	s_or_b64 exec, exec, s[18:19]
	v_lshrrev_b64 v[24:25], 21, v[41:42]
	v_cmp_gt_i32_e32 vcc, 32, v17
	v_cndmask_b32_e32 v42, 0, v25, vcc
	v_cndmask_b32_e32 v41, 3, v24, vcc
	v_cmp_ne_u64_e32 vcc, 0, v[41:42]
	v_cmp_ne_u32_e64 s[18:19], 0, v17
	s_or_b64 s[18:19], s[18:19], vcc
                                        ; implicit-def: $vgpr42
	s_and_saveexec_b64 s[92:93], s[18:19]
	s_xor_b64 s[18:19], exec, s[92:93]
; %bb.2954:                             ;   in Loop: Header=BB2_2848 Depth=2
	v_min_i32_e32 v2, 31, v17
	v_lshl_or_b32 v0, v2, 2, v0
	v_and_or_b32 v42, v41, 3, v0
                                        ; implicit-def: $vgpr0
; %bb.2955:                             ;   in Loop: Header=BB2_2848 Depth=2
	s_andn2_saveexec_b64 s[18:19], s[18:19]
; %bb.2956:                             ;   in Loop: Header=BB2_2848 Depth=2
	v_mov_b32_e32 v42, v0
; %bb.2957:                             ;   in Loop: Header=BB2_2848 Depth=2
	s_or_b64 exec, exec, s[18:19]
.LBB2_2958:                             ;   in Loop: Header=BB2_2848 Depth=2
	s_or_b64 exec, exec, s[90:91]
                                        ; implicit-def: $vgpr0
.LBB2_2959:                             ;   in Loop: Header=BB2_2848 Depth=2
	s_andn2_saveexec_b64 s[18:19], s[88:89]
; %bb.2960:                             ;   in Loop: Header=BB2_2848 Depth=2
	v_or_b32_e32 v42, 0x7b, v0
; %bb.2961:                             ;   in Loop: Header=BB2_2848 Depth=2
	s_or_b64 exec, exec, s[18:19]
                                        ; implicit-def: $vgpr17
.LBB2_2962:                             ;   in Loop: Header=BB2_2848 Depth=2
	s_andn2_saveexec_b64 s[18:19], s[78:79]
	s_cbranch_execz .LBB2_2968
; %bb.2963:                             ;   in Loop: Header=BB2_2848 Depth=2
	v_cmp_ne_u64_e32 vcc, 0, v[2:3]
                                        ; implicit-def: $vgpr42
	s_and_saveexec_b64 s[78:79], vcc
	s_xor_b64 s[78:79], exec, s[78:79]
; %bb.2964:                             ;   in Loop: Header=BB2_2848 Depth=2
	v_or_b32_sdwa v42, v17, s52 dst_sel:DWORD dst_unused:UNUSED_PAD src0_sel:BYTE_3 src1_sel:DWORD
                                        ; implicit-def: $vgpr17
; %bb.2965:                             ;   in Loop: Header=BB2_2848 Depth=2
	s_andn2_saveexec_b64 s[78:79], s[78:79]
; %bb.2966:                             ;   in Loop: Header=BB2_2848 Depth=2
	v_cmp_lt_i32_e32 vcc, -1, v17
	v_cndmask_b32_e32 v42, -4, v18, vcc
; %bb.2967:                             ;   in Loop: Header=BB2_2848 Depth=2
	s_or_b64 exec, exec, s[78:79]
.LBB2_2968:                             ;   in Loop: Header=BB2_2848 Depth=2
	s_or_b64 exec, exec, s[18:19]
	v_cmp_ne_u16_e32 vcc, 0, v40
	v_mov_b32_e32 v0, 0
	v_mov_b32_e32 v17, 0
	s_and_saveexec_b64 s[18:19], vcc
	s_cbranch_execz .LBB2_2976
; %bb.2969:                             ;   in Loop: Header=BB2_2848 Depth=2
	v_cmp_ne_u16_e32 vcc, s49, v40
	v_bfrev_b32_e32 v17, 1
	s_and_saveexec_b64 s[78:79], vcc
	s_cbranch_execz .LBB2_2975
; %bb.2970:                             ;   in Loop: Header=BB2_2848 Depth=2
	v_and_b32_e32 v2, 0x7c, v40
	v_and_b32_e32 v20, 3, v40
	v_cmp_ne_u32_e32 vcc, s50, v2
                                        ; implicit-def: $vgpr17
	s_and_saveexec_b64 s[88:89], vcc
	s_xor_b64 s[88:89], exec, s[88:89]
	s_cbranch_execz .LBB2_2972
; %bb.2971:                             ;   in Loop: Header=BB2_2848 Depth=2
	v_ffbh_u32_e32 v17, v20
	v_min_u32_e32 v17, 32, v17
	v_mov_b32_e32 v41, v3
	v_subrev_u32_e32 v24, 29, v17
	v_and_b32_e32 v2, 0xff, v40
	v_lshlrev_b64 v[24:25], v24, v[40:41]
	v_bfe_u32 v2, v2, 2, 5
	v_sub_u32_e32 v17, 30, v17
	v_and_b32_e32 v24, 3, v24
	v_cmp_eq_u32_e32 vcc, 0, v2
	v_cndmask_b32_e32 v2, v2, v17, vcc
	v_cndmask_b32_e32 v17, v20, v24, vcc
	v_and_b32_sdwa v20, sext(v40), s51 dst_sel:DWORD dst_unused:UNUSED_PAD src0_sel:WORD_0 src1_sel:DWORD
	v_lshl_add_u32 v2, v2, 23, v20
	v_lshl_or_b32 v2, v17, 21, v2
	v_add_u32_e32 v17, 0x38000000, v2
                                        ; implicit-def: $vgpr20
                                        ; implicit-def: $vgpr40
.LBB2_2972:                             ;   in Loop: Header=BB2_2848 Depth=2
	s_andn2_saveexec_b64 s[88:89], s[88:89]
; %bb.2973:                             ;   in Loop: Header=BB2_2848 Depth=2
	v_cmp_lt_i16_e32 vcc, -1, v40
	v_cndmask_b32_e32 v2, v57, v58, vcc
	v_cmp_eq_u32_e32 vcc, 0, v20
	v_cndmask_b32_e32 v17, v59, v2, vcc
; %bb.2974:                             ;   in Loop: Header=BB2_2848 Depth=2
	s_or_b64 exec, exec, s[88:89]
.LBB2_2975:                             ;   in Loop: Header=BB2_2848 Depth=2
	s_or_b64 exec, exec, s[78:79]
.LBB2_2976:                             ;   in Loop: Header=BB2_2848 Depth=2
	s_or_b64 exec, exec, s[18:19]
	v_cmp_ne_u16_e32 vcc, 0, v39
	s_and_saveexec_b64 s[18:19], vcc
	s_cbranch_execz .LBB2_2984
; %bb.2977:                             ;   in Loop: Header=BB2_2848 Depth=2
	v_cmp_ne_u16_e32 vcc, s49, v39
	v_bfrev_b32_e32 v0, 1
	s_and_saveexec_b64 s[78:79], vcc
	s_cbranch_execz .LBB2_2983
; %bb.2978:                             ;   in Loop: Header=BB2_2848 Depth=2
	v_and_b32_e32 v0, 0x7c, v39
	v_and_b32_e32 v20, 3, v39
	v_cmp_ne_u32_e32 vcc, s50, v0
                                        ; implicit-def: $vgpr0
	s_and_saveexec_b64 s[88:89], vcc
	s_xor_b64 s[88:89], exec, s[88:89]
	s_cbranch_execz .LBB2_2980
; %bb.2979:                             ;   in Loop: Header=BB2_2848 Depth=2
	v_ffbh_u32_e32 v2, v20
	v_min_u32_e32 v2, 32, v2
	v_mov_b32_e32 v40, v3
	v_subrev_u32_e32 v24, 29, v2
	v_and_b32_e32 v0, 0xff, v39
	v_lshlrev_b64 v[24:25], v24, v[39:40]
	v_bfe_u32 v0, v0, 2, 5
	v_sub_u32_e32 v2, 30, v2
	v_and_b32_e32 v24, 3, v24
	v_cmp_eq_u32_e32 vcc, 0, v0
	v_cndmask_b32_e32 v0, v0, v2, vcc
	v_cndmask_b32_e32 v2, v20, v24, vcc
	v_and_b32_sdwa v20, sext(v39), s51 dst_sel:DWORD dst_unused:UNUSED_PAD src0_sel:WORD_0 src1_sel:DWORD
	v_lshl_add_u32 v0, v0, 23, v20
	v_lshl_or_b32 v0, v2, 21, v0
	v_add_u32_e32 v0, 0x38000000, v0
                                        ; implicit-def: $vgpr20
                                        ; implicit-def: $vgpr39
.LBB2_2980:                             ;   in Loop: Header=BB2_2848 Depth=2
	s_andn2_saveexec_b64 s[88:89], s[88:89]
; %bb.2981:                             ;   in Loop: Header=BB2_2848 Depth=2
	v_cmp_lt_i16_e32 vcc, -1, v39
	v_cndmask_b32_e32 v0, v57, v58, vcc
	v_cmp_eq_u32_e32 vcc, 0, v20
	v_cndmask_b32_e32 v0, v59, v0, vcc
; %bb.2982:                             ;   in Loop: Header=BB2_2848 Depth=2
	s_or_b64 exec, exec, s[88:89]
.LBB2_2983:                             ;   in Loop: Header=BB2_2848 Depth=2
	s_or_b64 exec, exec, s[78:79]
.LBB2_2984:                             ;   in Loop: Header=BB2_2848 Depth=2
	s_or_b64 exec, exec, s[18:19]
	v_mul_f32_e32 v24, v17, v0
	v_and_b32_e32 v34, 0x7f800000, v24
	v_mov_b32_e32 v35, v3
	v_cmp_ne_u64_e32 vcc, s[58:59], v[34:35]
	v_and_b32_e32 v2, 0x7fffff, v24
                                        ; implicit-def: $vgpr0
	s_and_saveexec_b64 s[18:19], vcc
	s_xor_b64 s[78:79], exec, s[18:19]
	s_cbranch_execz .LBB2_3002
; %bb.2985:                             ;   in Loop: Header=BB2_2848 Depth=2
	v_and_b32_e32 v34, 0x7fffffff, v24
	v_mov_b32_e32 v35, v3
	v_cmp_gt_u64_e32 vcc, s[60:61], v[34:35]
	v_and_b32_sdwa v17, v24, s53 dst_sel:DWORD dst_unused:UNUSED_PAD src0_sel:BYTE_3 src1_sel:DWORD
                                        ; implicit-def: $vgpr0
	s_and_saveexec_b64 s[18:19], vcc
	s_xor_b64 s[88:89], exec, s[18:19]
	s_cbranch_execz .LBB2_2999
; %bb.2986:                             ;   in Loop: Header=BB2_2848 Depth=2
	v_cmp_ne_u32_e32 vcc, 0, v24
	v_mov_b32_e32 v0, 0
	s_and_saveexec_b64 s[90:91], vcc
	s_cbranch_execz .LBB2_2998
; %bb.2987:                             ;   in Loop: Header=BB2_2848 Depth=2
	v_bfe_u32 v0, v24, 23, 8
	v_cmp_gt_u32_e64 s[18:19], s54, v0
	v_sub_u32_e32 v20, 0x71, v0
	v_cmp_eq_u32_e32 vcc, 0, v0
	v_cndmask_b32_e64 v20, 0, v20, s[18:19]
	v_mov_b32_e32 v25, 0x70
	v_or_b32_e32 v24, 0x800000, v2
	v_cndmask_b32_e32 v20, v20, v25, vcc
	v_cndmask_b32_e32 v2, v24, v2, vcc
	v_add_u32_e32 v24, 21, v20
	v_lshlrev_b64 v[24:25], v24, -1
	v_add_u32_e32 v34, 20, v20
	v_lshlrev_b64 v[34:35], v34, 1
	v_lshrrev_b64 v[39:40], v20, v[2:3]
	v_bfi_b32 v25, v25, 0, 0
	v_bfi_b32 v24, v24, 0, v2
	v_cmp_eq_u64_e64 s[18:19], v[24:25], v[34:35]
	v_mov_b32_e32 v41, v40
	v_mov_b32_e32 v40, v39
	s_and_saveexec_b64 s[92:93], s[18:19]
; %bb.2988:                             ;   in Loop: Header=BB2_2848 Depth=2
	v_bfe_u32 v2, v39, 21, 1
	v_add_co_u32_e64 v2, s[18:19], v39, v2
	v_add_co_u32_e64 v40, s[18:19], -1, v2
; %bb.2989:                             ;   in Loop: Header=BB2_2848 Depth=2
	s_or_b64 exec, exec, s[92:93]
	v_add_u32_e32 v0, 0xffffff81, v0
	v_cndmask_b32_e32 v0, v0, v61, vcc
	v_lshrrev_b32_e32 v2, 23, v39
	v_add3_u32 v24, v20, v0, v2
	v_add_u32_e32 v0, 14, v24
	v_and_b32_e32 v2, 0x1fffff, v40
	v_add_u32_e32 v2, v2, v39
	v_cmp_ne_u32_e32 vcc, 0, v0
                                        ; implicit-def: $vgpr39_vgpr40
                                        ; implicit-def: $vgpr20
	s_and_saveexec_b64 s[18:19], vcc
	s_xor_b64 s[18:19], exec, s[18:19]
; %bb.2990:                             ;   in Loop: Header=BB2_2848 Depth=2
	v_cmp_lt_u64_e32 vcc, s[62:63], v[2:3]
	v_add_u32_e32 v20, 15, v24
	v_cndmask_b32_e32 v20, v0, v20, vcc
	v_cndmask_b32_e64 v0, 0, 1, vcc
	v_lshrrev_b64 v[39:40], v0, v[2:3]
; %bb.2991:                             ;   in Loop: Header=BB2_2848 Depth=2
	s_andn2_saveexec_b64 s[18:19], s[18:19]
; %bb.2992:                             ;   in Loop: Header=BB2_2848 Depth=2
	v_mov_b32_e32 v40, v3
	v_bfe_u32 v20, v2, 23, 1
	v_mov_b32_e32 v39, v2
; %bb.2993:                             ;   in Loop: Header=BB2_2848 Depth=2
	s_or_b64 exec, exec, s[18:19]
	v_lshrrev_b64 v[24:25], 21, v[39:40]
	v_cmp_gt_i32_e32 vcc, 32, v20
	v_cndmask_b32_e32 v40, 0, v25, vcc
	v_cndmask_b32_e32 v39, 3, v24, vcc
	v_cmp_ne_u64_e32 vcc, 0, v[39:40]
	v_cmp_ne_u32_e64 s[18:19], 0, v20
	s_or_b64 s[18:19], s[18:19], vcc
                                        ; implicit-def: $vgpr0
	s_and_saveexec_b64 s[92:93], s[18:19]
	s_xor_b64 s[18:19], exec, s[92:93]
; %bb.2994:                             ;   in Loop: Header=BB2_2848 Depth=2
	v_min_i32_e32 v0, 31, v20
	v_lshl_or_b32 v0, v0, 2, v17
	v_and_or_b32 v0, v39, 3, v0
                                        ; implicit-def: $vgpr17
; %bb.2995:                             ;   in Loop: Header=BB2_2848 Depth=2
	s_andn2_saveexec_b64 s[18:19], s[18:19]
; %bb.2996:                             ;   in Loop: Header=BB2_2848 Depth=2
	v_mov_b32_e32 v0, v17
; %bb.2997:                             ;   in Loop: Header=BB2_2848 Depth=2
	s_or_b64 exec, exec, s[18:19]
.LBB2_2998:                             ;   in Loop: Header=BB2_2848 Depth=2
	s_or_b64 exec, exec, s[90:91]
                                        ; implicit-def: $vgpr17
.LBB2_2999:                             ;   in Loop: Header=BB2_2848 Depth=2
	s_andn2_saveexec_b64 s[18:19], s[88:89]
; %bb.3000:                             ;   in Loop: Header=BB2_2848 Depth=2
	v_or_b32_e32 v0, 0x7b, v17
; %bb.3001:                             ;   in Loop: Header=BB2_2848 Depth=2
	s_or_b64 exec, exec, s[18:19]
                                        ; implicit-def: $vgpr24
.LBB2_3002:                             ;   in Loop: Header=BB2_2848 Depth=2
	s_andn2_saveexec_b64 s[18:19], s[78:79]
	s_cbranch_execz .LBB2_3008
; %bb.3003:                             ;   in Loop: Header=BB2_2848 Depth=2
	v_cmp_ne_u64_e32 vcc, 0, v[2:3]
                                        ; implicit-def: $vgpr0
	s_and_saveexec_b64 s[78:79], vcc
	s_xor_b64 s[78:79], exec, s[78:79]
; %bb.3004:                             ;   in Loop: Header=BB2_2848 Depth=2
	v_or_b32_sdwa v0, v24, s52 dst_sel:DWORD dst_unused:UNUSED_PAD src0_sel:BYTE_3 src1_sel:DWORD
                                        ; implicit-def: $vgpr24
; %bb.3005:                             ;   in Loop: Header=BB2_2848 Depth=2
	s_andn2_saveexec_b64 s[78:79], s[78:79]
; %bb.3006:                             ;   in Loop: Header=BB2_2848 Depth=2
	v_cmp_lt_i32_e32 vcc, -1, v24
	v_cndmask_b32_e32 v0, -4, v18, vcc
; %bb.3007:                             ;   in Loop: Header=BB2_2848 Depth=2
	s_or_b64 exec, exec, s[78:79]
.LBB2_3008:                             ;   in Loop: Header=BB2_2848 Depth=2
	s_or_b64 exec, exec, s[18:19]
	v_cmp_ne_u16_e32 vcc, 0, v54
	v_mov_b32_e32 v17, 0
	v_mov_b32_e32 v24, 0
	s_and_saveexec_b64 s[18:19], vcc
	s_cbranch_execz .LBB2_3016
; %bb.3009:                             ;   in Loop: Header=BB2_2848 Depth=2
	v_cmp_ne_u16_e32 vcc, s49, v54
	v_bfrev_b32_e32 v24, 1
	s_and_saveexec_b64 s[78:79], vcc
	s_cbranch_execz .LBB2_3015
; %bb.3010:                             ;   in Loop: Header=BB2_2848 Depth=2
	v_and_b32_e32 v2, 0x7c, v54
	v_and_b32_e32 v20, 3, v54
	v_cmp_ne_u32_e32 vcc, s50, v2
                                        ; implicit-def: $vgpr24
	s_and_saveexec_b64 s[88:89], vcc
	s_xor_b64 s[88:89], exec, s[88:89]
	s_cbranch_execz .LBB2_3012
; %bb.3011:                             ;   in Loop: Header=BB2_2848 Depth=2
	v_ffbh_u32_e32 v24, v20
	v_min_u32_e32 v34, 32, v24
	v_mov_b32_e32 v55, v3
	v_subrev_u32_e32 v24, 29, v34
	v_and_b32_e32 v2, 0xff, v54
	v_lshlrev_b64 v[24:25], v24, v[54:55]
	v_bfe_u32 v2, v2, 2, 5
	v_sub_u32_e32 v25, 30, v34
	v_and_b32_e32 v24, 3, v24
	v_cmp_eq_u32_e32 vcc, 0, v2
	v_cndmask_b32_e32 v2, v2, v25, vcc
	v_cndmask_b32_e32 v20, v20, v24, vcc
	v_and_b32_sdwa v24, sext(v54), s51 dst_sel:DWORD dst_unused:UNUSED_PAD src0_sel:WORD_0 src1_sel:DWORD
	v_lshl_add_u32 v2, v2, 23, v24
	v_lshl_or_b32 v2, v20, 21, v2
	v_add_u32_e32 v24, 0x38000000, v2
                                        ; implicit-def: $vgpr20
                                        ; implicit-def: $vgpr54
.LBB2_3012:                             ;   in Loop: Header=BB2_2848 Depth=2
	s_andn2_saveexec_b64 s[88:89], s[88:89]
; %bb.3013:                             ;   in Loop: Header=BB2_2848 Depth=2
	v_cmp_lt_i16_e32 vcc, -1, v54
	v_cndmask_b32_e32 v2, v57, v58, vcc
	v_cmp_eq_u32_e32 vcc, 0, v20
	v_cndmask_b32_e32 v24, v59, v2, vcc
; %bb.3014:                             ;   in Loop: Header=BB2_2848 Depth=2
	s_or_b64 exec, exec, s[88:89]
.LBB2_3015:                             ;   in Loop: Header=BB2_2848 Depth=2
	s_or_b64 exec, exec, s[78:79]
.LBB2_3016:                             ;   in Loop: Header=BB2_2848 Depth=2
	s_or_b64 exec, exec, s[18:19]
	v_cmp_ne_u16_e32 vcc, 0, v53
	s_and_saveexec_b64 s[18:19], vcc
	s_cbranch_execz .LBB2_3024
; %bb.3017:                             ;   in Loop: Header=BB2_2848 Depth=2
	v_cmp_ne_u16_e32 vcc, s49, v53
	v_bfrev_b32_e32 v17, 1
	s_and_saveexec_b64 s[78:79], vcc
	s_cbranch_execz .LBB2_3023
; %bb.3018:                             ;   in Loop: Header=BB2_2848 Depth=2
	v_and_b32_e32 v2, 0x7c, v53
	v_and_b32_e32 v20, 3, v53
	v_cmp_ne_u32_e32 vcc, s50, v2
                                        ; implicit-def: $vgpr17
	s_and_saveexec_b64 s[88:89], vcc
	s_xor_b64 s[88:89], exec, s[88:89]
	s_cbranch_execz .LBB2_3020
; %bb.3019:                             ;   in Loop: Header=BB2_2848 Depth=2
	v_ffbh_u32_e32 v17, v20
	v_min_u32_e32 v17, 32, v17
	v_mov_b32_e32 v54, v3
	v_subrev_u32_e32 v25, 29, v17
	v_and_b32_e32 v2, 0xff, v53
	v_lshlrev_b64 v[34:35], v25, v[53:54]
	v_bfe_u32 v2, v2, 2, 5
	v_sub_u32_e32 v17, 30, v17
	v_and_b32_e32 v25, 3, v34
	v_cmp_eq_u32_e32 vcc, 0, v2
	v_cndmask_b32_e32 v2, v2, v17, vcc
	v_cndmask_b32_e32 v17, v20, v25, vcc
	v_and_b32_sdwa v20, sext(v53), s51 dst_sel:DWORD dst_unused:UNUSED_PAD src0_sel:WORD_0 src1_sel:DWORD
	v_lshl_add_u32 v2, v2, 23, v20
	v_lshl_or_b32 v2, v17, 21, v2
	v_add_u32_e32 v17, 0x38000000, v2
                                        ; implicit-def: $vgpr20
                                        ; implicit-def: $vgpr53
.LBB2_3020:                             ;   in Loop: Header=BB2_2848 Depth=2
	s_andn2_saveexec_b64 s[88:89], s[88:89]
; %bb.3021:                             ;   in Loop: Header=BB2_2848 Depth=2
	v_cmp_lt_i16_e32 vcc, -1, v53
	v_cndmask_b32_e32 v2, v57, v58, vcc
	v_cmp_eq_u32_e32 vcc, 0, v20
	v_cndmask_b32_e32 v17, v59, v2, vcc
; %bb.3022:                             ;   in Loop: Header=BB2_2848 Depth=2
	s_or_b64 exec, exec, s[88:89]
.LBB2_3023:                             ;   in Loop: Header=BB2_2848 Depth=2
	s_or_b64 exec, exec, s[78:79]
.LBB2_3024:                             ;   in Loop: Header=BB2_2848 Depth=2
	s_or_b64 exec, exec, s[18:19]
	v_mul_f32_e32 v25, v24, v17
	v_and_b32_e32 v34, 0x7f800000, v25
	v_mov_b32_e32 v35, v3
	v_cmp_ne_u64_e32 vcc, s[58:59], v[34:35]
	v_and_b32_e32 v2, 0x7fffff, v25
                                        ; implicit-def: $vgpr24
	s_and_saveexec_b64 s[18:19], vcc
	s_xor_b64 s[78:79], exec, s[18:19]
	s_cbranch_execz .LBB2_3042
; %bb.3025:                             ;   in Loop: Header=BB2_2848 Depth=2
	v_and_b32_e32 v34, 0x7fffffff, v25
	v_mov_b32_e32 v35, v3
	v_cmp_gt_u64_e32 vcc, s[60:61], v[34:35]
	v_and_b32_sdwa v17, v25, s53 dst_sel:DWORD dst_unused:UNUSED_PAD src0_sel:BYTE_3 src1_sel:DWORD
                                        ; implicit-def: $vgpr24
	s_and_saveexec_b64 s[18:19], vcc
	s_xor_b64 s[88:89], exec, s[18:19]
	s_cbranch_execz .LBB2_3039
; %bb.3026:                             ;   in Loop: Header=BB2_2848 Depth=2
	v_cmp_ne_u32_e32 vcc, 0, v25
	v_mov_b32_e32 v24, 0
	s_and_saveexec_b64 s[90:91], vcc
	s_cbranch_execz .LBB2_3038
; %bb.3027:                             ;   in Loop: Header=BB2_2848 Depth=2
	v_bfe_u32 v20, v25, 23, 8
	v_cmp_gt_u32_e64 s[18:19], s54, v20
	v_sub_u32_e32 v24, 0x71, v20
	v_cmp_eq_u32_e32 vcc, 0, v20
	v_cndmask_b32_e64 v24, 0, v24, s[18:19]
	v_mov_b32_e32 v34, 0x70
	v_or_b32_e32 v25, 0x800000, v2
	v_cndmask_b32_e32 v24, v24, v34, vcc
	v_cndmask_b32_e32 v2, v25, v2, vcc
	v_add_u32_e32 v25, 21, v24
	v_lshlrev_b64 v[34:35], v25, -1
	v_add_u32_e32 v25, 20, v24
	v_lshlrev_b64 v[53:54], v25, 1
	v_bfi_b32 v35, v35, 0, 0
	v_bfi_b32 v34, v34, 0, v2
	v_cmp_eq_u64_e64 s[18:19], v[34:35], v[53:54]
	v_lshrrev_b64 v[53:54], v24, v[2:3]
	v_mov_b32_e32 v55, v54
	v_mov_b32_e32 v54, v53
	s_and_saveexec_b64 s[92:93], s[18:19]
; %bb.3028:                             ;   in Loop: Header=BB2_2848 Depth=2
	v_bfe_u32 v2, v53, 21, 1
	v_add_co_u32_e64 v2, s[18:19], v53, v2
	v_add_co_u32_e64 v54, s[18:19], -1, v2
; %bb.3029:                             ;   in Loop: Header=BB2_2848 Depth=2
	s_or_b64 exec, exec, s[92:93]
	v_add_u32_e32 v2, 0xffffff81, v20
	v_cndmask_b32_e32 v2, v2, v61, vcc
	v_lshrrev_b32_e32 v20, 23, v53
	v_add3_u32 v25, v24, v2, v20
	v_add_u32_e32 v24, 14, v25
	v_and_b32_e32 v2, 0x1fffff, v54
	v_add_u32_e32 v2, v2, v53
	v_cmp_ne_u32_e32 vcc, 0, v24
                                        ; implicit-def: $vgpr53_vgpr54
                                        ; implicit-def: $vgpr20
	s_and_saveexec_b64 s[18:19], vcc
	s_xor_b64 s[18:19], exec, s[18:19]
; %bb.3030:                             ;   in Loop: Header=BB2_2848 Depth=2
	v_cmp_lt_u64_e32 vcc, s[62:63], v[2:3]
	v_add_u32_e32 v20, 15, v25
	v_cndmask_b32_e32 v20, v24, v20, vcc
	v_cndmask_b32_e64 v24, 0, 1, vcc
	v_lshrrev_b64 v[53:54], v24, v[2:3]
; %bb.3031:                             ;   in Loop: Header=BB2_2848 Depth=2
	s_andn2_saveexec_b64 s[18:19], s[18:19]
; %bb.3032:                             ;   in Loop: Header=BB2_2848 Depth=2
	v_mov_b32_e32 v54, v3
	v_bfe_u32 v20, v2, 23, 1
	v_mov_b32_e32 v53, v2
; %bb.3033:                             ;   in Loop: Header=BB2_2848 Depth=2
	s_or_b64 exec, exec, s[18:19]
	v_lshrrev_b64 v[24:25], 21, v[53:54]
	v_cmp_gt_i32_e32 vcc, 32, v20
	v_cndmask_b32_e32 v54, 0, v25, vcc
	v_cndmask_b32_e32 v53, 3, v24, vcc
	v_cmp_ne_u64_e32 vcc, 0, v[53:54]
	v_cmp_ne_u32_e64 s[18:19], 0, v20
	s_or_b64 s[18:19], s[18:19], vcc
                                        ; implicit-def: $vgpr24
	s_and_saveexec_b64 s[92:93], s[18:19]
	s_xor_b64 s[18:19], exec, s[92:93]
; %bb.3034:                             ;   in Loop: Header=BB2_2848 Depth=2
	v_min_i32_e32 v2, 31, v20
	v_lshl_or_b32 v2, v2, 2, v17
	v_and_or_b32 v24, v53, 3, v2
                                        ; implicit-def: $vgpr17
; %bb.3035:                             ;   in Loop: Header=BB2_2848 Depth=2
	s_andn2_saveexec_b64 s[18:19], s[18:19]
; %bb.3036:                             ;   in Loop: Header=BB2_2848 Depth=2
	v_mov_b32_e32 v24, v17
; %bb.3037:                             ;   in Loop: Header=BB2_2848 Depth=2
	s_or_b64 exec, exec, s[18:19]
.LBB2_3038:                             ;   in Loop: Header=BB2_2848 Depth=2
	s_or_b64 exec, exec, s[90:91]
                                        ; implicit-def: $vgpr17
.LBB2_3039:                             ;   in Loop: Header=BB2_2848 Depth=2
	s_andn2_saveexec_b64 s[18:19], s[88:89]
; %bb.3040:                             ;   in Loop: Header=BB2_2848 Depth=2
	v_or_b32_e32 v24, 0x7b, v17
; %bb.3041:                             ;   in Loop: Header=BB2_2848 Depth=2
	s_or_b64 exec, exec, s[18:19]
                                        ; implicit-def: $vgpr25
.LBB2_3042:                             ;   in Loop: Header=BB2_2848 Depth=2
	s_andn2_saveexec_b64 s[18:19], s[78:79]
	s_cbranch_execz .LBB2_3048
; %bb.3043:                             ;   in Loop: Header=BB2_2848 Depth=2
	v_cmp_ne_u64_e32 vcc, 0, v[2:3]
                                        ; implicit-def: $vgpr24
	s_and_saveexec_b64 s[78:79], vcc
	s_xor_b64 s[78:79], exec, s[78:79]
; %bb.3044:                             ;   in Loop: Header=BB2_2848 Depth=2
	v_or_b32_sdwa v24, v25, s52 dst_sel:DWORD dst_unused:UNUSED_PAD src0_sel:BYTE_3 src1_sel:DWORD
                                        ; implicit-def: $vgpr25
; %bb.3045:                             ;   in Loop: Header=BB2_2848 Depth=2
	s_andn2_saveexec_b64 s[78:79], s[78:79]
; %bb.3046:                             ;   in Loop: Header=BB2_2848 Depth=2
	v_cmp_lt_i32_e32 vcc, -1, v25
	v_cndmask_b32_e32 v24, -4, v18, vcc
; %bb.3047:                             ;   in Loop: Header=BB2_2848 Depth=2
	s_or_b64 exec, exec, s[78:79]
.LBB2_3048:                             ;   in Loop: Header=BB2_2848 Depth=2
	s_or_b64 exec, exec, s[18:19]
	v_cmp_ne_u16_e32 vcc, 0, v52
	v_mov_b32_e32 v17, 0
	v_mov_b32_e32 v25, 0
	s_and_saveexec_b64 s[18:19], vcc
	s_cbranch_execz .LBB2_3056
; %bb.3049:                             ;   in Loop: Header=BB2_2848 Depth=2
	v_cmp_ne_u16_e32 vcc, s49, v52
	v_bfrev_b32_e32 v25, 1
	s_and_saveexec_b64 s[78:79], vcc
	s_cbranch_execz .LBB2_3055
; %bb.3050:                             ;   in Loop: Header=BB2_2848 Depth=2
	v_and_b32_e32 v2, 0x7c, v52
	v_and_b32_e32 v20, 3, v52
	v_cmp_ne_u32_e32 vcc, s50, v2
                                        ; implicit-def: $vgpr25
	s_and_saveexec_b64 s[88:89], vcc
	s_xor_b64 s[88:89], exec, s[88:89]
	s_cbranch_execz .LBB2_3052
; %bb.3051:                             ;   in Loop: Header=BB2_2848 Depth=2
	v_ffbh_u32_e32 v25, v20
	v_min_u32_e32 v25, 32, v25
	v_and_b32_e32 v2, 0xff, v52
	v_mov_b32_e32 v53, v3
	v_subrev_u32_e32 v34, 29, v25
	v_bfe_u32 v2, v2, 2, 5
	v_lshlrev_b64 v[34:35], v34, v[52:53]
	v_sub_u32_e32 v25, 30, v25
	v_cmp_eq_u32_e32 vcc, 0, v2
	v_and_b32_e32 v34, 3, v34
	v_cndmask_b32_e32 v2, v2, v25, vcc
	v_and_b32_sdwa v25, sext(v52), s51 dst_sel:DWORD dst_unused:UNUSED_PAD src0_sel:WORD_0 src1_sel:DWORD
	v_cndmask_b32_e32 v20, v20, v34, vcc
	v_lshl_add_u32 v2, v2, 23, v25
	v_lshl_or_b32 v2, v20, 21, v2
	v_add_u32_e32 v25, 0x38000000, v2
                                        ; implicit-def: $vgpr20
                                        ; implicit-def: $vgpr52
.LBB2_3052:                             ;   in Loop: Header=BB2_2848 Depth=2
	s_andn2_saveexec_b64 s[88:89], s[88:89]
; %bb.3053:                             ;   in Loop: Header=BB2_2848 Depth=2
	v_cmp_lt_i16_e32 vcc, -1, v52
	v_cndmask_b32_e32 v2, v57, v58, vcc
	v_cmp_eq_u32_e32 vcc, 0, v20
	v_cndmask_b32_e32 v25, v59, v2, vcc
; %bb.3054:                             ;   in Loop: Header=BB2_2848 Depth=2
	s_or_b64 exec, exec, s[88:89]
.LBB2_3055:                             ;   in Loop: Header=BB2_2848 Depth=2
	s_or_b64 exec, exec, s[78:79]
.LBB2_3056:                             ;   in Loop: Header=BB2_2848 Depth=2
	s_or_b64 exec, exec, s[18:19]
	v_cmp_ne_u16_e32 vcc, 0, v51
	s_and_saveexec_b64 s[18:19], vcc
	s_cbranch_execz .LBB2_3064
; %bb.3057:                             ;   in Loop: Header=BB2_2848 Depth=2
	v_cmp_ne_u16_e32 vcc, s49, v51
	v_bfrev_b32_e32 v17, 1
	s_and_saveexec_b64 s[78:79], vcc
	s_cbranch_execz .LBB2_3063
; %bb.3058:                             ;   in Loop: Header=BB2_2848 Depth=2
	v_and_b32_e32 v2, 0x7c, v51
	v_and_b32_e32 v20, 3, v51
	v_cmp_ne_u32_e32 vcc, s50, v2
                                        ; implicit-def: $vgpr17
	s_and_saveexec_b64 s[88:89], vcc
	s_xor_b64 s[88:89], exec, s[88:89]
	s_cbranch_execz .LBB2_3060
; %bb.3059:                             ;   in Loop: Header=BB2_2848 Depth=2
	v_ffbh_u32_e32 v17, v20
	v_min_u32_e32 v17, 32, v17
	v_mov_b32_e32 v52, v3
	v_subrev_u32_e32 v34, 29, v17
	v_and_b32_e32 v2, 0xff, v51
	v_lshlrev_b64 v[34:35], v34, v[51:52]
	v_bfe_u32 v2, v2, 2, 5
	v_sub_u32_e32 v17, 30, v17
	v_and_b32_e32 v34, 3, v34
	v_cmp_eq_u32_e32 vcc, 0, v2
	v_cndmask_b32_e32 v2, v2, v17, vcc
	v_cndmask_b32_e32 v17, v20, v34, vcc
	v_and_b32_sdwa v20, sext(v51), s51 dst_sel:DWORD dst_unused:UNUSED_PAD src0_sel:WORD_0 src1_sel:DWORD
	v_lshl_add_u32 v2, v2, 23, v20
	v_lshl_or_b32 v2, v17, 21, v2
	v_add_u32_e32 v17, 0x38000000, v2
                                        ; implicit-def: $vgpr20
                                        ; implicit-def: $vgpr51
.LBB2_3060:                             ;   in Loop: Header=BB2_2848 Depth=2
	s_andn2_saveexec_b64 s[88:89], s[88:89]
; %bb.3061:                             ;   in Loop: Header=BB2_2848 Depth=2
	v_cmp_lt_i16_e32 vcc, -1, v51
	v_cndmask_b32_e32 v2, v57, v58, vcc
	v_cmp_eq_u32_e32 vcc, 0, v20
	v_cndmask_b32_e32 v17, v59, v2, vcc
; %bb.3062:                             ;   in Loop: Header=BB2_2848 Depth=2
	s_or_b64 exec, exec, s[88:89]
.LBB2_3063:                             ;   in Loop: Header=BB2_2848 Depth=2
	s_or_b64 exec, exec, s[78:79]
.LBB2_3064:                             ;   in Loop: Header=BB2_2848 Depth=2
	s_or_b64 exec, exec, s[18:19]
	v_mul_f32_e32 v39, v25, v17
	v_and_b32_e32 v34, 0x7f800000, v39
	v_mov_b32_e32 v35, v3
	v_cmp_ne_u64_e32 vcc, s[58:59], v[34:35]
	v_and_b32_e32 v2, 0x7fffff, v39
                                        ; implicit-def: $vgpr25
	s_and_saveexec_b64 s[18:19], vcc
	s_xor_b64 s[78:79], exec, s[18:19]
	s_cbranch_execz .LBB2_3082
; %bb.3065:                             ;   in Loop: Header=BB2_2848 Depth=2
	v_and_b32_e32 v34, 0x7fffffff, v39
	v_mov_b32_e32 v35, v3
	v_cmp_gt_u64_e32 vcc, s[60:61], v[34:35]
	v_and_b32_sdwa v17, v39, s53 dst_sel:DWORD dst_unused:UNUSED_PAD src0_sel:BYTE_3 src1_sel:DWORD
                                        ; implicit-def: $vgpr25
	s_and_saveexec_b64 s[18:19], vcc
	s_xor_b64 s[88:89], exec, s[18:19]
	s_cbranch_execz .LBB2_3079
; %bb.3066:                             ;   in Loop: Header=BB2_2848 Depth=2
	v_cmp_ne_u32_e32 vcc, 0, v39
	v_mov_b32_e32 v25, 0
	s_and_saveexec_b64 s[90:91], vcc
	s_cbranch_execz .LBB2_3078
; %bb.3067:                             ;   in Loop: Header=BB2_2848 Depth=2
	v_bfe_u32 v20, v39, 23, 8
	v_cmp_gt_u32_e64 s[18:19], s54, v20
	v_sub_u32_e32 v25, 0x71, v20
	v_cmp_eq_u32_e32 vcc, 0, v20
	v_cndmask_b32_e64 v25, 0, v25, s[18:19]
	v_mov_b32_e32 v35, 0x70
	v_or_b32_e32 v34, 0x800000, v2
	v_cndmask_b32_e32 v25, v25, v35, vcc
	v_cndmask_b32_e32 v2, v34, v2, vcc
	v_add_u32_e32 v34, 21, v25
	v_lshlrev_b64 v[34:35], v34, -1
	v_add_u32_e32 v39, 20, v25
	v_lshlrev_b64 v[51:52], v39, 1
	v_bfi_b32 v35, v35, 0, 0
	v_bfi_b32 v34, v34, 0, v2
	v_cmp_eq_u64_e64 s[18:19], v[34:35], v[51:52]
	v_lshrrev_b64 v[51:52], v25, v[2:3]
	v_mov_b32_e32 v53, v52
	v_mov_b32_e32 v52, v51
	s_and_saveexec_b64 s[92:93], s[18:19]
; %bb.3068:                             ;   in Loop: Header=BB2_2848 Depth=2
	v_bfe_u32 v2, v51, 21, 1
	v_add_co_u32_e64 v2, s[18:19], v51, v2
	v_add_co_u32_e64 v52, s[18:19], -1, v2
; %bb.3069:                             ;   in Loop: Header=BB2_2848 Depth=2
	s_or_b64 exec, exec, s[92:93]
	v_add_u32_e32 v2, 0xffffff81, v20
	v_cndmask_b32_e32 v2, v2, v61, vcc
	v_lshrrev_b32_e32 v20, 23, v51
	v_add3_u32 v39, v25, v2, v20
	v_add_u32_e32 v25, 14, v39
	v_and_b32_e32 v2, 0x1fffff, v52
	v_add_u32_e32 v2, v2, v51
	v_cmp_ne_u32_e32 vcc, 0, v25
                                        ; implicit-def: $vgpr51_vgpr52
                                        ; implicit-def: $vgpr20
	s_and_saveexec_b64 s[18:19], vcc
	s_xor_b64 s[18:19], exec, s[18:19]
; %bb.3070:                             ;   in Loop: Header=BB2_2848 Depth=2
	v_cmp_lt_u64_e32 vcc, s[62:63], v[2:3]
	v_add_u32_e32 v20, 15, v39
	v_cndmask_b32_e32 v20, v25, v20, vcc
	v_cndmask_b32_e64 v25, 0, 1, vcc
	v_lshrrev_b64 v[51:52], v25, v[2:3]
; %bb.3071:                             ;   in Loop: Header=BB2_2848 Depth=2
	s_andn2_saveexec_b64 s[18:19], s[18:19]
; %bb.3072:                             ;   in Loop: Header=BB2_2848 Depth=2
	v_mov_b32_e32 v52, v3
	v_bfe_u32 v20, v2, 23, 1
	v_mov_b32_e32 v51, v2
; %bb.3073:                             ;   in Loop: Header=BB2_2848 Depth=2
	s_or_b64 exec, exec, s[18:19]
	v_lshrrev_b64 v[34:35], 21, v[51:52]
	v_cmp_gt_i32_e32 vcc, 32, v20
	v_cndmask_b32_e32 v52, 0, v35, vcc
	v_cndmask_b32_e32 v51, 3, v34, vcc
	v_cmp_ne_u64_e32 vcc, 0, v[51:52]
	v_cmp_ne_u32_e64 s[18:19], 0, v20
	s_or_b64 s[18:19], s[18:19], vcc
                                        ; implicit-def: $vgpr25
	s_and_saveexec_b64 s[92:93], s[18:19]
	s_xor_b64 s[18:19], exec, s[92:93]
; %bb.3074:                             ;   in Loop: Header=BB2_2848 Depth=2
	v_min_i32_e32 v2, 31, v20
	v_lshl_or_b32 v2, v2, 2, v17
	v_and_or_b32 v25, v51, 3, v2
                                        ; implicit-def: $vgpr17
; %bb.3075:                             ;   in Loop: Header=BB2_2848 Depth=2
	s_andn2_saveexec_b64 s[18:19], s[18:19]
; %bb.3076:                             ;   in Loop: Header=BB2_2848 Depth=2
	v_mov_b32_e32 v25, v17
; %bb.3077:                             ;   in Loop: Header=BB2_2848 Depth=2
	s_or_b64 exec, exec, s[18:19]
.LBB2_3078:                             ;   in Loop: Header=BB2_2848 Depth=2
	s_or_b64 exec, exec, s[90:91]
                                        ; implicit-def: $vgpr17
.LBB2_3079:                             ;   in Loop: Header=BB2_2848 Depth=2
	s_andn2_saveexec_b64 s[18:19], s[88:89]
; %bb.3080:                             ;   in Loop: Header=BB2_2848 Depth=2
	v_or_b32_e32 v25, 0x7b, v17
; %bb.3081:                             ;   in Loop: Header=BB2_2848 Depth=2
	s_or_b64 exec, exec, s[18:19]
                                        ; implicit-def: $vgpr39
.LBB2_3082:                             ;   in Loop: Header=BB2_2848 Depth=2
	s_andn2_saveexec_b64 s[18:19], s[78:79]
	s_cbranch_execz .LBB2_3088
; %bb.3083:                             ;   in Loop: Header=BB2_2848 Depth=2
	v_cmp_ne_u64_e32 vcc, 0, v[2:3]
                                        ; implicit-def: $vgpr25
	s_and_saveexec_b64 s[78:79], vcc
	s_xor_b64 s[78:79], exec, s[78:79]
; %bb.3084:                             ;   in Loop: Header=BB2_2848 Depth=2
	v_or_b32_sdwa v25, v39, s52 dst_sel:DWORD dst_unused:UNUSED_PAD src0_sel:BYTE_3 src1_sel:DWORD
                                        ; implicit-def: $vgpr39
; %bb.3085:                             ;   in Loop: Header=BB2_2848 Depth=2
	s_andn2_saveexec_b64 s[78:79], s[78:79]
; %bb.3086:                             ;   in Loop: Header=BB2_2848 Depth=2
	v_cmp_lt_i32_e32 vcc, -1, v39
	v_cndmask_b32_e32 v25, -4, v18, vcc
; %bb.3087:                             ;   in Loop: Header=BB2_2848 Depth=2
	s_or_b64 exec, exec, s[78:79]
.LBB2_3088:                             ;   in Loop: Header=BB2_2848 Depth=2
	s_or_b64 exec, exec, s[18:19]
	v_cmp_ne_u16_e32 vcc, 0, v50
	v_mov_b32_e32 v17, 0
	v_mov_b32_e32 v34, 0
	s_and_saveexec_b64 s[18:19], vcc
	s_cbranch_execz .LBB2_3096
; %bb.3089:                             ;   in Loop: Header=BB2_2848 Depth=2
	v_cmp_ne_u16_e32 vcc, s49, v50
	v_bfrev_b32_e32 v34, 1
	s_and_saveexec_b64 s[78:79], vcc
	s_cbranch_execz .LBB2_3095
; %bb.3090:                             ;   in Loop: Header=BB2_2848 Depth=2
	v_and_b32_e32 v2, 0x7c, v50
	v_and_b32_e32 v20, 3, v50
	v_cmp_ne_u32_e32 vcc, s50, v2
                                        ; implicit-def: $vgpr34
	s_and_saveexec_b64 s[88:89], vcc
	s_xor_b64 s[88:89], exec, s[88:89]
	s_cbranch_execz .LBB2_3092
; %bb.3091:                             ;   in Loop: Header=BB2_2848 Depth=2
	v_ffbh_u32_e32 v34, v20
	v_min_u32_e32 v39, 32, v34
	v_mov_b32_e32 v51, v3
	v_subrev_u32_e32 v34, 29, v39
	v_and_b32_e32 v2, 0xff, v50
	v_lshlrev_b64 v[34:35], v34, v[50:51]
	v_bfe_u32 v2, v2, 2, 5
	v_sub_u32_e32 v35, 30, v39
	v_and_b32_e32 v34, 3, v34
	v_cmp_eq_u32_e32 vcc, 0, v2
	v_cndmask_b32_e32 v2, v2, v35, vcc
	v_cndmask_b32_e32 v20, v20, v34, vcc
	v_and_b32_sdwa v34, sext(v50), s51 dst_sel:DWORD dst_unused:UNUSED_PAD src0_sel:WORD_0 src1_sel:DWORD
	v_lshl_add_u32 v2, v2, 23, v34
	v_lshl_or_b32 v2, v20, 21, v2
	v_add_u32_e32 v34, 0x38000000, v2
                                        ; implicit-def: $vgpr20
                                        ; implicit-def: $vgpr50
.LBB2_3092:                             ;   in Loop: Header=BB2_2848 Depth=2
	s_andn2_saveexec_b64 s[88:89], s[88:89]
; %bb.3093:                             ;   in Loop: Header=BB2_2848 Depth=2
	v_cmp_lt_i16_e32 vcc, -1, v50
	v_cndmask_b32_e32 v2, v57, v58, vcc
	v_cmp_eq_u32_e32 vcc, 0, v20
	v_cndmask_b32_e32 v34, v59, v2, vcc
; %bb.3094:                             ;   in Loop: Header=BB2_2848 Depth=2
	s_or_b64 exec, exec, s[88:89]
.LBB2_3095:                             ;   in Loop: Header=BB2_2848 Depth=2
	s_or_b64 exec, exec, s[78:79]
.LBB2_3096:                             ;   in Loop: Header=BB2_2848 Depth=2
	s_or_b64 exec, exec, s[18:19]
	v_cmp_ne_u16_e32 vcc, 0, v49
	s_and_saveexec_b64 s[18:19], vcc
	s_cbranch_execz .LBB2_3104
; %bb.3097:                             ;   in Loop: Header=BB2_2848 Depth=2
	v_cmp_ne_u16_e32 vcc, s49, v49
	v_bfrev_b32_e32 v17, 1
	s_and_saveexec_b64 s[78:79], vcc
	s_cbranch_execz .LBB2_3103
; %bb.3098:                             ;   in Loop: Header=BB2_2848 Depth=2
	v_and_b32_e32 v2, 0x7c, v49
	v_and_b32_e32 v20, 3, v49
	v_cmp_ne_u32_e32 vcc, s50, v2
                                        ; implicit-def: $vgpr17
	s_and_saveexec_b64 s[88:89], vcc
	s_xor_b64 s[88:89], exec, s[88:89]
	s_cbranch_execz .LBB2_3100
; %bb.3099:                             ;   in Loop: Header=BB2_2848 Depth=2
	v_ffbh_u32_e32 v17, v20
	v_min_u32_e32 v17, 32, v17
	v_mov_b32_e32 v50, v3
	v_subrev_u32_e32 v35, 29, v17
	v_and_b32_e32 v2, 0xff, v49
	v_lshlrev_b64 v[50:51], v35, v[49:50]
	v_bfe_u32 v2, v2, 2, 5
	v_sub_u32_e32 v17, 30, v17
	v_and_b32_e32 v35, 3, v50
	v_cmp_eq_u32_e32 vcc, 0, v2
	v_cndmask_b32_e32 v2, v2, v17, vcc
	v_cndmask_b32_e32 v17, v20, v35, vcc
	v_and_b32_sdwa v20, sext(v49), s51 dst_sel:DWORD dst_unused:UNUSED_PAD src0_sel:WORD_0 src1_sel:DWORD
	v_lshl_add_u32 v2, v2, 23, v20
	v_lshl_or_b32 v2, v17, 21, v2
	v_add_u32_e32 v17, 0x38000000, v2
                                        ; implicit-def: $vgpr20
                                        ; implicit-def: $vgpr49
.LBB2_3100:                             ;   in Loop: Header=BB2_2848 Depth=2
	s_andn2_saveexec_b64 s[88:89], s[88:89]
; %bb.3101:                             ;   in Loop: Header=BB2_2848 Depth=2
	v_cmp_lt_i16_e32 vcc, -1, v49
	v_cndmask_b32_e32 v2, v57, v58, vcc
	v_cmp_eq_u32_e32 vcc, 0, v20
	v_cndmask_b32_e32 v17, v59, v2, vcc
; %bb.3102:                             ;   in Loop: Header=BB2_2848 Depth=2
	s_or_b64 exec, exec, s[88:89]
.LBB2_3103:                             ;   in Loop: Header=BB2_2848 Depth=2
	s_or_b64 exec, exec, s[78:79]
.LBB2_3104:                             ;   in Loop: Header=BB2_2848 Depth=2
	s_or_b64 exec, exec, s[18:19]
	v_mul_f32_e32 v49, v34, v17
	v_and_b32_e32 v34, 0x7f800000, v49
	v_mov_b32_e32 v35, v3
	v_cmp_ne_u64_e32 vcc, s[58:59], v[34:35]
	v_and_b32_e32 v2, 0x7fffff, v49
                                        ; implicit-def: $vgpr39
	s_and_saveexec_b64 s[18:19], vcc
	s_xor_b64 s[78:79], exec, s[18:19]
	s_cbranch_execz .LBB2_3122
; %bb.3105:                             ;   in Loop: Header=BB2_2848 Depth=2
	v_and_b32_e32 v34, 0x7fffffff, v49
	v_mov_b32_e32 v35, v3
	v_cmp_gt_u64_e32 vcc, s[60:61], v[34:35]
	v_and_b32_sdwa v17, v49, s53 dst_sel:DWORD dst_unused:UNUSED_PAD src0_sel:BYTE_3 src1_sel:DWORD
                                        ; implicit-def: $vgpr39
	s_and_saveexec_b64 s[18:19], vcc
	s_xor_b64 s[88:89], exec, s[18:19]
	s_cbranch_execz .LBB2_3119
; %bb.3106:                             ;   in Loop: Header=BB2_2848 Depth=2
	v_cmp_ne_u32_e32 vcc, 0, v49
	v_mov_b32_e32 v39, 0
	s_and_saveexec_b64 s[90:91], vcc
	s_cbranch_execz .LBB2_3118
; %bb.3107:                             ;   in Loop: Header=BB2_2848 Depth=2
	v_bfe_u32 v20, v49, 23, 8
	v_cmp_gt_u32_e64 s[18:19], s54, v20
	v_sub_u32_e32 v34, 0x71, v20
	v_cmp_eq_u32_e32 vcc, 0, v20
	v_cndmask_b32_e64 v34, 0, v34, s[18:19]
	v_mov_b32_e32 v39, 0x70
	v_cndmask_b32_e32 v39, v34, v39, vcc
	v_or_b32_e32 v35, 0x800000, v2
	v_add_u32_e32 v34, 21, v39
	v_cndmask_b32_e32 v2, v35, v2, vcc
	v_lshlrev_b64 v[34:35], v34, -1
	v_add_u32_e32 v49, 20, v39
	v_lshlrev_b64 v[49:50], v49, 1
	v_bfi_b32 v35, v35, 0, 0
	v_bfi_b32 v34, v34, 0, v2
	v_cmp_eq_u64_e64 s[18:19], v[34:35], v[49:50]
	v_lshrrev_b64 v[49:50], v39, v[2:3]
	v_mov_b32_e32 v51, v50
	v_mov_b32_e32 v50, v49
	s_and_saveexec_b64 s[92:93], s[18:19]
; %bb.3108:                             ;   in Loop: Header=BB2_2848 Depth=2
	v_bfe_u32 v2, v49, 21, 1
	v_add_co_u32_e64 v2, s[18:19], v49, v2
	v_add_co_u32_e64 v50, s[18:19], -1, v2
; %bb.3109:                             ;   in Loop: Header=BB2_2848 Depth=2
	s_or_b64 exec, exec, s[92:93]
	v_add_u32_e32 v2, 0xffffff81, v20
	v_cndmask_b32_e32 v2, v2, v61, vcc
	v_lshrrev_b32_e32 v20, 23, v49
	v_add3_u32 v51, v39, v2, v20
	v_add_u32_e32 v39, 14, v51
	v_and_b32_e32 v2, 0x1fffff, v50
	v_add_u32_e32 v2, v2, v49
	v_cmp_ne_u32_e32 vcc, 0, v39
                                        ; implicit-def: $vgpr49_vgpr50
                                        ; implicit-def: $vgpr20
	s_and_saveexec_b64 s[18:19], vcc
	s_xor_b64 s[18:19], exec, s[18:19]
; %bb.3110:                             ;   in Loop: Header=BB2_2848 Depth=2
	v_cmp_lt_u64_e32 vcc, s[62:63], v[2:3]
	v_add_u32_e32 v20, 15, v51
	v_cndmask_b32_e64 v34, 0, 1, vcc
	v_lshrrev_b64 v[49:50], v34, v[2:3]
	v_cndmask_b32_e32 v20, v39, v20, vcc
; %bb.3111:                             ;   in Loop: Header=BB2_2848 Depth=2
	s_andn2_saveexec_b64 s[18:19], s[18:19]
; %bb.3112:                             ;   in Loop: Header=BB2_2848 Depth=2
	v_mov_b32_e32 v50, v3
	v_bfe_u32 v20, v2, 23, 1
	v_mov_b32_e32 v49, v2
; %bb.3113:                             ;   in Loop: Header=BB2_2848 Depth=2
	s_or_b64 exec, exec, s[18:19]
	v_lshrrev_b64 v[34:35], 21, v[49:50]
	v_cmp_gt_i32_e32 vcc, 32, v20
	v_cndmask_b32_e32 v50, 0, v35, vcc
	v_cndmask_b32_e32 v49, 3, v34, vcc
	v_cmp_ne_u64_e32 vcc, 0, v[49:50]
	v_cmp_ne_u32_e64 s[18:19], 0, v20
	s_or_b64 s[18:19], s[18:19], vcc
                                        ; implicit-def: $vgpr39
	s_and_saveexec_b64 s[92:93], s[18:19]
	s_xor_b64 s[18:19], exec, s[92:93]
; %bb.3114:                             ;   in Loop: Header=BB2_2848 Depth=2
	v_min_i32_e32 v2, 31, v20
	v_lshl_or_b32 v2, v2, 2, v17
	v_and_or_b32 v39, v49, 3, v2
                                        ; implicit-def: $vgpr17
; %bb.3115:                             ;   in Loop: Header=BB2_2848 Depth=2
	s_andn2_saveexec_b64 s[18:19], s[18:19]
; %bb.3116:                             ;   in Loop: Header=BB2_2848 Depth=2
	v_mov_b32_e32 v39, v17
; %bb.3117:                             ;   in Loop: Header=BB2_2848 Depth=2
	s_or_b64 exec, exec, s[18:19]
.LBB2_3118:                             ;   in Loop: Header=BB2_2848 Depth=2
	s_or_b64 exec, exec, s[90:91]
                                        ; implicit-def: $vgpr17
.LBB2_3119:                             ;   in Loop: Header=BB2_2848 Depth=2
	s_andn2_saveexec_b64 s[18:19], s[88:89]
; %bb.3120:                             ;   in Loop: Header=BB2_2848 Depth=2
	v_or_b32_e32 v39, 0x7b, v17
; %bb.3121:                             ;   in Loop: Header=BB2_2848 Depth=2
	s_or_b64 exec, exec, s[18:19]
                                        ; implicit-def: $vgpr49
.LBB2_3122:                             ;   in Loop: Header=BB2_2848 Depth=2
	s_andn2_saveexec_b64 s[18:19], s[78:79]
	s_cbranch_execz .LBB2_3128
; %bb.3123:                             ;   in Loop: Header=BB2_2848 Depth=2
	v_cmp_ne_u64_e32 vcc, 0, v[2:3]
                                        ; implicit-def: $vgpr39
	s_and_saveexec_b64 s[78:79], vcc
	s_xor_b64 s[78:79], exec, s[78:79]
; %bb.3124:                             ;   in Loop: Header=BB2_2848 Depth=2
	v_or_b32_sdwa v39, v49, s52 dst_sel:DWORD dst_unused:UNUSED_PAD src0_sel:BYTE_3 src1_sel:DWORD
                                        ; implicit-def: $vgpr49
; %bb.3125:                             ;   in Loop: Header=BB2_2848 Depth=2
	s_andn2_saveexec_b64 s[78:79], s[78:79]
; %bb.3126:                             ;   in Loop: Header=BB2_2848 Depth=2
	v_cmp_lt_i32_e32 vcc, -1, v49
	v_cndmask_b32_e32 v39, -4, v18, vcc
; %bb.3127:                             ;   in Loop: Header=BB2_2848 Depth=2
	s_or_b64 exec, exec, s[78:79]
.LBB2_3128:                             ;   in Loop: Header=BB2_2848 Depth=2
	s_or_b64 exec, exec, s[18:19]
	v_cmp_ne_u16_e32 vcc, 0, v48
	v_mov_b32_e32 v17, 0
	v_mov_b32_e32 v34, 0
	s_and_saveexec_b64 s[18:19], vcc
	s_cbranch_execz .LBB2_3136
; %bb.3129:                             ;   in Loop: Header=BB2_2848 Depth=2
	v_cmp_ne_u16_e32 vcc, s49, v48
	v_bfrev_b32_e32 v34, 1
	s_and_saveexec_b64 s[78:79], vcc
	s_cbranch_execz .LBB2_3135
; %bb.3130:                             ;   in Loop: Header=BB2_2848 Depth=2
	v_and_b32_e32 v2, 0x7c, v48
	v_and_b32_e32 v20, 3, v48
	v_cmp_ne_u32_e32 vcc, s50, v2
                                        ; implicit-def: $vgpr34
	s_and_saveexec_b64 s[88:89], vcc
	s_xor_b64 s[88:89], exec, s[88:89]
	s_cbranch_execz .LBB2_3132
; %bb.3131:                             ;   in Loop: Header=BB2_2848 Depth=2
	v_ffbh_u32_e32 v34, v20
	v_min_u32_e32 v50, 32, v34
	v_mov_b32_e32 v49, v3
	v_subrev_u32_e32 v34, 29, v50
	v_and_b32_e32 v2, 0xff, v48
	v_lshlrev_b64 v[34:35], v34, v[48:49]
	v_bfe_u32 v2, v2, 2, 5
	v_sub_u32_e32 v35, 30, v50
	v_and_b32_e32 v34, 3, v34
	v_cmp_eq_u32_e32 vcc, 0, v2
	v_cndmask_b32_e32 v2, v2, v35, vcc
	v_cndmask_b32_e32 v20, v20, v34, vcc
	v_and_b32_sdwa v34, sext(v48), s51 dst_sel:DWORD dst_unused:UNUSED_PAD src0_sel:WORD_0 src1_sel:DWORD
	v_lshl_add_u32 v2, v2, 23, v34
	v_lshl_or_b32 v2, v20, 21, v2
	v_add_u32_e32 v34, 0x38000000, v2
                                        ; implicit-def: $vgpr20
                                        ; implicit-def: $vgpr48
.LBB2_3132:                             ;   in Loop: Header=BB2_2848 Depth=2
	s_andn2_saveexec_b64 s[88:89], s[88:89]
; %bb.3133:                             ;   in Loop: Header=BB2_2848 Depth=2
	v_cmp_lt_i16_e32 vcc, -1, v48
	v_cndmask_b32_e32 v2, v57, v58, vcc
	v_cmp_eq_u32_e32 vcc, 0, v20
	v_cndmask_b32_e32 v34, v59, v2, vcc
; %bb.3134:                             ;   in Loop: Header=BB2_2848 Depth=2
	s_or_b64 exec, exec, s[88:89]
.LBB2_3135:                             ;   in Loop: Header=BB2_2848 Depth=2
	s_or_b64 exec, exec, s[78:79]
.LBB2_3136:                             ;   in Loop: Header=BB2_2848 Depth=2
	s_or_b64 exec, exec, s[18:19]
	v_cmp_ne_u16_e32 vcc, 0, v16
	s_and_saveexec_b64 s[18:19], vcc
	s_cbranch_execz .LBB2_3144
; %bb.3137:                             ;   in Loop: Header=BB2_2848 Depth=2
	v_cmp_ne_u16_e32 vcc, s49, v16
	v_bfrev_b32_e32 v17, 1
	s_and_saveexec_b64 s[78:79], vcc
	s_cbranch_execz .LBB2_3143
; %bb.3138:                             ;   in Loop: Header=BB2_2848 Depth=2
	v_and_b32_e32 v2, 0x7c, v16
	v_and_b32_e32 v20, 3, v16
	v_cmp_ne_u32_e32 vcc, s50, v2
                                        ; implicit-def: $vgpr17
	s_and_saveexec_b64 s[88:89], vcc
	s_xor_b64 s[88:89], exec, s[88:89]
	s_cbranch_execz .LBB2_3140
; %bb.3139:                             ;   in Loop: Header=BB2_2848 Depth=2
	v_ffbh_u32_e32 v35, v20
	v_min_u32_e32 v35, 32, v35
	v_and_b32_e32 v2, 0xff, v16
	v_mov_b32_e32 v17, v3
	v_subrev_u32_e32 v48, 29, v35
	v_bfe_u32 v2, v2, 2, 5
	v_lshlrev_b64 v[48:49], v48, v[16:17]
	v_sub_u32_e32 v17, 30, v35
	v_cmp_eq_u32_e32 vcc, 0, v2
	v_and_b32_e32 v35, 3, v48
	v_cndmask_b32_e32 v2, v2, v17, vcc
	v_and_b32_sdwa v16, sext(v16), s51 dst_sel:DWORD dst_unused:UNUSED_PAD src0_sel:WORD_0 src1_sel:DWORD
	v_cndmask_b32_e32 v17, v20, v35, vcc
	v_lshl_add_u32 v2, v2, 23, v16
	v_lshl_or_b32 v2, v17, 21, v2
	v_add_u32_e32 v17, 0x38000000, v2
                                        ; implicit-def: $vgpr20
                                        ; implicit-def: $vgpr16
.LBB2_3140:                             ;   in Loop: Header=BB2_2848 Depth=2
	s_andn2_saveexec_b64 s[88:89], s[88:89]
; %bb.3141:                             ;   in Loop: Header=BB2_2848 Depth=2
	v_cmp_lt_i16_e32 vcc, -1, v16
	v_cndmask_b32_e32 v2, v57, v58, vcc
	v_cmp_eq_u32_e32 vcc, 0, v20
	v_cndmask_b32_e32 v17, v59, v2, vcc
; %bb.3142:                             ;   in Loop: Header=BB2_2848 Depth=2
	s_or_b64 exec, exec, s[88:89]
.LBB2_3143:                             ;   in Loop: Header=BB2_2848 Depth=2
	s_or_b64 exec, exec, s[78:79]
.LBB2_3144:                             ;   in Loop: Header=BB2_2848 Depth=2
	s_or_b64 exec, exec, s[18:19]
	v_mul_f32_e32 v16, v34, v17
	v_and_b32_e32 v34, 0x7f800000, v16
	v_mov_b32_e32 v35, v3
	v_cmp_ne_u64_e32 vcc, s[58:59], v[34:35]
	v_and_b32_e32 v2, 0x7fffff, v16
                                        ; implicit-def: $vgpr17
	s_and_saveexec_b64 s[18:19], vcc
	s_xor_b64 s[78:79], exec, s[18:19]
	s_cbranch_execz .LBB2_3162
; %bb.3145:                             ;   in Loop: Header=BB2_2848 Depth=2
	v_and_b32_e32 v34, 0x7fffffff, v16
	v_mov_b32_e32 v35, v3
	v_cmp_gt_u64_e32 vcc, s[60:61], v[34:35]
	v_and_b32_sdwa v50, v16, s53 dst_sel:DWORD dst_unused:UNUSED_PAD src0_sel:BYTE_3 src1_sel:DWORD
                                        ; implicit-def: $vgpr17
	s_and_saveexec_b64 s[18:19], vcc
	s_xor_b64 s[88:89], exec, s[18:19]
	s_cbranch_execz .LBB2_3159
; %bb.3146:                             ;   in Loop: Header=BB2_2848 Depth=2
	v_cmp_ne_u32_e32 vcc, 0, v16
	v_mov_b32_e32 v17, 0
	s_and_saveexec_b64 s[90:91], vcc
	s_cbranch_execz .LBB2_3158
; %bb.3147:                             ;   in Loop: Header=BB2_2848 Depth=2
	v_bfe_u32 v20, v16, 23, 8
	v_cmp_gt_u32_e64 s[18:19], s54, v20
	v_sub_u32_e32 v16, 0x71, v20
	v_cmp_eq_u32_e32 vcc, 0, v20
	v_cndmask_b32_e64 v16, 0, v16, s[18:19]
	v_mov_b32_e32 v34, 0x70
	v_cndmask_b32_e32 v51, v16, v34, vcc
	v_or_b32_e32 v17, 0x800000, v2
	v_add_u32_e32 v16, 21, v51
	v_cndmask_b32_e32 v2, v17, v2, vcc
	v_lshlrev_b64 v[16:17], v16, -1
	v_add_u32_e32 v34, 20, v51
	v_lshlrev_b64 v[34:35], v34, 1
	v_bfi_b32 v17, v17, 0, 0
	v_bfi_b32 v16, v16, 0, v2
	v_cmp_eq_u64_e64 s[18:19], v[16:17], v[34:35]
	v_lshrrev_b64 v[16:17], v51, v[2:3]
	v_mov_b32_e32 v49, v17
	v_mov_b32_e32 v48, v16
	s_and_saveexec_b64 s[92:93], s[18:19]
; %bb.3148:                             ;   in Loop: Header=BB2_2848 Depth=2
	v_bfe_u32 v2, v16, 21, 1
	v_add_co_u32_e64 v2, s[18:19], v16, v2
	v_add_co_u32_e64 v48, s[18:19], -1, v2
; %bb.3149:                             ;   in Loop: Header=BB2_2848 Depth=2
	s_or_b64 exec, exec, s[92:93]
	v_add_u32_e32 v2, 0xffffff81, v20
	v_cndmask_b32_e32 v2, v2, v61, vcc
	v_lshrrev_b32_e32 v17, 23, v16
	v_add3_u32 v51, v51, v2, v17
	v_add_u32_e32 v49, 14, v51
	v_and_b32_e32 v2, 0x1fffff, v48
	v_add_u32_e32 v2, v2, v16
	v_cmp_ne_u32_e32 vcc, 0, v49
                                        ; implicit-def: $vgpr16_vgpr17
                                        ; implicit-def: $vgpr20
	s_and_saveexec_b64 s[18:19], vcc
	s_xor_b64 s[18:19], exec, s[18:19]
; %bb.3150:                             ;   in Loop: Header=BB2_2848 Depth=2
	v_cmp_lt_u64_e32 vcc, s[62:63], v[2:3]
	v_add_u32_e32 v16, 15, v51
	v_cndmask_b32_e32 v20, v49, v16, vcc
	v_cndmask_b32_e64 v16, 0, 1, vcc
	v_lshrrev_b64 v[16:17], v16, v[2:3]
; %bb.3151:                             ;   in Loop: Header=BB2_2848 Depth=2
	s_andn2_saveexec_b64 s[18:19], s[18:19]
; %bb.3152:                             ;   in Loop: Header=BB2_2848 Depth=2
	v_mov_b32_e32 v17, v3
	v_bfe_u32 v20, v2, 23, 1
	v_mov_b32_e32 v16, v2
; %bb.3153:                             ;   in Loop: Header=BB2_2848 Depth=2
	s_or_b64 exec, exec, s[18:19]
	v_lshrrev_b64 v[16:17], 21, v[16:17]
	v_cmp_gt_i32_e32 vcc, 32, v20
	v_cndmask_b32_e32 v17, 0, v17, vcc
	v_cndmask_b32_e32 v16, 3, v16, vcc
	v_cmp_ne_u64_e32 vcc, 0, v[16:17]
	v_cmp_ne_u32_e64 s[18:19], 0, v20
	s_or_b64 s[18:19], s[18:19], vcc
                                        ; implicit-def: $vgpr17
	s_and_saveexec_b64 s[92:93], s[18:19]
	s_xor_b64 s[18:19], exec, s[92:93]
; %bb.3154:                             ;   in Loop: Header=BB2_2848 Depth=2
	v_min_i32_e32 v2, 31, v20
	v_lshl_or_b32 v2, v2, 2, v50
	v_and_or_b32 v17, v16, 3, v2
                                        ; implicit-def: $vgpr50
; %bb.3155:                             ;   in Loop: Header=BB2_2848 Depth=2
	s_andn2_saveexec_b64 s[18:19], s[18:19]
; %bb.3156:                             ;   in Loop: Header=BB2_2848 Depth=2
	v_mov_b32_e32 v17, v50
; %bb.3157:                             ;   in Loop: Header=BB2_2848 Depth=2
	s_or_b64 exec, exec, s[18:19]
.LBB2_3158:                             ;   in Loop: Header=BB2_2848 Depth=2
	s_or_b64 exec, exec, s[90:91]
                                        ; implicit-def: $vgpr50
.LBB2_3159:                             ;   in Loop: Header=BB2_2848 Depth=2
	s_andn2_saveexec_b64 s[18:19], s[88:89]
; %bb.3160:                             ;   in Loop: Header=BB2_2848 Depth=2
	v_or_b32_e32 v17, 0x7b, v50
; %bb.3161:                             ;   in Loop: Header=BB2_2848 Depth=2
	s_or_b64 exec, exec, s[18:19]
                                        ; implicit-def: $vgpr16
.LBB2_3162:                             ;   in Loop: Header=BB2_2848 Depth=2
	s_andn2_saveexec_b64 s[18:19], s[78:79]
	s_cbranch_execz .LBB2_2847
; %bb.3163:                             ;   in Loop: Header=BB2_2848 Depth=2
	v_cmp_ne_u64_e32 vcc, 0, v[2:3]
                                        ; implicit-def: $vgpr17
	s_and_saveexec_b64 s[78:79], vcc
	s_xor_b64 s[78:79], exec, s[78:79]
; %bb.3164:                             ;   in Loop: Header=BB2_2848 Depth=2
	v_or_b32_sdwa v17, v16, s52 dst_sel:DWORD dst_unused:UNUSED_PAD src0_sel:BYTE_3 src1_sel:DWORD
                                        ; implicit-def: $vgpr16
; %bb.3165:                             ;   in Loop: Header=BB2_2848 Depth=2
	s_andn2_saveexec_b64 s[78:79], s[78:79]
	s_cbranch_execz .LBB2_2846
; %bb.3166:                             ;   in Loop: Header=BB2_2848 Depth=2
	v_cmp_lt_i32_e32 vcc, -1, v16
	v_cndmask_b32_e32 v17, -4, v18, vcc
	s_branch .LBB2_2846
.LBB2_3167:                             ;   in Loop: Header=BB2_1673 Depth=1
	s_or_b64 exec, exec, s[76:77]
	buffer_load_dword v54, off, s[0:3], s33 offset:76 ; 4-byte Folded Reload
	buffer_load_dword v55, off, s[0:3], s33 offset:80 ; 4-byte Folded Reload
	;; [unrolled: 1-line block ×6, first 2 shown]
.LBB2_3168:                             ;   in Loop: Header=BB2_1673 Depth=1
	s_or_b64 exec, exec, s[22:23]
	buffer_load_dword v2, off, s[0:3], s33 offset:92 ; 4-byte Folded Reload
	s_waitcnt vmcnt(0)
	v_and_b32_e32 v10, 0x7ffffe00, v2
	v_cmp_ne_u32_e32 vcc, v2, v10
	s_and_b64 exec, exec, vcc
	s_cbranch_execz .LBB2_3212
; %bb.3169:                             ;   in Loop: Header=BB2_1673 Depth=1
	v_lshlrev_b32_e32 v0, 6, v21
	v_sub_u32_e32 v0, v1, v0
	v_lshlrev_b32_e32 v1, 6, v30
	v_sub_u32_e32 v1, v0, v1
	v_and_b32_e32 v0, 0x1ff, v2
	v_sub_u32_e32 v0, v0, v1
	v_cmp_lt_i32_e32 vcc, 0, v0
	s_and_b64 exec, exec, vcc
	s_cbranch_execz .LBB2_3212
; %bb.3170:                             ;   in Loop: Header=BB2_1673 Depth=1
	s_trap 2
	buffer_load_dword v2, off, s[0:3], s33 offset:88 ; 4-byte Folded Reload
	ds_read_b128 v[11:14], v0
	s_mov_b64 s[22:23], 0
	s_waitcnt vmcnt(0)
	v_add3_u32 v15, v10, v2, v1
	ds_read_b64 v[1:2], v0
	v_ashrrev_i32_e32 v16, 31, v15
	s_waitcnt lgkmcnt(0)
	v_add_co_u32_e32 v10, vcc, v11, v15
	v_addc_co_u32_e32 v11, vcc, v12, v16, vcc
	v_add_co_u32_e32 v12, vcc, v13, v15
	v_addc_co_u32_e32 v13, vcc, v14, v16, vcc
	;; [unrolled: 2-line block ×3, first 2 shown]
	s_branch .LBB2_3173
.LBB2_3171:                             ;   in Loop: Header=BB2_3173 Depth=2
	s_or_b64 exec, exec, s[76:77]
.LBB2_3172:                             ;   in Loop: Header=BB2_3173 Depth=2
	s_or_b64 exec, exec, s[18:19]
	v_add_co_u32_e32 v10, vcc, v10, v34
	v_addc_co_u32_e32 v11, vcc, 0, v11, vcc
	v_add_co_u32_e32 v12, vcc, v12, v34
	v_addc_co_u32_e32 v13, vcc, 0, v13, vcc
	v_sub_u32_e32 v0, v0, v34
	v_cmp_gt_i32_e32 vcc, 1, v0
	flat_store_byte v[14:15], v17 glc slc
	s_or_b64 s[22:23], vcc, s[22:23]
	v_add_co_u32_e32 v14, vcc, v14, v34
	v_addc_co_u32_e32 v15, vcc, 0, v15, vcc
	s_andn2_b64 exec, exec, s[22:23]
	s_cbranch_execz .LBB2_3212
.LBB2_3173:                             ;   Parent Loop BB2_1673 Depth=1
                                        ; =>  This Inner Loop Header: Depth=2
	flat_load_sbyte v2, v[10:11] glc slc
	flat_load_sbyte v16, v[12:13] glc slc
	v_mov_b32_e32 v1, 0
	v_mov_b32_e32 v21, 0
	s_waitcnt vmcnt(0) lgkmcnt(0)
	v_cmp_ne_u16_e32 vcc, 0, v2
	s_and_saveexec_b64 s[18:19], vcc
	s_cbranch_execz .LBB2_3181
; %bb.3174:                             ;   in Loop: Header=BB2_3173 Depth=2
	v_cmp_ne_u16_e32 vcc, s49, v2
	v_bfrev_b32_e32 v21, 1
	s_and_saveexec_b64 s[76:77], vcc
	s_cbranch_execz .LBB2_3180
; %bb.3175:                             ;   in Loop: Header=BB2_3173 Depth=2
	v_and_b32_e32 v20, 0x7c, v2
	v_and_b32_e32 v17, 3, v2
	v_cmp_ne_u32_e32 vcc, s50, v20
                                        ; implicit-def: $vgpr21
	s_and_saveexec_b64 s[78:79], vcc
	s_xor_b64 s[78:79], exec, s[78:79]
	s_cbranch_execz .LBB2_3177
; %bb.3176:                             ;   in Loop: Header=BB2_3173 Depth=2
	v_and_b32_e32 v20, 0xff, v2
	v_bfe_u32 v24, v20, 2, 5
	v_ffbh_u32_e32 v20, v17
	v_min_u32_e32 v25, 32, v20
	v_subrev_u32_e32 v20, 29, v25
	v_lshlrev_b64 v[20:21], v20, v[2:3]
	v_sub_u32_e32 v21, 30, v25
	v_cmp_eq_u32_e32 vcc, 0, v24
	v_and_b32_e32 v20, 3, v20
	v_cndmask_b32_e32 v21, v24, v21, vcc
	v_and_b32_sdwa v2, sext(v2), s51 dst_sel:DWORD dst_unused:UNUSED_PAD src0_sel:WORD_0 src1_sel:DWORD
	v_cndmask_b32_e32 v17, v17, v20, vcc
	v_lshl_add_u32 v2, v21, 23, v2
	v_lshl_or_b32 v2, v17, 21, v2
	v_add_u32_e32 v21, 0x38000000, v2
                                        ; implicit-def: $vgpr17
.LBB2_3177:                             ;   in Loop: Header=BB2_3173 Depth=2
	s_andn2_saveexec_b64 s[78:79], s[78:79]
; %bb.3178:                             ;   in Loop: Header=BB2_3173 Depth=2
	v_cmp_lt_i16_e32 vcc, -1, v2
	v_cndmask_b32_e32 v2, v57, v58, vcc
	v_cmp_eq_u32_e32 vcc, 0, v17
	v_cndmask_b32_e32 v21, v59, v2, vcc
; %bb.3179:                             ;   in Loop: Header=BB2_3173 Depth=2
	s_or_b64 exec, exec, s[78:79]
.LBB2_3180:                             ;   in Loop: Header=BB2_3173 Depth=2
	s_or_b64 exec, exec, s[76:77]
.LBB2_3181:                             ;   in Loop: Header=BB2_3173 Depth=2
	s_or_b64 exec, exec, s[18:19]
	v_cmp_ne_u16_e32 vcc, 0, v16
	s_and_saveexec_b64 s[18:19], vcc
	s_cbranch_execz .LBB2_3189
; %bb.3182:                             ;   in Loop: Header=BB2_3173 Depth=2
	v_cmp_ne_u16_e32 vcc, s49, v16
	v_bfrev_b32_e32 v1, 1
	s_and_saveexec_b64 s[76:77], vcc
	s_cbranch_execz .LBB2_3188
; %bb.3183:                             ;   in Loop: Header=BB2_3173 Depth=2
	v_and_b32_e32 v1, 0x7c, v16
	v_and_b32_e32 v20, 3, v16
	v_cmp_ne_u32_e32 vcc, s50, v1
                                        ; implicit-def: $vgpr1
	s_and_saveexec_b64 s[78:79], vcc
	s_xor_b64 s[78:79], exec, s[78:79]
	s_cbranch_execz .LBB2_3185
; %bb.3184:                             ;   in Loop: Header=BB2_3173 Depth=2
	v_and_b32_e32 v1, 0xff, v16
	v_bfe_u32 v24, v1, 2, 5
	v_ffbh_u32_e32 v1, v20
	v_min_u32_e32 v30, 32, v1
	v_mov_b32_e32 v17, v3
	v_subrev_u32_e32 v1, 29, v30
	v_lshlrev_b64 v[1:2], v1, v[16:17]
	v_sub_u32_e32 v2, 30, v30
	v_cmp_eq_u32_e32 vcc, 0, v24
	v_and_b32_sdwa v25, sext(v16), s51 dst_sel:DWORD dst_unused:UNUSED_PAD src0_sel:WORD_0 src1_sel:DWORD
	v_and_b32_e32 v1, 3, v1
	v_cndmask_b32_e32 v2, v24, v2, vcc
	v_cndmask_b32_e32 v1, v20, v1, vcc
	v_lshl_add_u32 v2, v2, 23, v25
	v_lshl_or_b32 v1, v1, 21, v2
	v_add_u32_e32 v1, 0x38000000, v1
                                        ; implicit-def: $vgpr16
                                        ; implicit-def: $vgpr20
.LBB2_3185:                             ;   in Loop: Header=BB2_3173 Depth=2
	s_andn2_saveexec_b64 s[78:79], s[78:79]
; %bb.3186:                             ;   in Loop: Header=BB2_3173 Depth=2
	v_cmp_lt_i16_e32 vcc, -1, v16
	v_cndmask_b32_e32 v1, v57, v58, vcc
	v_cmp_eq_u32_e32 vcc, 0, v20
	v_cndmask_b32_e32 v1, v59, v1, vcc
; %bb.3187:                             ;   in Loop: Header=BB2_3173 Depth=2
	s_or_b64 exec, exec, s[78:79]
.LBB2_3188:                             ;   in Loop: Header=BB2_3173 Depth=2
	s_or_b64 exec, exec, s[76:77]
.LBB2_3189:                             ;   in Loop: Header=BB2_3173 Depth=2
	s_or_b64 exec, exec, s[18:19]
	v_mul_f32_e32 v16, v21, v1
	v_and_b32_e32 v1, 0x7f800000, v16
	v_mov_b32_e32 v2, v3
	v_cmp_ne_u64_e32 vcc, s[58:59], v[1:2]
	v_and_b32_e32 v2, 0x7fffff, v16
                                        ; implicit-def: $vgpr17
	s_and_saveexec_b64 s[18:19], vcc
	s_xor_b64 s[76:77], exec, s[18:19]
	s_cbranch_execz .LBB2_3207
; %bb.3190:                             ;   in Loop: Header=BB2_3173 Depth=2
	v_and_b32_e32 v20, 0x7fffffff, v16
	v_mov_b32_e32 v21, v3
	v_cmp_gt_u64_e32 vcc, s[60:61], v[20:21]
	v_and_b32_sdwa v1, v16, s53 dst_sel:DWORD dst_unused:UNUSED_PAD src0_sel:BYTE_3 src1_sel:DWORD
                                        ; implicit-def: $vgpr17
	s_and_saveexec_b64 s[18:19], vcc
	s_xor_b64 s[78:79], exec, s[18:19]
	s_cbranch_execz .LBB2_3204
; %bb.3191:                             ;   in Loop: Header=BB2_3173 Depth=2
	v_cmp_ne_u32_e32 vcc, 0, v16
	v_mov_b32_e32 v17, 0
	s_and_saveexec_b64 s[88:89], vcc
	s_cbranch_execz .LBB2_3203
; %bb.3192:                             ;   in Loop: Header=BB2_3173 Depth=2
	v_bfe_u32 v20, v16, 23, 8
	v_cmp_gt_u32_e64 s[18:19], s54, v20
	v_sub_u32_e32 v16, 0x71, v20
	v_cmp_eq_u32_e32 vcc, 0, v20
	v_cndmask_b32_e64 v16, 0, v16, s[18:19]
	v_mov_b32_e32 v21, 0x70
	v_cndmask_b32_e32 v21, v16, v21, vcc
	v_or_b32_e32 v17, 0x800000, v2
	v_add_u32_e32 v16, 21, v21
	v_cndmask_b32_e32 v2, v17, v2, vcc
	v_lshlrev_b64 v[16:17], v16, -1
	v_add_u32_e32 v24, 20, v21
	v_lshlrev_b64 v[24:25], v24, 1
	v_bfi_b32 v17, v17, 0, 0
	v_bfi_b32 v16, v16, 0, v2
	v_cmp_eq_u64_e64 s[18:19], v[16:17], v[24:25]
	v_lshrrev_b64 v[16:17], v21, v[2:3]
	v_mov_b32_e32 v49, v17
	v_mov_b32_e32 v48, v16
	s_and_saveexec_b64 s[90:91], s[18:19]
; %bb.3193:                             ;   in Loop: Header=BB2_3173 Depth=2
	v_bfe_u32 v2, v16, 21, 1
	v_add_co_u32_e64 v2, s[18:19], v16, v2
	v_add_co_u32_e64 v48, s[18:19], -1, v2
; %bb.3194:                             ;   in Loop: Header=BB2_3173 Depth=2
	s_or_b64 exec, exec, s[90:91]
	v_add_u32_e32 v2, 0xffffff81, v20
	v_cndmask_b32_e32 v2, v2, v61, vcc
	v_lshrrev_b32_e32 v17, 23, v16
	v_add3_u32 v24, v21, v2, v17
	v_add_u32_e32 v21, 14, v24
	v_and_b32_e32 v2, 0x1fffff, v48
	v_add_u32_e32 v2, v2, v16
	v_cmp_ne_u32_e32 vcc, 0, v21
                                        ; implicit-def: $vgpr16_vgpr17
                                        ; implicit-def: $vgpr20
	s_and_saveexec_b64 s[18:19], vcc
	s_xor_b64 s[18:19], exec, s[18:19]
; %bb.3195:                             ;   in Loop: Header=BB2_3173 Depth=2
	v_cmp_lt_u64_e32 vcc, s[62:63], v[2:3]
	v_add_u32_e32 v16, 15, v24
	v_cndmask_b32_e32 v20, v21, v16, vcc
	v_cndmask_b32_e64 v16, 0, 1, vcc
	v_lshrrev_b64 v[16:17], v16, v[2:3]
; %bb.3196:                             ;   in Loop: Header=BB2_3173 Depth=2
	s_andn2_saveexec_b64 s[18:19], s[18:19]
; %bb.3197:                             ;   in Loop: Header=BB2_3173 Depth=2
	v_mov_b32_e32 v17, v3
	v_bfe_u32 v20, v2, 23, 1
	v_mov_b32_e32 v16, v2
; %bb.3198:                             ;   in Loop: Header=BB2_3173 Depth=2
	s_or_b64 exec, exec, s[18:19]
	v_lshrrev_b64 v[16:17], 21, v[16:17]
	v_cmp_gt_i32_e32 vcc, 32, v20
	v_cndmask_b32_e32 v17, 0, v17, vcc
	v_cndmask_b32_e32 v16, 3, v16, vcc
	v_cmp_ne_u64_e32 vcc, 0, v[16:17]
	v_cmp_ne_u32_e64 s[18:19], 0, v20
	s_or_b64 s[18:19], s[18:19], vcc
                                        ; implicit-def: $vgpr17
	s_and_saveexec_b64 s[90:91], s[18:19]
	s_xor_b64 s[18:19], exec, s[90:91]
; %bb.3199:                             ;   in Loop: Header=BB2_3173 Depth=2
	v_min_i32_e32 v2, 31, v20
	v_lshl_or_b32 v1, v2, 2, v1
	v_and_or_b32 v17, v16, 3, v1
                                        ; implicit-def: $vgpr1
; %bb.3200:                             ;   in Loop: Header=BB2_3173 Depth=2
	s_andn2_saveexec_b64 s[18:19], s[18:19]
; %bb.3201:                             ;   in Loop: Header=BB2_3173 Depth=2
	v_mov_b32_e32 v17, v1
; %bb.3202:                             ;   in Loop: Header=BB2_3173 Depth=2
	s_or_b64 exec, exec, s[18:19]
.LBB2_3203:                             ;   in Loop: Header=BB2_3173 Depth=2
	s_or_b64 exec, exec, s[88:89]
                                        ; implicit-def: $vgpr1
.LBB2_3204:                             ;   in Loop: Header=BB2_3173 Depth=2
	s_andn2_saveexec_b64 s[18:19], s[78:79]
; %bb.3205:                             ;   in Loop: Header=BB2_3173 Depth=2
	v_or_b32_e32 v17, 0x7b, v1
; %bb.3206:                             ;   in Loop: Header=BB2_3173 Depth=2
	s_or_b64 exec, exec, s[18:19]
                                        ; implicit-def: $vgpr16
.LBB2_3207:                             ;   in Loop: Header=BB2_3173 Depth=2
	s_andn2_saveexec_b64 s[18:19], s[76:77]
	s_cbranch_execz .LBB2_3172
; %bb.3208:                             ;   in Loop: Header=BB2_3173 Depth=2
	v_cmp_ne_u64_e32 vcc, 0, v[2:3]
                                        ; implicit-def: $vgpr17
	s_and_saveexec_b64 s[76:77], vcc
	s_xor_b64 s[76:77], exec, s[76:77]
; %bb.3209:                             ;   in Loop: Header=BB2_3173 Depth=2
	v_or_b32_sdwa v17, v16, s52 dst_sel:DWORD dst_unused:UNUSED_PAD src0_sel:BYTE_3 src1_sel:DWORD
                                        ; implicit-def: $vgpr16
; %bb.3210:                             ;   in Loop: Header=BB2_3173 Depth=2
	s_andn2_saveexec_b64 s[76:77], s[76:77]
	s_cbranch_execz .LBB2_3171
; %bb.3211:                             ;   in Loop: Header=BB2_3173 Depth=2
	v_cmp_lt_i32_e32 vcc, -1, v16
	v_cndmask_b32_e32 v17, -4, v18, vcc
	s_branch .LBB2_3171
.LBB2_3212:                             ;   in Loop: Header=BB2_1673 Depth=1
	s_or_b64 exec, exec, s[20:21]
	v_cmp_ne_u32_e64 s[18:19], 0, v39
	s_and_saveexec_b64 s[20:21], s[10:11]
	s_cbranch_execz .LBB2_3231
.LBB2_3213:                             ;   in Loop: Header=BB2_1673 Depth=1
	s_and_saveexec_b64 s[22:23], s[42:43]
	s_xor_b64 s[22:23], exec, s[22:23]
	s_cbranch_execz .LBB2_3228
; %bb.3214:                             ;   in Loop: Header=BB2_1673 Depth=1
	s_and_saveexec_b64 s[76:77], s[12:13]
	s_cbranch_execz .LBB2_3227
; %bb.3215:                             ;   in Loop: Header=BB2_1673 Depth=1
	s_mov_b64 s[88:89], exec
	v_mbcnt_lo_u32_b32 v0, s88, 0
	v_mbcnt_hi_u32_b32 v0, s89, v0
	v_cmp_eq_u32_e32 vcc, 0, v0
	s_waitcnt vmcnt(0) lgkmcnt(0)
	buffer_wbinvl1_vol
	s_and_saveexec_b64 s[78:79], vcc
	s_cbranch_execz .LBB2_3217
; %bb.3216:                             ;   in Loop: Header=BB2_1673 Depth=1
	s_bcnt1_i32_b64 s88, s[88:89]
	v_mov_b32_e32 v2, s88
	ds_add_u64 v0, v[2:3]
	s_trap 2
.LBB2_3217:                             ;   in Loop: Header=BB2_1673 Depth=1
	s_or_b64 exec, exec, s[78:79]
	s_trap 2
	ds_read_b64 v[0:1], v0
	s_waitcnt lgkmcnt(0)
	v_add_co_u32_e32 v26, vcc, v26, v62
	v_addc_co_u32_e32 v27, vcc, 0, v27, vcc
	v_cmp_lt_u64_e32 vcc, v[0:1], v[26:27]
	s_and_saveexec_b64 s[78:79], vcc
	s_cbranch_execz .LBB2_3226
; %bb.3218:                             ;   in Loop: Header=BB2_1673 Depth=1
	s_mov_b32 s34, 0
	s_mov_b64 s[88:89], 0
                                        ; implicit-def: $sgpr90_sgpr91
                                        ; implicit-def: $sgpr92_sgpr93
	s_branch .LBB2_3220
.LBB2_3219:                             ;   in Loop: Header=BB2_3220 Depth=2
	s_or_b64 exec, exec, s[30:31]
	s_and_b64 s[94:95], exec, vcc
	s_or_b64 s[88:89], s[94:95], s[88:89]
	s_andn2_b64 s[90:91], s[90:91], exec
	s_and_b64 s[94:95], s[92:93], exec
	s_or_b64 s[90:91], s[90:91], s[94:95]
	s_andn2_b64 exec, exec, s[88:89]
	s_cbranch_execz .LBB2_3224
.LBB2_3220:                             ;   Parent Loop BB2_1673 Depth=1
                                        ; =>  This Inner Loop Header: Depth=2
	s_add_i32 s34, s34, 1
	s_cmpk_lg_i32 s34, 0x2710
	s_cselect_b64 s[94:95], -1, 0
	s_and_b64 vcc, exec, s[94:95]
	s_cbranch_vccz .LBB2_3222
; %bb.3221:                             ;   in Loop: Header=BB2_3220 Depth=2
	s_mov_b64 vcc, -1
	s_or_b64 s[92:93], s[92:93], exec
	s_and_saveexec_b64 s[30:31], s[94:95]
	s_cbranch_execz .LBB2_3219
	s_branch .LBB2_3223
.LBB2_3222:                             ;   in Loop: Header=BB2_3220 Depth=2
	s_trap 2
	ds_read_b64 v[0:1], v0
	s_andn2_b64 s[94:95], s[94:95], exec
	s_mov_b32 s34, 0
	s_waitcnt lgkmcnt(0)
	flat_load_dword v0, v[0:1] glc
	s_waitcnt vmcnt(0) lgkmcnt(0)
	buffer_wbinvl1_vol
	v_cmp_eq_u32_e32 vcc, 0, v0
	s_and_b64 vcc, vcc, exec
	s_or_b64 s[94:95], s[94:95], vcc
	s_mov_b64 vcc, -1
	s_or_b64 s[92:93], s[92:93], exec
	s_and_saveexec_b64 s[30:31], s[94:95]
	s_cbranch_execz .LBB2_3219
.LBB2_3223:                             ;   in Loop: Header=BB2_3220 Depth=2
	s_sleep 1
	s_trap 2
	ds_read_b64 v[0:1], v0
	s_waitcnt lgkmcnt(0)
	s_andn2_b64 s[92:93], s[92:93], exec
	v_cmp_ge_u64_e32 vcc, v[0:1], v[26:27]
	s_orn2_b64 vcc, vcc, exec
	s_branch .LBB2_3219
.LBB2_3224:                             ;   in Loop: Header=BB2_1673 Depth=1
	s_or_b64 exec, exec, s[88:89]
	s_and_saveexec_b64 s[88:89], s[90:91]
	s_xor_b64 s[88:89], exec, s[88:89]
	s_cbranch_execz .LBB2_3226
; %bb.3225:                             ;   in Loop: Header=BB2_1673 Depth=1
	v_mov_b32_e32 v0, 1
	ds_write_b32 v0, v0
	s_trap 2
.LBB2_3226:                             ;   in Loop: Header=BB2_1673 Depth=1
	s_or_b64 exec, exec, s[78:79]
	;;#ASMSTART
	s_wakeup
	;;#ASMEND
.LBB2_3227:                             ;   in Loop: Header=BB2_1673 Depth=1
	s_or_b64 exec, exec, s[76:77]
.LBB2_3228:                             ;   in Loop: Header=BB2_1673 Depth=1
	s_andn2_saveexec_b64 s[22:23], s[22:23]
	s_cbranch_execz .LBB2_3230
; %bb.3229:                             ;   in Loop: Header=BB2_1673 Depth=1
	s_waitcnt vmcnt(0) lgkmcnt(0)
	buffer_wbinvl1_vol
	s_barrier
.LBB2_3230:                             ;   in Loop: Header=BB2_1673 Depth=1
	s_or_b64 exec, exec, s[22:23]
.LBB2_3231:                             ;   in Loop: Header=BB2_1673 Depth=1
	s_or_b64 exec, exec, s[20:21]
	v_and_b32_e32 v0, 16, v60
	v_cmp_ne_u32_e32 vcc, 0, v0
	s_and_b64 s[20:21], vcc, s[18:19]
	s_and_saveexec_b64 s[18:19], s[20:21]
	s_cbranch_execz .LBB2_3233
; %bb.3232:                             ;   in Loop: Header=BB2_1673 Depth=1
	s_waitcnt vmcnt(0) lgkmcnt(0)
	buffer_wbinvl1_vol
.LBB2_3233:                             ;   in Loop: Header=BB2_1673 Depth=1
	s_or_b64 exec, exec, s[18:19]
	v_and_b32_e32 v0, 32, v60
	v_cmp_ne_u32_e32 vcc, 0, v0
	s_and_saveexec_b64 s[18:19], vcc
	s_cbranch_execz .LBB2_3235
; %bb.3234:                             ;   in Loop: Header=BB2_1673 Depth=1
	v_add_co_u32_e32 v8, vcc, 1, v8
	v_addc_co_u32_e32 v9, vcc, 0, v9, vcc
	flat_store_dwordx2 v[22:23], v[8:9]
.LBB2_3235:                             ;   in Loop: Header=BB2_1673 Depth=1
	s_or_b64 exec, exec, s[18:19]
	v_mov_b32_e32 v0, v35
.LBB2_3236:                             ;   in Loop: Header=BB2_1673 Depth=1
	s_or_b64 exec, exec, s[74:75]
	s_and_saveexec_b64 s[20:21], s[72:73]
	s_cbranch_execz .LBB2_1672
; %bb.3237:                             ;   in Loop: Header=BB2_1673 Depth=1
	s_waitcnt vmcnt(0)
	v_and_b32_e32 v1, 4, v60
	v_cmp_ne_u32_e32 vcc, 0, v1
	s_and_saveexec_b64 s[22:23], vcc
	s_cbranch_execz .LBB2_3259
; %bb.3238:                             ;   in Loop: Header=BB2_1673 Depth=1
	v_add_co_u32_e32 v10, vcc, 1, v8
	v_addc_co_u32_e32 v11, vcc, 0, v9, vcc
	v_cmp_lt_u64_e32 vcc, v[28:29], v[10:11]
	s_and_saveexec_b64 s[72:73], vcc
	s_cbranch_execz .LBB2_3250
; %bb.3239:                             ;   in Loop: Header=BB2_1673 Depth=1
	v_and_b32_e32 v1, 64, v60
	s_mov_b32 s36, 0
	v_cmp_eq_u32_e32 vcc, 0, v1
	s_mov_b64 s[74:75], 0
                                        ; implicit-def: $sgpr76_sgpr77
                                        ; implicit-def: $sgpr78_sgpr79
                                        ; implicit-def: $sgpr88_sgpr89
	s_branch .LBB2_3243
.LBB2_3240:                             ;   in Loop: Header=BB2_3243 Depth=2
	s_waitcnt vmcnt(0) lgkmcnt(0)
	v_cmp_ge_u64_e64 s[18:19], v[28:29], v[10:11]
	s_or_b64 s[94:95], s[94:95], exec
	s_orn2_b64 s[92:93], s[18:19], exec
.LBB2_3241:                             ;   in Loop: Header=BB2_3243 Depth=2
	s_or_b64 exec, exec, s[34:35]
	s_andn2_b64 s[18:19], s[88:89], exec
	s_and_b64 s[88:89], s[94:95], exec
	s_or_b64 s[88:89], s[18:19], s[88:89]
	s_andn2_b64 s[18:19], s[78:79], exec
	s_and_b64 s[78:79], s[92:93], exec
	s_or_b64 s[78:79], s[18:19], s[78:79]
.LBB2_3242:                             ;   in Loop: Header=BB2_3243 Depth=2
	s_or_b64 exec, exec, s[90:91]
	s_and_b64 s[18:19], exec, s[78:79]
	s_or_b64 s[74:75], s[18:19], s[74:75]
	s_andn2_b64 s[18:19], s[76:77], exec
	s_and_b64 s[76:77], s[88:89], exec
	s_or_b64 s[76:77], s[18:19], s[76:77]
	s_andn2_b64 exec, exec, s[74:75]
	s_cbranch_execz .LBB2_3247
.LBB2_3243:                             ;   Parent Loop BB2_1673 Depth=1
                                        ; =>  This Inner Loop Header: Depth=2
	s_sleep 1
	s_waitcnt vmcnt(0) lgkmcnt(0)
	flat_load_dwordx2 v[28:29], v[22:23] glc
	s_or_b64 s[88:89], s[88:89], exec
	s_or_b64 s[78:79], s[78:79], exec
                                        ; implicit-def: $vgpr1
	s_and_saveexec_b64 s[90:91], vcc
	s_cbranch_execz .LBB2_3242
; %bb.3244:                             ;   in Loop: Header=BB2_3243 Depth=2
	s_cmpk_lt_i32 s36, 0x270f
	s_cselect_b64 s[30:31], -1, 0
	s_cmpk_gt_i32 s36, 0x270e
	s_mov_b64 s[92:93], -1
	s_cbranch_scc0 .LBB2_3246
; %bb.3245:                             ;   in Loop: Header=BB2_3243 Depth=2
	s_trap 2
	ds_read_b64 v[1:2], v0
	s_andn2_b64 s[30:31], s[30:31], exec
	s_mov_b32 s36, 0
	s_mov_b64 s[94:95], 0
	s_waitcnt vmcnt(0) lgkmcnt(0)
	flat_load_dword v1, v[1:2] glc
	s_waitcnt vmcnt(0) lgkmcnt(0)
	buffer_wbinvl1_vol
	v_cmp_eq_u32_e64 s[18:19], 0, v1
	s_and_b64 s[18:19], s[18:19], exec
	s_or_b64 s[30:31], s[30:31], s[18:19]
	s_and_saveexec_b64 s[34:35], s[30:31]
	s_cbranch_execz .LBB2_3241
	s_branch .LBB2_3240
.LBB2_3246:                             ;   in Loop: Header=BB2_3243 Depth=2
	s_add_i32 s36, s36, 1
	s_mov_b64 s[94:95], -1
                                        ; implicit-def: $vgpr1
	s_and_saveexec_b64 s[34:35], s[30:31]
	s_cbranch_execz .LBB2_3241
	s_branch .LBB2_3240
.LBB2_3247:                             ;   in Loop: Header=BB2_1673 Depth=1
	s_or_b64 exec, exec, s[74:75]
	s_xor_b64 s[18:19], s[76:77], -1
	s_and_saveexec_b64 s[74:75], s[18:19]
	s_xor_b64 s[18:19], exec, s[74:75]
	s_cbranch_execz .LBB2_3249
; %bb.3248:                             ;   in Loop: Header=BB2_1673 Depth=1
	v_or_b32_e32 v60, 64, v60
	s_waitcnt lgkmcnt(0)
	ds_write_b32 v0, v1
	s_trap 2
.LBB2_3249:                             ;   in Loop: Header=BB2_1673 Depth=1
	s_or_b64 exec, exec, s[18:19]
.LBB2_3250:                             ;   in Loop: Header=BB2_1673 Depth=1
	s_or_b64 exec, exec, s[72:73]
	v_and_b32_e32 v1, 0x100, v60
	v_cmp_ne_u32_e32 vcc, 0, v1
	v_and_b32_e32 v1, 7, v8
	s_mov_b64 s[18:19], -1
	;;#ASMSTART
	s_wakeup
	;;#ASMEND
                                        ; implicit-def: $vgpr8_vgpr9
	s_and_saveexec_b64 s[72:73], vcc
	s_cbranch_execz .LBB2_3254
; %bb.3251:                             ;   in Loop: Header=BB2_1673 Depth=1
	v_mad_u64_u32 v[12:13], s[18:19], v1, 24, v[6:7]
                                        ; implicit-def: $vgpr8_vgpr9
	flat_load_dword v2, v[12:13]
	s_waitcnt vmcnt(0) lgkmcnt(0)
	v_cmp_ne_u32_e32 vcc, 1, v2
	v_cmp_eq_u32_e64 s[18:19], 1, v2
	s_and_saveexec_b64 s[74:75], s[18:19]
	s_cbranch_execz .LBB2_3253
; %bb.3252:                             ;   in Loop: Header=BB2_1673 Depth=1
	flat_load_dword v8, v[12:13] offset:4 glc
	s_waitcnt vmcnt(0) lgkmcnt(0)
	v_ashrrev_i32_e32 v9, 31, v8
.LBB2_3253:                             ;   in Loop: Header=BB2_1673 Depth=1
	s_or_b64 exec, exec, s[74:75]
	s_orn2_b64 s[18:19], vcc, exec
.LBB2_3254:                             ;   in Loop: Header=BB2_1673 Depth=1
	s_or_b64 exec, exec, s[72:73]
	s_and_saveexec_b64 s[72:73], s[18:19]
; %bb.3255:                             ;   in Loop: Header=BB2_1673 Depth=1
	v_mad_i64_i32 v[8:9], s[18:19], v1, v40, 0
; %bb.3256:                             ;   in Loop: Header=BB2_1673 Depth=1
	s_or_b64 exec, exec, s[72:73]
	buffer_load_dword v1, off, s[0:3], s33 offset:68 ; 4-byte Folded Reload
	buffer_load_dword v2, off, s[0:3], s33 offset:72 ; 4-byte Folded Reload
	s_waitcnt vmcnt(0)
	v_add_co_u32_e32 v1, vcc, v1, v8
	v_addc_co_u32_e32 v2, vcc, v2, v9, vcc
	ds_write_b64 v0, v[1:2] offset:728
	v_and_b32_e32 v1, 0x2000, v60
	v_cmp_ne_u32_e32 vcc, 0, v1
	s_and_saveexec_b64 s[18:19], vcc
	s_cbranch_execz .LBB2_3258
; %bb.3257:                             ;   in Loop: Header=BB2_1673 Depth=1
	ds_read_b64 v[1:2], v0 offset:872
	s_waitcnt lgkmcnt(0)
	v_add_co_u32_e32 v1, vcc, 1, v1
	v_addc_co_u32_e32 v2, vcc, 0, v2, vcc
	ds_write_b64 v0, v[1:2] offset:872
.LBB2_3258:                             ;   in Loop: Header=BB2_1673 Depth=1
	s_or_b64 exec, exec, s[18:19]
	v_mov_b32_e32 v8, v10
	v_mov_b32_e32 v9, v11
.LBB2_3259:                             ;   in Loop: Header=BB2_1673 Depth=1
	s_or_b64 exec, exec, s[22:23]
	s_and_saveexec_b64 s[18:19], s[10:11]
	s_cbranch_execz .LBB2_3278
; %bb.3260:                             ;   in Loop: Header=BB2_1673 Depth=1
	s_and_saveexec_b64 s[22:23], s[42:43]
	s_xor_b64 s[22:23], exec, s[22:23]
	s_cbranch_execz .LBB2_3275
; %bb.3261:                             ;   in Loop: Header=BB2_1673 Depth=1
	s_and_saveexec_b64 s[72:73], s[12:13]
	s_cbranch_execz .LBB2_3274
; %bb.3262:                             ;   in Loop: Header=BB2_1673 Depth=1
	s_mov_b64 s[76:77], exec
	v_mbcnt_lo_u32_b32 v1, s76, 0
	v_mbcnt_hi_u32_b32 v1, s77, v1
	v_cmp_eq_u32_e32 vcc, 0, v1
	s_waitcnt lgkmcnt(0)
	buffer_wbinvl1_vol
	s_and_saveexec_b64 s[74:75], vcc
	s_cbranch_execz .LBB2_3264
; %bb.3263:                             ;   in Loop: Header=BB2_1673 Depth=1
	s_bcnt1_i32_b64 s76, s[76:77]
	v_mov_b32_e32 v2, s76
	ds_add_u64 v0, v[2:3]
	s_trap 2
.LBB2_3264:                             ;   in Loop: Header=BB2_1673 Depth=1
	s_or_b64 exec, exec, s[74:75]
	s_trap 2
	ds_read_b64 v[1:2], v0
	s_waitcnt lgkmcnt(0)
	v_add_co_u32_e32 v26, vcc, v26, v62
	v_addc_co_u32_e32 v27, vcc, 0, v27, vcc
	v_cmp_lt_u64_e32 vcc, v[1:2], v[26:27]
	s_and_saveexec_b64 s[74:75], vcc
	s_cbranch_execz .LBB2_3273
; %bb.3265:                             ;   in Loop: Header=BB2_1673 Depth=1
	s_mov_b32 s30, 0
	s_mov_b64 s[76:77], 0
                                        ; implicit-def: $sgpr78_sgpr79
                                        ; implicit-def: $sgpr88_sgpr89
	s_branch .LBB2_3267
.LBB2_3266:                             ;   in Loop: Header=BB2_3267 Depth=2
	s_or_b64 exec, exec, s[92:93]
	s_and_b64 s[90:91], exec, s[94:95]
	s_or_b64 s[76:77], s[90:91], s[76:77]
	s_andn2_b64 s[78:79], s[78:79], exec
	s_and_b64 s[90:91], s[88:89], exec
	s_or_b64 s[78:79], s[78:79], s[90:91]
	s_andn2_b64 exec, exec, s[76:77]
	s_cbranch_execz .LBB2_3271
.LBB2_3267:                             ;   Parent Loop BB2_1673 Depth=1
                                        ; =>  This Inner Loop Header: Depth=2
	s_add_i32 s30, s30, 1
	s_cmpk_lg_i32 s30, 0x2710
	s_cselect_b64 s[90:91], -1, 0
	s_and_b64 vcc, exec, s[90:91]
	s_cbranch_vccz .LBB2_3269
; %bb.3268:                             ;   in Loop: Header=BB2_3267 Depth=2
	s_mov_b64 s[94:95], -1
	s_or_b64 s[88:89], s[88:89], exec
	s_and_saveexec_b64 s[92:93], s[90:91]
	s_cbranch_execz .LBB2_3266
	s_branch .LBB2_3270
.LBB2_3269:                             ;   in Loop: Header=BB2_3267 Depth=2
	s_trap 2
	ds_read_b64 v[1:2], v0
	s_andn2_b64 s[90:91], s[90:91], exec
	s_mov_b32 s30, 0
	s_waitcnt lgkmcnt(0)
	flat_load_dword v1, v[1:2] glc
	s_waitcnt vmcnt(0) lgkmcnt(0)
	buffer_wbinvl1_vol
	v_cmp_eq_u32_e32 vcc, 0, v1
	s_and_b64 s[92:93], vcc, exec
	s_or_b64 s[90:91], s[90:91], s[92:93]
	s_mov_b64 s[94:95], -1
	s_or_b64 s[88:89], s[88:89], exec
	s_and_saveexec_b64 s[92:93], s[90:91]
	s_cbranch_execz .LBB2_3266
.LBB2_3270:                             ;   in Loop: Header=BB2_3267 Depth=2
	s_sleep 1
	s_trap 2
	ds_read_b64 v[1:2], v0
	s_waitcnt lgkmcnt(0)
	s_andn2_b64 s[88:89], s[88:89], exec
	v_cmp_ge_u64_e32 vcc, v[1:2], v[26:27]
	s_orn2_b64 s[94:95], vcc, exec
	s_branch .LBB2_3266
.LBB2_3271:                             ;   in Loop: Header=BB2_1673 Depth=1
	s_or_b64 exec, exec, s[76:77]
	s_and_saveexec_b64 s[76:77], s[78:79]
	s_xor_b64 s[76:77], exec, s[76:77]
	s_cbranch_execz .LBB2_3273
; %bb.3272:                             ;   in Loop: Header=BB2_1673 Depth=1
	v_mov_b32_e32 v1, 1
	ds_write_b32 v0, v1
	s_trap 2
.LBB2_3273:                             ;   in Loop: Header=BB2_1673 Depth=1
	s_or_b64 exec, exec, s[74:75]
	;;#ASMSTART
	s_wakeup
	;;#ASMEND
.LBB2_3274:                             ;   in Loop: Header=BB2_1673 Depth=1
	s_or_b64 exec, exec, s[72:73]
.LBB2_3275:                             ;   in Loop: Header=BB2_1673 Depth=1
	s_andn2_saveexec_b64 s[22:23], s[22:23]
	s_cbranch_execz .LBB2_3277
; %bb.3276:                             ;   in Loop: Header=BB2_1673 Depth=1
	s_waitcnt lgkmcnt(0)
	buffer_wbinvl1_vol
	s_barrier
.LBB2_3277:                             ;   in Loop: Header=BB2_1673 Depth=1
	s_or_b64 exec, exec, s[22:23]
.LBB2_3278:                             ;   in Loop: Header=BB2_1673 Depth=1
	s_or_b64 exec, exec, s[18:19]
	s_trap 2
	ds_read_b32 v1, v0
	v_sub_u32_e32 v0, v38, v0
	v_min_i32_e32 v0, v35, v0
	v_cmp_lt_i32_e32 vcc, 0, v0
	v_and_b32_e32 v0, 16, v60
	s_waitcnt lgkmcnt(0)
	v_readfirstlane_b32 s18, v1
	s_cmp_eq_u32 s18, 0
	s_cselect_b64 s[18:19], -1, 0
	s_and_b64 s[18:19], vcc, s[18:19]
	v_cmp_ne_u32_e32 vcc, 0, v0
	s_and_b64 s[22:23], vcc, s[18:19]
	s_and_saveexec_b64 s[18:19], s[22:23]
	s_cbranch_execz .LBB2_3280
; %bb.3279:                             ;   in Loop: Header=BB2_1673 Depth=1
	buffer_wbinvl1_vol
.LBB2_3280:                             ;   in Loop: Header=BB2_1673 Depth=1
	s_or_b64 exec, exec, s[18:19]
	v_and_b32_e32 v0, 32, v60
	v_cmp_ne_u32_e32 vcc, 0, v0
	s_and_saveexec_b64 s[18:19], vcc
	s_cbranch_execz .LBB2_1671
; %bb.3281:                             ;   in Loop: Header=BB2_1673 Depth=1
	v_add_co_u32_e32 v8, vcc, 1, v8
	v_addc_co_u32_e32 v9, vcc, 0, v9, vcc
	flat_store_dwordx2 v[22:23], v[8:9]
	s_branch .LBB2_1671
.LBB2_3282:
	s_or_b64 exec, exec, s[44:45]
	buffer_load_dword v19, off, s[0:3], s33 offset:140 ; 4-byte Folded Reload
	buffer_load_dword v31, off, s[0:3], s33 offset:120 ; 4-byte Folded Reload
	;; [unrolled: 1-line block ×5, first 2 shown]
.LBB2_3283:
	s_or_b64 exec, exec, s[40:41]
.LBB2_3284:
	s_or_b64 exec, exec, s[24:25]
                                        ; implicit-def: $vgpr54_vgpr55
                                        ; implicit-def: $vgpr4_vgpr5
                                        ; implicit-def: $vgpr52_vgpr53
                                        ; implicit-def: $vgpr40
                                        ; implicit-def: $vgpr28_vgpr29
                                        ; implicit-def: $vgpr61_vgpr62
                                        ; implicit-def: $vgpr22_vgpr23
                                        ; implicit-def: $vgpr46
                                        ; implicit-def: $vgpr18
                                        ; implicit-def: $vgpr32
.LBB2_3285:
	s_andn2_saveexec_b64 s[22:23], s[28:29]
	s_cbranch_execz .LBB2_3459
; %bb.3286:
	v_mov_b32_e32 v26, 0
	v_cmp_ne_u64_e32 vcc, 0, v[4:5]
	v_mov_b32_e32 v27, 0
	s_and_saveexec_b64 s[24:25], vcc
	s_cbranch_execz .LBB2_3458
; %bb.3287:
	s_waitcnt vmcnt(0)
	v_ashrrev_i32_e32 v1, 31, v46
	v_lshrrev_b32_e32 v1, 26, v1
	v_add_u32_e32 v2, v46, v1
	s_ashr_i32 s6, s48, 31
	v_and_b32_e32 v1, 0xffffffc0, v2
	v_ashrrev_i32_e32 v2, 6, v2
	s_lshr_b32 s6, s6, 24
	v_and_b32_e32 v0, 63, v31
	v_sub_u32_e32 v1, v46, v1
	v_lshlrev_b32_e32 v3, 11, v2
	s_add_i32 s48, s48, s6
	v_cmp_eq_u32_e32 vcc, 64, v19
	v_cmp_eq_u32_e64 s[12:13], 0, v0
	v_lshrrev_b32_e32 v0, 6, v19
	v_lshl_add_u32 v12, v1, 4, v3
	s_waitcnt lgkmcnt(0)
	v_cmp_ne_u64_e64 s[18:19], 0, v[52:53]
	v_mov_b32_e32 v14, 0
	v_mov_b32_e32 v26, 0
	s_ashr_i32 s94, s48, 8
	v_cmp_ge_i32_e64 s[6:7], v46, v19
	v_cmp_ne_u32_e64 s[10:11], 64, v19
	v_cmp_ne_u32_sdwa s[28:29], v19, v45 src0_sel:DWORD src1_sel:WORD_0
	v_mov_b32_e32 v11, 0
	v_cmp_gt_i32_e64 s[14:15], 1, v1
	v_cmp_lt_i32_e64 s[16:17], v1, v18
	v_ashrrev_i32_e32 v13, 31, v12
	v_lshlrev_b32_e32 v3, 10, v0
	v_lshlrev_b32_e32 v18, 9, v0
	v_mov_b32_e32 v44, v19
	v_and_b32_e32 v19, 0x3fc0, v19
	s_mov_b64 s[40:41], 0
	v_mov_b32_e32 v15, 0
	v_mov_b32_e32 v27, 0
	;; [unrolled: 1-line block ×3, first 2 shown]
	s_xor_b64 s[42:43], vcc, -1
	s_mov_b32 s95, 0x3ffffc00
	v_mov_b32_e32 v47, v40
	s_trap 2
	buffer_store_dword v54, off, s[0:3], s33 offset:76 ; 4-byte Folded Spill
	s_nop 0
	buffer_store_dword v55, off, s[0:3], s33 offset:80 ; 4-byte Folded Spill
	s_branch .LBB2_3291
.LBB2_3288:                             ;   in Loop: Header=BB2_3291 Depth=1
	s_or_b64 exec, exec, s[44:45]
	v_add_co_u32_e32 v8, vcc, 1, v8
	v_addc_co_u32_e32 v9, vcc, 0, v9, vcc
	flat_store_dwordx2 v[22:23], v[8:9]
.LBB2_3289:                             ;   in Loop: Header=BB2_3291 Depth=1
	s_or_b64 exec, exec, s[20:21]
.LBB2_3290:                             ;   in Loop: Header=BB2_3291 Depth=1
	s_or_b64 exec, exec, s[46:47]
	v_add_co_u32_e32 v14, vcc, v14, v32
	v_addc_co_u32_e32 v15, vcc, 0, v15, vcc
	v_cmp_ge_u64_e32 vcc, v[14:15], v[4:5]
	s_or_b64 s[40:41], vcc, s[40:41]
	s_andn2_b64 exec, exec, s[40:41]
	s_cbranch_execz .LBB2_3457
.LBB2_3291:                             ; =>This Loop Header: Depth=1
                                        ;     Child Loop BB2_3300 Depth 2
                                        ;     Child Loop BB2_3324 Depth 2
	;; [unrolled: 1-line block ×10, first 2 shown]
	v_sub_co_u32_e32 v16, vcc, v4, v14
	v_subb_co_u32_e32 v17, vcc, v5, v15, vcc
	v_cmp_lt_u64_e32 vcc, v[32:33], v[16:17]
	v_cndmask_b32_e64 v17, v17, 0, vcc
	v_cndmask_b32_e32 v16, v16, v32, vcc
	v_cmp_eq_u64_e32 vcc, 0, v[16:17]
	v_add_u32_e32 v10, 15, v16
	v_and_b32_e32 v10, 0x7ffffff0, v10
	s_or_b64 s[44:45], s[6:7], vcc
	v_max_i32_e32 v10, s94, v10
	s_xor_b64 s[20:21], s[44:45], -1
	v_mov_b32_e32 v17, 0
	s_and_saveexec_b64 s[46:47], s[20:21]
	s_cbranch_execz .LBB2_3410
; %bb.3292:                             ;   in Loop: Header=BB2_3291 Depth=1
	s_and_saveexec_b64 s[20:21], s[4:5]
	s_cbranch_execz .LBB2_3294
; %bb.3293:                             ;   in Loop: Header=BB2_3291 Depth=1
	s_trap 2
	ds_read_b64 v[24:25], v0
	s_waitcnt vmcnt(0) lgkmcnt(0)
	v_add_co_u32_e32 v17, vcc, v24, v54
	v_addc_co_u32_e32 v21, vcc, v25, v55, vcc
	v_add_co_u32_e32 v24, vcc, v17, v14
	v_addc_co_u32_e32 v25, vcc, v21, v15, vcc
	ds_write_b64 v0, v[24:25]
	v_mov_b32_e32 v24, v11
	v_mov_b32_e32 v25, v11
	ds_write_b64 v0, v[24:25]
.LBB2_3294:                             ;   in Loop: Header=BB2_3291 Depth=1
	s_or_b64 exec, exec, s[20:21]
	v_and_b32_e32 v17, 8, v60
	v_min_u32_e32 v10, v10, v16
	v_cmp_ne_u32_e32 vcc, 0, v17
	s_and_saveexec_b64 s[56:57], vcc
	s_cbranch_execz .LBB2_3316
; %bb.3295:                             ;   in Loop: Header=BB2_3291 Depth=1
	s_waitcnt vmcnt(0)
	v_add_co_u32_e32 v24, vcc, 8, v28
	v_addc_co_u32_e32 v25, vcc, 0, v29, vcc
	v_add_co_u32_e32 v36, vcc, 1, v8
	v_addc_co_u32_e32 v37, vcc, 0, v9, vcc
	v_cmp_lt_u64_e32 vcc, v[24:25], v[36:37]
	s_and_saveexec_b64 s[58:59], vcc
	s_cbranch_execz .LBB2_3307
; %bb.3296:                             ;   in Loop: Header=BB2_3291 Depth=1
	v_and_b32_e32 v9, 64, v60
	s_mov_b32 s30, 0
	v_cmp_eq_u32_e32 vcc, 0, v9
	s_mov_b64 s[60:61], 0
                                        ; implicit-def: $sgpr62_sgpr63
                                        ; implicit-def: $sgpr72_sgpr73
                                        ; implicit-def: $sgpr74_sgpr75
	s_branch .LBB2_3300
.LBB2_3297:                             ;   in Loop: Header=BB2_3300 Depth=2
	s_waitcnt vmcnt(0) lgkmcnt(0)
	v_add_co_u32_e64 v24, s[20:21], 8, v28
	v_addc_co_u32_e64 v25, s[20:21], 0, v29, s[20:21]
	v_cmp_ge_u64_e64 s[20:21], v[24:25], v[36:37]
	s_or_b64 s[88:89], s[88:89], exec
	s_orn2_b64 s[78:79], s[20:21], exec
.LBB2_3298:                             ;   in Loop: Header=BB2_3300 Depth=2
	s_or_b64 exec, exec, s[92:93]
	s_andn2_b64 s[20:21], s[74:75], exec
	s_and_b64 s[74:75], s[88:89], exec
	s_or_b64 s[74:75], s[20:21], s[74:75]
	s_andn2_b64 s[20:21], s[72:73], exec
	s_and_b64 s[72:73], s[78:79], exec
	s_or_b64 s[72:73], s[20:21], s[72:73]
.LBB2_3299:                             ;   in Loop: Header=BB2_3300 Depth=2
	s_or_b64 exec, exec, s[76:77]
	s_and_b64 s[20:21], exec, s[72:73]
	s_or_b64 s[60:61], s[20:21], s[60:61]
	s_andn2_b64 s[20:21], s[62:63], exec
	s_and_b64 s[62:63], s[74:75], exec
	s_or_b64 s[62:63], s[20:21], s[62:63]
	s_andn2_b64 exec, exec, s[60:61]
	s_cbranch_execz .LBB2_3304
.LBB2_3300:                             ;   Parent Loop BB2_3291 Depth=1
                                        ; =>  This Inner Loop Header: Depth=2
	s_sleep 1
	s_waitcnt vmcnt(0) lgkmcnt(0)
	flat_load_dwordx2 v[28:29], v[22:23] glc
	s_or_b64 s[74:75], s[74:75], exec
	s_or_b64 s[72:73], s[72:73], exec
                                        ; implicit-def: $vgpr9
	s_and_saveexec_b64 s[76:77], vcc
	s_cbranch_execz .LBB2_3299
; %bb.3301:                             ;   in Loop: Header=BB2_3300 Depth=2
	s_cmpk_lt_i32 s30, 0x270f
	s_cselect_b64 s[90:91], -1, 0
	s_cmpk_gt_i32 s30, 0x270e
	s_mov_b64 s[78:79], -1
	s_cbranch_scc0 .LBB2_3303
; %bb.3302:                             ;   in Loop: Header=BB2_3300 Depth=2
	s_trap 2
	ds_read_b64 v[24:25], v0
	s_andn2_b64 s[90:91], s[90:91], exec
	s_mov_b32 s30, 0
	s_mov_b64 s[88:89], 0
	s_waitcnt vmcnt(0) lgkmcnt(0)
	flat_load_dword v9, v[24:25] glc
	s_waitcnt vmcnt(0) lgkmcnt(0)
	buffer_wbinvl1_vol
	v_cmp_eq_u32_e64 s[20:21], 0, v9
	s_and_b64 s[20:21], s[20:21], exec
	s_or_b64 s[90:91], s[90:91], s[20:21]
	s_and_saveexec_b64 s[92:93], s[90:91]
	s_cbranch_execz .LBB2_3298
	s_branch .LBB2_3297
.LBB2_3303:                             ;   in Loop: Header=BB2_3300 Depth=2
	s_add_i32 s30, s30, 1
	s_mov_b64 s[88:89], -1
                                        ; implicit-def: $vgpr9
	s_and_saveexec_b64 s[92:93], s[90:91]
	s_cbranch_execz .LBB2_3298
	s_branch .LBB2_3297
.LBB2_3304:                             ;   in Loop: Header=BB2_3291 Depth=1
	s_or_b64 exec, exec, s[60:61]
	s_xor_b64 s[20:21], s[62:63], -1
	s_and_saveexec_b64 s[60:61], s[20:21]
	s_xor_b64 s[20:21], exec, s[60:61]
	s_cbranch_execz .LBB2_3306
; %bb.3305:                             ;   in Loop: Header=BB2_3291 Depth=1
	v_or_b32_e32 v60, 64, v60
	s_waitcnt lgkmcnt(0)
	ds_write_b32 v0, v9
	s_trap 2
.LBB2_3306:                             ;   in Loop: Header=BB2_3291 Depth=1
	s_or_b64 exec, exec, s[20:21]
.LBB2_3307:                             ;   in Loop: Header=BB2_3291 Depth=1
	s_or_b64 exec, exec, s[58:59]
	v_and_b32_e32 v9, 0x100, v60
	v_cmp_ne_u32_e32 vcc, 0, v9
	v_and_b32_e32 v17, 7, v8
	s_mov_b64 s[20:21], -1
	;;#ASMSTART
	s_wakeup
	;;#ASMEND
                                        ; implicit-def: $vgpr8_vgpr9
	s_and_saveexec_b64 s[58:59], vcc
	s_cbranch_execz .LBB2_3311
; %bb.3308:                             ;   in Loop: Header=BB2_3291 Depth=1
	v_mad_u64_u32 v[38:39], s[20:21], v17, 24, v[6:7]
	flat_load_dword v8, v[38:39]
	s_nop 0
	flat_store_dwordx2 v[38:39], v[10:11] offset:8
	s_waitcnt vmcnt(0) lgkmcnt(0)
	v_cmp_ne_u32_e32 vcc, 1, v8
	v_cmp_eq_u32_e64 s[20:21], 1, v8
                                        ; implicit-def: $vgpr8_vgpr9
	s_and_saveexec_b64 s[60:61], s[20:21]
	s_cbranch_execz .LBB2_3310
; %bb.3309:                             ;   in Loop: Header=BB2_3291 Depth=1
	flat_load_dword v8, v[38:39] offset:4 glc
	s_waitcnt vmcnt(0) lgkmcnt(0)
	v_ashrrev_i32_e32 v9, 31, v8
.LBB2_3310:                             ;   in Loop: Header=BB2_3291 Depth=1
	s_or_b64 exec, exec, s[60:61]
	s_orn2_b64 s[20:21], vcc, exec
.LBB2_3311:                             ;   in Loop: Header=BB2_3291 Depth=1
	s_or_b64 exec, exec, s[58:59]
	s_and_saveexec_b64 s[58:59], s[20:21]
; %bb.3312:                             ;   in Loop: Header=BB2_3291 Depth=1
	v_mad_i64_i32 v[8:9], s[20:21], v17, v40, 0
; %bb.3313:                             ;   in Loop: Header=BB2_3291 Depth=1
	s_or_b64 exec, exec, s[58:59]
	v_add_co_u32_e32 v8, vcc, v61, v8
	v_addc_co_u32_e32 v9, vcc, v62, v9, vcc
	ds_write_b64 v0, v[8:9] offset:784
	v_and_b32_e32 v8, 0x2000, v60
	v_cmp_ne_u32_e32 vcc, 0, v8
	s_and_saveexec_b64 s[20:21], vcc
	s_cbranch_execz .LBB2_3315
; %bb.3314:                             ;   in Loop: Header=BB2_3291 Depth=1
	ds_read_b64 v[8:9], v0 offset:872
	s_waitcnt lgkmcnt(0)
	v_add_co_u32_e32 v8, vcc, 1, v8
	v_addc_co_u32_e32 v9, vcc, 0, v9, vcc
	ds_write_b64 v0, v[8:9] offset:872
.LBB2_3315:                             ;   in Loop: Header=BB2_3291 Depth=1
	s_or_b64 exec, exec, s[20:21]
	v_mov_b32_e32 v8, v36
	v_mov_b32_e32 v9, v37
.LBB2_3316:                             ;   in Loop: Header=BB2_3291 Depth=1
	s_or_b64 exec, exec, s[56:57]
	s_and_saveexec_b64 s[20:21], s[10:11]
	s_cbranch_execz .LBB2_3335
; %bb.3317:                             ;   in Loop: Header=BB2_3291 Depth=1
	s_and_saveexec_b64 s[56:57], s[28:29]
	s_xor_b64 s[56:57], exec, s[56:57]
	s_cbranch_execz .LBB2_3332
; %bb.3318:                             ;   in Loop: Header=BB2_3291 Depth=1
	s_and_saveexec_b64 s[58:59], s[12:13]
	s_cbranch_execz .LBB2_3331
; %bb.3319:                             ;   in Loop: Header=BB2_3291 Depth=1
	s_mov_b64 s[62:63], exec
	v_mbcnt_lo_u32_b32 v17, s62, 0
	v_mbcnt_hi_u32_b32 v17, s63, v17
	v_cmp_eq_u32_e32 vcc, 0, v17
	s_waitcnt vmcnt(0) lgkmcnt(0)
	buffer_wbinvl1_vol
	s_and_saveexec_b64 s[60:61], vcc
	s_cbranch_execz .LBB2_3321
; %bb.3320:                             ;   in Loop: Header=BB2_3291 Depth=1
	s_bcnt1_i32_b64 s62, s[62:63]
	v_mov_b32_e32 v24, s62
	v_mov_b32_e32 v25, v11
	ds_add_u64 v0, v[24:25]
	s_trap 2
.LBB2_3321:                             ;   in Loop: Header=BB2_3291 Depth=1
	s_or_b64 exec, exec, s[60:61]
	s_trap 2
	ds_read_b64 v[24:25], v0
	s_waitcnt lgkmcnt(0)
	v_add_co_u32_e32 v26, vcc, v26, v0
	v_addc_co_u32_e32 v27, vcc, 0, v27, vcc
	v_cmp_lt_u64_e32 vcc, v[24:25], v[26:27]
	s_and_saveexec_b64 s[60:61], vcc
	s_cbranch_execz .LBB2_3330
; %bb.3322:                             ;   in Loop: Header=BB2_3291 Depth=1
	s_mov_b32 s90, 0
	s_mov_b64 s[62:63], 0
                                        ; implicit-def: $sgpr72_sgpr73
                                        ; implicit-def: $sgpr74_sgpr75
	s_branch .LBB2_3324
.LBB2_3323:                             ;   in Loop: Header=BB2_3324 Depth=2
	s_or_b64 exec, exec, s[78:79]
	s_and_b64 s[76:77], exec, s[88:89]
	s_or_b64 s[62:63], s[76:77], s[62:63]
	s_andn2_b64 s[72:73], s[72:73], exec
	s_and_b64 s[76:77], s[74:75], exec
	s_or_b64 s[72:73], s[72:73], s[76:77]
	s_andn2_b64 exec, exec, s[62:63]
	s_cbranch_execz .LBB2_3328
.LBB2_3324:                             ;   Parent Loop BB2_3291 Depth=1
                                        ; =>  This Inner Loop Header: Depth=2
	s_add_i32 s90, s90, 1
	s_cmpk_lg_i32 s90, 0x2710
	s_cselect_b64 s[76:77], -1, 0
	s_and_b64 vcc, exec, s[76:77]
	s_cbranch_vccz .LBB2_3326
; %bb.3325:                             ;   in Loop: Header=BB2_3324 Depth=2
	s_mov_b64 s[88:89], -1
	s_or_b64 s[74:75], s[74:75], exec
	s_and_saveexec_b64 s[78:79], s[76:77]
	s_cbranch_execz .LBB2_3323
	s_branch .LBB2_3327
.LBB2_3326:                             ;   in Loop: Header=BB2_3324 Depth=2
	s_trap 2
	ds_read_b64 v[24:25], v0
	s_andn2_b64 s[76:77], s[76:77], exec
	s_mov_b32 s90, 0
	s_waitcnt lgkmcnt(0)
	flat_load_dword v17, v[24:25] glc
	s_waitcnt vmcnt(0) lgkmcnt(0)
	buffer_wbinvl1_vol
	v_cmp_eq_u32_e32 vcc, 0, v17
	s_and_b64 s[78:79], vcc, exec
	s_or_b64 s[76:77], s[76:77], s[78:79]
	s_mov_b64 s[88:89], -1
	s_or_b64 s[74:75], s[74:75], exec
	s_and_saveexec_b64 s[78:79], s[76:77]
	s_cbranch_execz .LBB2_3323
.LBB2_3327:                             ;   in Loop: Header=BB2_3324 Depth=2
	s_sleep 1
	s_trap 2
	ds_read_b64 v[24:25], v0
	s_waitcnt lgkmcnt(0)
	s_andn2_b64 s[74:75], s[74:75], exec
	v_cmp_ge_u64_e32 vcc, v[24:25], v[26:27]
	s_orn2_b64 s[88:89], vcc, exec
	s_branch .LBB2_3323
.LBB2_3328:                             ;   in Loop: Header=BB2_3291 Depth=1
	s_or_b64 exec, exec, s[62:63]
	s_and_saveexec_b64 s[62:63], s[72:73]
	s_xor_b64 s[62:63], exec, s[62:63]
	s_cbranch_execz .LBB2_3330
; %bb.3329:                             ;   in Loop: Header=BB2_3291 Depth=1
	ds_write_b32 v0, v20
	s_trap 2
.LBB2_3330:                             ;   in Loop: Header=BB2_3291 Depth=1
	s_or_b64 exec, exec, s[60:61]
	;;#ASMSTART
	s_wakeup
	;;#ASMEND
.LBB2_3331:                             ;   in Loop: Header=BB2_3291 Depth=1
	s_or_b64 exec, exec, s[58:59]
.LBB2_3332:                             ;   in Loop: Header=BB2_3291 Depth=1
	s_andn2_saveexec_b64 s[56:57], s[56:57]
	s_cbranch_execz .LBB2_3334
; %bb.3333:                             ;   in Loop: Header=BB2_3291 Depth=1
	s_waitcnt vmcnt(0) lgkmcnt(0)
	buffer_wbinvl1_vol
	s_barrier
.LBB2_3334:                             ;   in Loop: Header=BB2_3291 Depth=1
	s_or_b64 exec, exec, s[56:57]
.LBB2_3335:                             ;   in Loop: Header=BB2_3291 Depth=1
	s_or_b64 exec, exec, s[20:21]
	s_trap 2
	ds_read_b32 v17, v0
	v_and_b32_e32 v21, 0x4000, v60
	v_cmp_ne_u32_e32 vcc, 0, v21
	s_and_b64 s[56:57], s[42:43], vcc
	s_and_saveexec_b64 s[20:21], s[56:57]
	s_cbranch_execz .LBB2_3354
; %bb.3336:                             ;   in Loop: Header=BB2_3291 Depth=1
	s_and_saveexec_b64 s[56:57], s[28:29]
	s_xor_b64 s[56:57], exec, s[56:57]
	s_cbranch_execz .LBB2_3351
; %bb.3337:                             ;   in Loop: Header=BB2_3291 Depth=1
	s_and_saveexec_b64 s[58:59], s[12:13]
	s_cbranch_execz .LBB2_3350
; %bb.3338:                             ;   in Loop: Header=BB2_3291 Depth=1
	s_mov_b64 s[62:63], exec
	v_mbcnt_lo_u32_b32 v21, s62, 0
	v_mbcnt_hi_u32_b32 v21, s63, v21
	v_cmp_eq_u32_e32 vcc, 0, v21
	s_waitcnt vmcnt(0) lgkmcnt(0)
	buffer_wbinvl1_vol
	s_and_saveexec_b64 s[60:61], vcc
	s_cbranch_execz .LBB2_3340
; %bb.3339:                             ;   in Loop: Header=BB2_3291 Depth=1
	s_bcnt1_i32_b64 s62, s[62:63]
	v_mov_b32_e32 v24, s62
	v_mov_b32_e32 v25, v11
	ds_add_u64 v0, v[24:25]
	s_trap 2
.LBB2_3340:                             ;   in Loop: Header=BB2_3291 Depth=1
	s_or_b64 exec, exec, s[60:61]
	s_trap 2
	ds_read_b64 v[24:25], v0
	s_waitcnt lgkmcnt(0)
	v_add_co_u32_e32 v26, vcc, v26, v0
	v_addc_co_u32_e32 v27, vcc, 0, v27, vcc
	v_cmp_lt_u64_e32 vcc, v[24:25], v[26:27]
	s_and_saveexec_b64 s[60:61], vcc
	s_cbranch_execz .LBB2_3349
; %bb.3341:                             ;   in Loop: Header=BB2_3291 Depth=1
	s_mov_b32 s90, 0
	s_mov_b64 s[62:63], 0
                                        ; implicit-def: $sgpr72_sgpr73
                                        ; implicit-def: $sgpr74_sgpr75
	s_branch .LBB2_3343
.LBB2_3342:                             ;   in Loop: Header=BB2_3343 Depth=2
	s_or_b64 exec, exec, s[78:79]
	s_and_b64 s[76:77], exec, s[88:89]
	s_or_b64 s[62:63], s[76:77], s[62:63]
	s_andn2_b64 s[72:73], s[72:73], exec
	s_and_b64 s[76:77], s[74:75], exec
	s_or_b64 s[72:73], s[72:73], s[76:77]
	s_andn2_b64 exec, exec, s[62:63]
	s_cbranch_execz .LBB2_3347
.LBB2_3343:                             ;   Parent Loop BB2_3291 Depth=1
                                        ; =>  This Inner Loop Header: Depth=2
	s_add_i32 s90, s90, 1
	s_cmpk_lg_i32 s90, 0x2710
	s_cselect_b64 s[76:77], -1, 0
	s_and_b64 vcc, exec, s[76:77]
	s_cbranch_vccz .LBB2_3345
; %bb.3344:                             ;   in Loop: Header=BB2_3343 Depth=2
	s_mov_b64 s[88:89], -1
	s_or_b64 s[74:75], s[74:75], exec
	s_and_saveexec_b64 s[78:79], s[76:77]
	s_cbranch_execz .LBB2_3342
	s_branch .LBB2_3346
.LBB2_3345:                             ;   in Loop: Header=BB2_3343 Depth=2
	s_trap 2
	ds_read_b64 v[24:25], v0
	s_andn2_b64 s[76:77], s[76:77], exec
	s_mov_b32 s90, 0
	s_waitcnt lgkmcnt(0)
	flat_load_dword v21, v[24:25] glc
	s_waitcnt vmcnt(0) lgkmcnt(0)
	buffer_wbinvl1_vol
	v_cmp_eq_u32_e32 vcc, 0, v21
	s_and_b64 s[78:79], vcc, exec
	s_or_b64 s[76:77], s[76:77], s[78:79]
	s_mov_b64 s[88:89], -1
	s_or_b64 s[74:75], s[74:75], exec
	s_and_saveexec_b64 s[78:79], s[76:77]
	s_cbranch_execz .LBB2_3342
.LBB2_3346:                             ;   in Loop: Header=BB2_3343 Depth=2
	s_sleep 1
	s_trap 2
	ds_read_b64 v[24:25], v0
	s_waitcnt lgkmcnt(0)
	s_andn2_b64 s[74:75], s[74:75], exec
	v_cmp_ge_u64_e32 vcc, v[24:25], v[26:27]
	s_orn2_b64 s[88:89], vcc, exec
	s_branch .LBB2_3342
.LBB2_3347:                             ;   in Loop: Header=BB2_3291 Depth=1
	s_or_b64 exec, exec, s[62:63]
	s_and_saveexec_b64 s[62:63], s[72:73]
	s_xor_b64 s[62:63], exec, s[62:63]
	s_cbranch_execz .LBB2_3349
; %bb.3348:                             ;   in Loop: Header=BB2_3291 Depth=1
	ds_write_b32 v0, v20
	s_trap 2
.LBB2_3349:                             ;   in Loop: Header=BB2_3291 Depth=1
	s_or_b64 exec, exec, s[60:61]
	;;#ASMSTART
	s_wakeup
	;;#ASMEND
.LBB2_3350:                             ;   in Loop: Header=BB2_3291 Depth=1
	s_or_b64 exec, exec, s[58:59]
.LBB2_3351:                             ;   in Loop: Header=BB2_3291 Depth=1
	s_andn2_saveexec_b64 s[56:57], s[56:57]
	s_cbranch_execz .LBB2_3353
; %bb.3352:                             ;   in Loop: Header=BB2_3291 Depth=1
	s_waitcnt vmcnt(0) lgkmcnt(0)
	buffer_wbinvl1_vol
	s_barrier
.LBB2_3353:                             ;   in Loop: Header=BB2_3291 Depth=1
	s_or_b64 exec, exec, s[56:57]
.LBB2_3354:                             ;   in Loop: Header=BB2_3291 Depth=1
	s_or_b64 exec, exec, s[20:21]
	s_trap 2
	ds_read_b64 v[36:37], v0
	s_waitcnt lgkmcnt(0)
	v_cmp_eq_u64_e32 vcc, 0, v[36:37]
	s_cbranch_vccnz .LBB2_3362
; %bb.3355:                             ;   in Loop: Header=BB2_3291 Depth=1
	s_trap 2
	ds_read_b64 v[38:39], v0
	s_waitcnt lgkmcnt(0)
	v_cmp_eq_u64_e32 vcc, 0, v[38:39]
	s_cbranch_vccnz .LBB2_3362
; %bb.3356:                             ;   in Loop: Header=BB2_3291 Depth=1
	s_mov_b64 s[20:21], -1
	s_and_saveexec_b64 s[56:57], s[14:15]
	s_cbranch_execz .LBB2_3358
; %bb.3357:                             ;   in Loop: Header=BB2_3291 Depth=1
	ds_read_b32 v21, v0 offset:720
	s_waitcnt lgkmcnt(0)
	v_and_b32_e32 v21, 15, v21
	v_cmp_eq_u32_e32 vcc, 0, v21
	s_orn2_b64 s[20:21], vcc, exec
.LBB2_3358:                             ;   in Loop: Header=BB2_3291 Depth=1
	s_or_b64 exec, exec, s[56:57]
	s_and_saveexec_b64 s[56:57], s[16:17]
	s_cbranch_execz .LBB2_3360
; %bb.3359:                             ;   in Loop: Header=BB2_3291 Depth=1
	ds_read_b32 v21, v0 offset:784
	s_waitcnt lgkmcnt(0)
	v_and_b32_e32 v21, 15, v21
	v_cmp_eq_u32_e32 vcc, 0, v21
	s_and_b64 s[58:59], s[20:21], vcc
	s_andn2_b64 s[20:21], s[20:21], exec
	s_and_b64 s[58:59], s[58:59], exec
	s_or_b64 s[20:21], s[20:21], s[58:59]
.LBB2_3360:                             ;   in Loop: Header=BB2_3291 Depth=1
	s_or_b64 exec, exec, s[56:57]
	v_cmp_eq_u32_e32 vcc, 0, v17
	s_xor_b64 s[20:21], s[20:21], -1
	v_mov_b32_e32 v57, v53
	v_cndmask_b32_e32 v17, 0, v10, vcc
	v_cndmask_b32_e64 v21, 0, 1, s[20:21]
	v_mov_b32_e32 v56, v52
	s_mov_b64 s[58:59], -1
	v_cmp_ne_u32_e32 vcc, 0, v21
	v_mov_b32_e32 v21, 0
	v_mov_b32_e32 v24, v17
	;; [unrolled: 1-line block ×4, first 2 shown]
	s_cbranch_vccz .LBB2_3363
; %bb.3361:                             ;   in Loop: Header=BB2_3291 Depth=1
	s_and_saveexec_b64 s[20:21], s[58:59]
	s_cbranch_execnz .LBB2_3376
	s_branch .LBB2_3384
.LBB2_3362:                             ;   in Loop: Header=BB2_3291 Depth=1
	s_mov_b64 s[20:21], 0
	s_and_saveexec_b64 s[56:57], s[10:11]
	s_cbranch_execnz .LBB2_3385
	s_branch .LBB2_3403
.LBB2_3363:                             ;   in Loop: Header=BB2_3291 Depth=1
	v_lshrrev_b32_e32 v21, 11, v17
	v_sub_u32_e32 v30, v21, v2
	v_cmp_lt_i32_e32 vcc, 0, v30
	s_and_saveexec_b64 s[20:21], vcc
	s_cbranch_execz .LBB2_3367
; %bb.3364:                             ;   in Loop: Header=BB2_3291 Depth=1
	v_mov_b32_e32 v49, v13
	s_mov_b64 s[56:57], 0
	v_mov_b32_e32 v48, v12
.LBB2_3365:                             ;   Parent Loop BB2_3291 Depth=1
                                        ; =>  This Inner Loop Header: Depth=2
	v_add_co_u32_e32 v24, vcc, v36, v48
	v_addc_co_u32_e32 v25, vcc, v37, v49, vcc
	global_load_dwordx4 v[50:53], v[24:25], off glc slc
	global_load_dwordx4 v[40:43], v[24:25], off offset:1024 glc slc
	v_add_co_u32_e32 v24, vcc, v38, v48
	v_addc_co_u32_e32 v25, vcc, v39, v49, vcc
	v_lshlrev_b32_e32 v21, 11, v0
	v_add_co_u32_e32 v48, vcc, v48, v21
	v_sub_u32_e32 v30, v30, v0
	v_addc_co_u32_e32 v49, vcc, 0, v49, vcc
	v_cmp_gt_i32_e32 vcc, 1, v30
	s_or_b64 s[56:57], vcc, s[56:57]
	s_waitcnt vmcnt(0)
	global_store_dwordx4 v[24:25], v[50:53], off glc slc
	global_store_dwordx4 v[24:25], v[40:43], off offset:1024 glc slc
	s_andn2_b64 exec, exec, s[56:57]
	s_cbranch_execnz .LBB2_3365
; %bb.3366:                             ;   in Loop: Header=BB2_3291 Depth=1
	s_or_b64 exec, exec, s[56:57]
	v_mov_b32_e32 v40, v47
.LBB2_3367:                             ;   in Loop: Header=BB2_3291 Depth=1
	s_or_b64 exec, exec, s[20:21]
	v_and_b32_e32 v35, 0x3ffff800, v17
	v_cmp_ne_u32_e32 vcc, v17, v35
	s_mov_b64 s[58:59], 0
	v_mov_b32_e32 v21, 0
                                        ; implicit-def: $vgpr24
                                        ; implicit-def: $vgpr25
                                        ; implicit-def: $vgpr34
	s_and_saveexec_b64 s[56:57], vcc
	s_cbranch_execz .LBB2_3375
; %bb.3368:                             ;   in Loop: Header=BB2_3291 Depth=1
	v_lshlrev_b32_e32 v24, 6, v30
	v_sub_u32_e32 v24, v1, v24
	v_ashrrev_i32_e32 v25, 31, v24
	v_lshrrev_b32_e32 v25, 26, v25
	v_add_u32_e32 v25, v24, v25
	v_ashrrev_i32_e32 v48, 6, v25
	v_and_b32_e32 v25, 0xffffffc0, v25
	v_sub_u32_e32 v30, v24, v25
	v_lshlrev_b32_e32 v24, 4, v30
	v_and_b32_e32 v21, 0x7ff, v17
	v_lshl_add_u32 v25, v48, 10, v24
	v_sub_u32_e32 v24, v21, v25
	v_and_b32_e32 v21, 0x3ff, v17
	v_bfe_u32 v34, v17, 10, 1
	v_cmp_lt_u32_e32 vcc, 15, v21
	v_addc_co_u32_e64 v34, s[20:21], 0, v34, vcc
	s_waitcnt vmcnt(0)
	v_sub_u32_e32 v54, v34, v48
	v_cmp_lt_i32_e64 s[20:21], 15, v24
	s_and_saveexec_b64 s[58:59], s[20:21]
	s_cbranch_execz .LBB2_3372
; %bb.3369:                             ;   in Loop: Header=BB2_3291 Depth=1
	v_add_u32_e32 v25, v25, v35
	v_ashrrev_i32_e32 v34, 31, v25
	s_mov_b64 s[60:61], 0
.LBB2_3370:                             ;   Parent Loop BB2_3291 Depth=1
                                        ; =>  This Inner Loop Header: Depth=2
	v_add_co_u32_e64 v48, s[20:21], v36, v25
	v_addc_co_u32_e64 v49, s[20:21], v37, v34, s[20:21]
	global_load_dwordx4 v[48:51], v[48:49], off glc slc
	v_add_co_u32_e64 v52, s[20:21], v38, v25
	v_addc_co_u32_e64 v53, s[20:21], v39, v34, s[20:21]
	v_add_co_u32_e64 v25, s[20:21], v25, v3
	v_sub_u32_e32 v24, v24, v3
	v_addc_co_u32_e64 v34, s[20:21], 0, v34, s[20:21]
	v_cmp_gt_i32_e64 s[20:21], 16, v24
	v_sub_u32_e32 v54, v54, v0
	s_or_b64 s[60:61], s[20:21], s[60:61]
	s_waitcnt vmcnt(0)
	global_store_dwordx4 v[52:53], v[48:51], off glc slc
	s_andn2_b64 exec, exec, s[60:61]
	s_cbranch_execnz .LBB2_3370
; %bb.3371:                             ;   in Loop: Header=BB2_3291 Depth=1
	s_or_b64 exec, exec, s[60:61]
.LBB2_3372:                             ;   in Loop: Header=BB2_3291 Depth=1
	s_or_b64 exec, exec, s[58:59]
	v_and_b32_e32 v24, 15, v17
	v_cndmask_b32_e32 v24, v21, v24, vcc
	v_mov_b32_e32 v21, 0
	v_cmp_ne_u32_e64 s[20:21], 0, v24
	s_mov_b64 s[58:59], 0
                                        ; implicit-def: $vgpr25
                                        ; implicit-def: $vgpr34
	s_and_saveexec_b64 s[60:61], s[20:21]
	s_cbranch_execz .LBB2_3374
; %bb.3373:                             ;   in Loop: Header=BB2_3291 Depth=1
	v_and_b32_e32 v21, 0x3f0, v17
	v_cndmask_b32_e32 v21, 0, v21, vcc
	v_cmp_lt_i32_e32 vcc, 0, v54
	v_cndmask_b32_e32 v25, 0, v0, vcc
	v_sub_u32_e32 v25, v25, v54
	v_lshl_add_u32 v25, v25, 6, v30
	v_ashrrev_i32_e32 v30, 31, v25
	v_lshrrev_b32_e32 v30, 26, v30
	v_add_u32_e32 v30, v25, v30
	s_mov_b64 s[58:59], exec
	v_and_or_b32 v21, v17, s95, v21
	v_ashrrev_i32_e32 v34, 6, v30
.LBB2_3374:                             ;   in Loop: Header=BB2_3291 Depth=1
	s_or_b64 exec, exec, s[60:61]
	buffer_load_dword v54, off, s[0:3], s33 offset:76 ; 4-byte Folded Reload
	buffer_load_dword v55, off, s[0:3], s33 offset:80 ; 4-byte Folded Reload
	s_and_b64 s[58:59], s[58:59], exec
.LBB2_3375:                             ;   in Loop: Header=BB2_3291 Depth=1
	s_or_b64 exec, exec, s[56:57]
	s_and_saveexec_b64 s[20:21], s[58:59]
	s_cbranch_execz .LBB2_3384
.LBB2_3376:                             ;   in Loop: Header=BB2_3291 Depth=1
	v_lshrrev_b32_e32 v30, 9, v24
	v_sub_u32_e32 v30, v30, v34
	v_ashrrev_i32_e32 v35, 31, v25
	v_cmp_lt_i32_e32 vcc, 0, v30
	v_lshrrev_b32_e32 v42, 26, v35
	s_and_saveexec_b64 s[56:57], vcc
	s_cbranch_execz .LBB2_3380
; %bb.3377:                             ;   in Loop: Header=BB2_3291 Depth=1
	v_add_u32_e32 v35, v25, v42
	v_and_b32_e32 v35, 0xffffffc0, v35
	v_sub_u32_e32 v35, v25, v35
	v_lshlrev_b32_e32 v34, 9, v34
	v_add3_u32 v34, v21, v35, v34
	v_ashrrev_i32_e32 v35, 31, v34
	s_mov_b64 s[58:59], 0
.LBB2_3378:                             ;   Parent Loop BB2_3291 Depth=1
                                        ; =>  This Inner Loop Header: Depth=2
	v_add_co_u32_e32 v48, vcc, v34, v36
	v_addc_co_u32_e32 v49, vcc, v35, v37, vcc
	flat_load_ubyte v50, v[48:49] glc slc
	flat_load_ubyte v51, v[48:49] offset:64 glc slc
	flat_load_ubyte v52, v[48:49] offset:128 glc slc
	;; [unrolled: 1-line block ×3, first 2 shown]
	s_waitcnt vmcnt(0)
	flat_load_ubyte v54, v[48:49] offset:256 glc slc
	flat_load_ubyte v55, v[48:49] offset:320 glc slc
	;; [unrolled: 1-line block ×4, first 2 shown]
	v_add_co_u32_e32 v48, vcc, v34, v38
	v_addc_co_u32_e32 v49, vcc, v35, v39, vcc
	v_add_co_u32_e32 v36, vcc, v36, v18
	v_addc_co_u32_e32 v37, vcc, 0, v37, vcc
	v_add_co_u32_e32 v38, vcc, v38, v18
	v_sub_u32_e32 v30, v30, v0
	v_addc_co_u32_e32 v39, vcc, 0, v39, vcc
	v_cmp_gt_i32_e32 vcc, 1, v30
	s_or_b64 s[58:59], vcc, s[58:59]
	s_waitcnt lgkmcnt(0)
	flat_store_byte v[48:49], v50 glc slc
	flat_store_byte v[48:49], v51 offset:64 glc slc
	flat_store_byte v[48:49], v52 offset:128 glc slc
	;; [unrolled: 1-line block ×3, first 2 shown]
	s_waitcnt vmcnt(0)
	flat_store_byte v[48:49], v54 offset:256 glc slc
	flat_store_byte v[48:49], v55 offset:320 glc slc
	;; [unrolled: 1-line block ×4, first 2 shown]
	s_andn2_b64 exec, exec, s[58:59]
	s_cbranch_execnz .LBB2_3378
; %bb.3379:                             ;   in Loop: Header=BB2_3291 Depth=1
	s_or_b64 exec, exec, s[58:59]
	buffer_load_dword v54, off, s[0:3], s33 offset:76 ; 4-byte Folded Reload
	buffer_load_dword v55, off, s[0:3], s33 offset:80 ; 4-byte Folded Reload
	v_mov_b32_e32 v40, v47
.LBB2_3380:                             ;   in Loop: Header=BB2_3291 Depth=1
	s_or_b64 exec, exec, s[56:57]
	v_and_b32_e32 v34, 0xfffffe00, v24
	v_cmp_ne_u32_e32 vcc, v24, v34
	s_and_b64 exec, exec, vcc
	s_cbranch_execz .LBB2_3384
; %bb.3381:                             ;   in Loop: Header=BB2_3291 Depth=1
	v_add_u32_e32 v35, v25, v42
	v_and_b32_e32 v35, 0xffffffc0, v35
	v_sub_u32_e32 v25, v25, v35
	v_lshlrev_b32_e32 v30, 6, v30
	v_sub_u32_e32 v25, v25, v30
	v_and_b32_e32 v24, 0x1ff, v24
	v_sub_u32_e32 v24, v24, v25
	v_cmp_lt_i32_e32 vcc, 0, v24
	s_and_b64 exec, exec, vcc
	s_cbranch_execz .LBB2_3384
; %bb.3382:                             ;   in Loop: Header=BB2_3291 Depth=1
	s_trap 2
	ds_read_b64 v[36:37], v0
	v_add3_u32 v21, v34, v21, v25
	v_ashrrev_i32_e32 v25, 31, v21
	s_mov_b64 s[56:57], 0
.LBB2_3383:                             ;   Parent Loop BB2_3291 Depth=1
                                        ; =>  This Inner Loop Header: Depth=2
	s_waitcnt lgkmcnt(0)
	v_add_co_u32_e32 v38, vcc, v36, v21
	v_addc_co_u32_e32 v39, vcc, v37, v25, vcc
	flat_load_ubyte v34, v[38:39] glc slc
	v_add_co_u32_e32 v21, vcc, v21, v19
	v_sub_u32_e32 v24, v24, v19
	v_addc_co_u32_e32 v25, vcc, 0, v25, vcc
	v_cmp_gt_i32_e32 vcc, 1, v24
	s_or_b64 s[56:57], vcc, s[56:57]
	s_waitcnt vmcnt(0) lgkmcnt(0)
	flat_store_byte v[38:39], v34 glc slc
	s_andn2_b64 exec, exec, s[56:57]
	s_cbranch_execnz .LBB2_3383
.LBB2_3384:                             ;   in Loop: Header=BB2_3291 Depth=1
	s_or_b64 exec, exec, s[20:21]
	v_mov_b32_e32 v52, v56
	v_cmp_ne_u32_e64 s[20:21], 0, v17
	v_mov_b32_e32 v53, v57
	s_and_saveexec_b64 s[56:57], s[10:11]
	s_cbranch_execz .LBB2_3403
.LBB2_3385:                             ;   in Loop: Header=BB2_3291 Depth=1
	s_and_saveexec_b64 s[58:59], s[28:29]
	s_xor_b64 s[58:59], exec, s[58:59]
	s_cbranch_execz .LBB2_3400
; %bb.3386:                             ;   in Loop: Header=BB2_3291 Depth=1
	s_and_saveexec_b64 s[60:61], s[12:13]
	s_cbranch_execz .LBB2_3399
; %bb.3387:                             ;   in Loop: Header=BB2_3291 Depth=1
	s_mov_b64 s[72:73], exec
	v_mbcnt_lo_u32_b32 v17, s72, 0
	v_mbcnt_hi_u32_b32 v17, s73, v17
	v_cmp_eq_u32_e32 vcc, 0, v17
	s_waitcnt vmcnt(0) lgkmcnt(0)
	buffer_wbinvl1_vol
	s_and_saveexec_b64 s[62:63], vcc
	s_cbranch_execz .LBB2_3389
; %bb.3388:                             ;   in Loop: Header=BB2_3291 Depth=1
	s_bcnt1_i32_b64 s72, s[72:73]
	v_mov_b32_e32 v24, s72
	v_mov_b32_e32 v25, v11
	ds_add_u64 v0, v[24:25]
	s_trap 2
.LBB2_3389:                             ;   in Loop: Header=BB2_3291 Depth=1
	s_or_b64 exec, exec, s[62:63]
	s_trap 2
	ds_read_b64 v[24:25], v0
	s_waitcnt lgkmcnt(0)
	v_add_co_u32_e32 v26, vcc, v26, v0
	v_addc_co_u32_e32 v27, vcc, 0, v27, vcc
	v_cmp_lt_u64_e32 vcc, v[24:25], v[26:27]
	s_and_saveexec_b64 s[62:63], vcc
	s_cbranch_execz .LBB2_3398
; %bb.3390:                             ;   in Loop: Header=BB2_3291 Depth=1
	s_mov_b32 s92, 0
	s_mov_b64 s[72:73], 0
                                        ; implicit-def: $sgpr74_sgpr75
                                        ; implicit-def: $sgpr76_sgpr77
	s_branch .LBB2_3392
.LBB2_3391:                             ;   in Loop: Header=BB2_3392 Depth=2
	s_or_b64 exec, exec, s[88:89]
	s_and_b64 s[78:79], exec, s[90:91]
	s_or_b64 s[72:73], s[78:79], s[72:73]
	s_andn2_b64 s[74:75], s[74:75], exec
	s_and_b64 s[78:79], s[76:77], exec
	s_or_b64 s[74:75], s[74:75], s[78:79]
	s_andn2_b64 exec, exec, s[72:73]
	s_cbranch_execz .LBB2_3396
.LBB2_3392:                             ;   Parent Loop BB2_3291 Depth=1
                                        ; =>  This Inner Loop Header: Depth=2
	s_add_i32 s92, s92, 1
	s_cmpk_lg_i32 s92, 0x2710
	s_cselect_b64 s[78:79], -1, 0
	s_and_b64 vcc, exec, s[78:79]
	s_cbranch_vccz .LBB2_3394
; %bb.3393:                             ;   in Loop: Header=BB2_3392 Depth=2
	s_mov_b64 s[90:91], -1
	s_or_b64 s[76:77], s[76:77], exec
	s_and_saveexec_b64 s[88:89], s[78:79]
	s_cbranch_execz .LBB2_3391
	s_branch .LBB2_3395
.LBB2_3394:                             ;   in Loop: Header=BB2_3392 Depth=2
	s_trap 2
	ds_read_b64 v[24:25], v0
	s_andn2_b64 s[78:79], s[78:79], exec
	s_mov_b32 s92, 0
	s_waitcnt lgkmcnt(0)
	flat_load_dword v17, v[24:25] glc
	s_waitcnt vmcnt(0) lgkmcnt(0)
	buffer_wbinvl1_vol
	v_cmp_eq_u32_e32 vcc, 0, v17
	s_and_b64 s[88:89], vcc, exec
	s_or_b64 s[78:79], s[78:79], s[88:89]
	s_mov_b64 s[90:91], -1
	s_or_b64 s[76:77], s[76:77], exec
	s_and_saveexec_b64 s[88:89], s[78:79]
	s_cbranch_execz .LBB2_3391
.LBB2_3395:                             ;   in Loop: Header=BB2_3392 Depth=2
	s_sleep 1
	s_trap 2
	ds_read_b64 v[24:25], v0
	s_waitcnt lgkmcnt(0)
	s_andn2_b64 s[76:77], s[76:77], exec
	v_cmp_ge_u64_e32 vcc, v[24:25], v[26:27]
	s_orn2_b64 s[90:91], vcc, exec
	s_branch .LBB2_3391
.LBB2_3396:                             ;   in Loop: Header=BB2_3291 Depth=1
	s_or_b64 exec, exec, s[72:73]
	s_and_saveexec_b64 s[72:73], s[74:75]
	s_xor_b64 s[72:73], exec, s[72:73]
	s_cbranch_execz .LBB2_3398
; %bb.3397:                             ;   in Loop: Header=BB2_3291 Depth=1
	ds_write_b32 v0, v20
	s_trap 2
.LBB2_3398:                             ;   in Loop: Header=BB2_3291 Depth=1
	s_or_b64 exec, exec, s[62:63]
	;;#ASMSTART
	s_wakeup
	;;#ASMEND
.LBB2_3399:                             ;   in Loop: Header=BB2_3291 Depth=1
	s_or_b64 exec, exec, s[60:61]
.LBB2_3400:                             ;   in Loop: Header=BB2_3291 Depth=1
	s_andn2_saveexec_b64 s[58:59], s[58:59]
	s_cbranch_execz .LBB2_3402
; %bb.3401:                             ;   in Loop: Header=BB2_3291 Depth=1
	s_waitcnt vmcnt(0) lgkmcnt(0)
	buffer_wbinvl1_vol
	s_barrier
.LBB2_3402:                             ;   in Loop: Header=BB2_3291 Depth=1
	s_or_b64 exec, exec, s[58:59]
.LBB2_3403:                             ;   in Loop: Header=BB2_3291 Depth=1
	s_or_b64 exec, exec, s[56:57]
	v_and_b32_e32 v17, 16, v60
	v_cmp_ne_u32_e32 vcc, 0, v17
	s_and_b64 s[56:57], vcc, s[20:21]
	s_and_saveexec_b64 s[20:21], s[56:57]
	s_cbranch_execz .LBB2_3405
; %bb.3404:                             ;   in Loop: Header=BB2_3291 Depth=1
	s_waitcnt vmcnt(0) lgkmcnt(0)
	buffer_wbinvl1_vol
.LBB2_3405:                             ;   in Loop: Header=BB2_3291 Depth=1
	s_or_b64 exec, exec, s[20:21]
	v_cmp_ne_u32_e32 vcc, 0, v17
	s_and_saveexec_b64 s[20:21], vcc
	s_cbranch_execz .LBB2_3409
; %bb.3406:                             ;   in Loop: Header=BB2_3291 Depth=1
	s_and_saveexec_b64 s[56:57], s[18:19]
	s_cbranch_execz .LBB2_3408
; %bb.3407:                             ;   in Loop: Header=BB2_3291 Depth=1
	flat_store_dword v[52:53], v20
.LBB2_3408:                             ;   in Loop: Header=BB2_3291 Depth=1
	s_or_b64 exec, exec, s[56:57]
	v_add_co_u32_e32 v8, vcc, 1, v8
	v_addc_co_u32_e32 v9, vcc, 0, v9, vcc
	flat_store_dwordx2 v[22:23], v[8:9]
.LBB2_3409:                             ;   in Loop: Header=BB2_3291 Depth=1
	s_or_b64 exec, exec, s[20:21]
	v_mov_b32_e32 v17, v10
.LBB2_3410:                             ;   in Loop: Header=BB2_3291 Depth=1
	s_or_b64 exec, exec, s[46:47]
	s_and_saveexec_b64 s[46:47], s[44:45]
	s_cbranch_execz .LBB2_3290
; %bb.3411:                             ;   in Loop: Header=BB2_3291 Depth=1
	v_sub_u32_e32 v16, v16, v17
	v_min_i32_e32 v16, v10, v16
	v_and_b32_e32 v10, 8, v60
	v_cmp_ne_u32_e32 vcc, 0, v10
	s_and_saveexec_b64 s[44:45], vcc
	s_cbranch_execz .LBB2_3433
; %bb.3412:                             ;   in Loop: Header=BB2_3291 Depth=1
	s_waitcnt vmcnt(0)
	v_add_co_u32_e32 v24, vcc, 8, v28
	v_addc_co_u32_e32 v25, vcc, 0, v29, vcc
	v_add_co_u32_e32 v36, vcc, 1, v8
	v_addc_co_u32_e32 v37, vcc, 0, v9, vcc
	v_cmp_lt_u64_e32 vcc, v[24:25], v[36:37]
	s_and_saveexec_b64 s[56:57], vcc
	s_cbranch_execz .LBB2_3424
; %bb.3413:                             ;   in Loop: Header=BB2_3291 Depth=1
	v_and_b32_e32 v9, 64, v60
	s_mov_b32 s92, 0
	v_cmp_eq_u32_e32 vcc, 0, v9
	s_mov_b64 s[58:59], 0
                                        ; implicit-def: $sgpr60_sgpr61
                                        ; implicit-def: $sgpr62_sgpr63
                                        ; implicit-def: $sgpr72_sgpr73
	s_branch .LBB2_3417
.LBB2_3414:                             ;   in Loop: Header=BB2_3417 Depth=2
	s_waitcnt vmcnt(0) lgkmcnt(0)
	v_add_co_u32_e64 v24, s[20:21], 8, v28
	v_addc_co_u32_e64 v25, s[20:21], 0, v29, s[20:21]
	v_cmp_ge_u64_e64 s[20:21], v[24:25], v[36:37]
	s_or_b64 s[78:79], s[78:79], exec
	s_orn2_b64 s[76:77], s[20:21], exec
.LBB2_3415:                             ;   in Loop: Header=BB2_3417 Depth=2
	s_or_b64 exec, exec, s[90:91]
	s_andn2_b64 s[20:21], s[72:73], exec
	s_and_b64 s[72:73], s[78:79], exec
	s_or_b64 s[72:73], s[20:21], s[72:73]
	s_andn2_b64 s[20:21], s[62:63], exec
	s_and_b64 s[62:63], s[76:77], exec
	s_or_b64 s[62:63], s[20:21], s[62:63]
.LBB2_3416:                             ;   in Loop: Header=BB2_3417 Depth=2
	s_or_b64 exec, exec, s[74:75]
	s_and_b64 s[20:21], exec, s[62:63]
	s_or_b64 s[58:59], s[20:21], s[58:59]
	s_andn2_b64 s[20:21], s[60:61], exec
	s_and_b64 s[60:61], s[72:73], exec
	s_or_b64 s[60:61], s[20:21], s[60:61]
	s_andn2_b64 exec, exec, s[58:59]
	s_cbranch_execz .LBB2_3421
.LBB2_3417:                             ;   Parent Loop BB2_3291 Depth=1
                                        ; =>  This Inner Loop Header: Depth=2
	s_sleep 1
	s_waitcnt vmcnt(0) lgkmcnt(0)
	flat_load_dwordx2 v[28:29], v[22:23] glc
	s_or_b64 s[72:73], s[72:73], exec
	s_or_b64 s[62:63], s[62:63], exec
                                        ; implicit-def: $vgpr9
	s_and_saveexec_b64 s[74:75], vcc
	s_cbranch_execz .LBB2_3416
; %bb.3418:                             ;   in Loop: Header=BB2_3417 Depth=2
	s_cmpk_lt_i32 s92, 0x270f
	s_cselect_b64 s[88:89], -1, 0
	s_cmpk_gt_i32 s92, 0x270e
	s_mov_b64 s[76:77], -1
	s_cbranch_scc0 .LBB2_3420
; %bb.3419:                             ;   in Loop: Header=BB2_3417 Depth=2
	s_trap 2
	ds_read_b64 v[9:10], v0
	s_andn2_b64 s[88:89], s[88:89], exec
	s_mov_b32 s92, 0
	s_mov_b64 s[78:79], 0
	s_waitcnt vmcnt(0) lgkmcnt(0)
	flat_load_dword v9, v[9:10] glc
	s_waitcnt vmcnt(0) lgkmcnt(0)
	buffer_wbinvl1_vol
	v_cmp_eq_u32_e64 s[20:21], 0, v9
	s_and_b64 s[20:21], s[20:21], exec
	s_or_b64 s[88:89], s[88:89], s[20:21]
	s_and_saveexec_b64 s[90:91], s[88:89]
	s_cbranch_execz .LBB2_3415
	s_branch .LBB2_3414
.LBB2_3420:                             ;   in Loop: Header=BB2_3417 Depth=2
	s_add_i32 s92, s92, 1
	s_mov_b64 s[78:79], -1
                                        ; implicit-def: $vgpr9
	s_and_saveexec_b64 s[90:91], s[88:89]
	s_cbranch_execz .LBB2_3415
	s_branch .LBB2_3414
.LBB2_3421:                             ;   in Loop: Header=BB2_3291 Depth=1
	s_or_b64 exec, exec, s[58:59]
	s_xor_b64 s[20:21], s[60:61], -1
	s_and_saveexec_b64 s[58:59], s[20:21]
	s_xor_b64 s[20:21], exec, s[58:59]
	s_cbranch_execz .LBB2_3423
; %bb.3422:                             ;   in Loop: Header=BB2_3291 Depth=1
	v_or_b32_e32 v60, 64, v60
	s_waitcnt lgkmcnt(0)
	ds_write_b32 v0, v9
	s_trap 2
.LBB2_3423:                             ;   in Loop: Header=BB2_3291 Depth=1
	s_or_b64 exec, exec, s[20:21]
.LBB2_3424:                             ;   in Loop: Header=BB2_3291 Depth=1
	s_or_b64 exec, exec, s[56:57]
	v_and_b32_e32 v9, 0x100, v60
	v_cmp_ne_u32_e32 vcc, 0, v9
	v_and_b32_e32 v10, 7, v8
	s_mov_b64 s[20:21], -1
	;;#ASMSTART
	s_wakeup
	;;#ASMEND
                                        ; implicit-def: $vgpr8_vgpr9
	s_and_saveexec_b64 s[56:57], vcc
	s_cbranch_execz .LBB2_3428
; %bb.3425:                             ;   in Loop: Header=BB2_3291 Depth=1
	v_mad_u64_u32 v[38:39], s[20:21], v10, 24, v[6:7]
	v_ashrrev_i32_e32 v17, 31, v16
	flat_load_dword v8, v[38:39]
	s_nop 0
	flat_store_dwordx2 v[38:39], v[16:17] offset:8
	s_waitcnt vmcnt(0) lgkmcnt(0)
	v_cmp_ne_u32_e32 vcc, 1, v8
	v_cmp_eq_u32_e64 s[20:21], 1, v8
                                        ; implicit-def: $vgpr8_vgpr9
	s_and_saveexec_b64 s[58:59], s[20:21]
	s_cbranch_execz .LBB2_3427
; %bb.3426:                             ;   in Loop: Header=BB2_3291 Depth=1
	flat_load_dword v8, v[38:39] offset:4 glc
	s_waitcnt vmcnt(0) lgkmcnt(0)
	v_ashrrev_i32_e32 v9, 31, v8
.LBB2_3427:                             ;   in Loop: Header=BB2_3291 Depth=1
	s_or_b64 exec, exec, s[58:59]
	s_orn2_b64 s[20:21], vcc, exec
.LBB2_3428:                             ;   in Loop: Header=BB2_3291 Depth=1
	s_or_b64 exec, exec, s[56:57]
	s_and_saveexec_b64 s[56:57], s[20:21]
; %bb.3429:                             ;   in Loop: Header=BB2_3291 Depth=1
	v_mad_i64_i32 v[8:9], s[20:21], v10, v40, 0
; %bb.3430:                             ;   in Loop: Header=BB2_3291 Depth=1
	s_or_b64 exec, exec, s[56:57]
	v_add_co_u32_e32 v8, vcc, v61, v8
	v_addc_co_u32_e32 v9, vcc, v62, v9, vcc
	ds_write_b64 v0, v[8:9] offset:784
	v_and_b32_e32 v8, 0x2000, v60
	v_cmp_ne_u32_e32 vcc, 0, v8
	s_and_saveexec_b64 s[20:21], vcc
	s_cbranch_execz .LBB2_3432
; %bb.3431:                             ;   in Loop: Header=BB2_3291 Depth=1
	ds_read_b64 v[8:9], v0 offset:872
	s_waitcnt lgkmcnt(0)
	v_add_co_u32_e32 v8, vcc, 1, v8
	v_addc_co_u32_e32 v9, vcc, 0, v9, vcc
	ds_write_b64 v0, v[8:9] offset:872
.LBB2_3432:                             ;   in Loop: Header=BB2_3291 Depth=1
	s_or_b64 exec, exec, s[20:21]
	v_mov_b32_e32 v8, v36
	v_mov_b32_e32 v9, v37
.LBB2_3433:                             ;   in Loop: Header=BB2_3291 Depth=1
	s_or_b64 exec, exec, s[44:45]
	s_and_saveexec_b64 s[20:21], s[10:11]
	s_cbranch_execz .LBB2_3452
; %bb.3434:                             ;   in Loop: Header=BB2_3291 Depth=1
	s_and_saveexec_b64 s[44:45], s[28:29]
	s_xor_b64 s[44:45], exec, s[44:45]
	s_cbranch_execz .LBB2_3449
; %bb.3435:                             ;   in Loop: Header=BB2_3291 Depth=1
	s_and_saveexec_b64 s[56:57], s[12:13]
	s_cbranch_execz .LBB2_3448
; %bb.3436:                             ;   in Loop: Header=BB2_3291 Depth=1
	s_mov_b64 s[60:61], exec
	v_mbcnt_lo_u32_b32 v10, s60, 0
	v_mbcnt_hi_u32_b32 v10, s61, v10
	v_cmp_eq_u32_e32 vcc, 0, v10
	s_waitcnt vmcnt(0) lgkmcnt(0)
	buffer_wbinvl1_vol
	s_and_saveexec_b64 s[58:59], vcc
	s_cbranch_execz .LBB2_3438
; %bb.3437:                             ;   in Loop: Header=BB2_3291 Depth=1
	s_bcnt1_i32_b64 s60, s[60:61]
	v_mov_b32_e32 v10, s60
	ds_add_u64 v0, v[10:11]
	s_trap 2
.LBB2_3438:                             ;   in Loop: Header=BB2_3291 Depth=1
	s_or_b64 exec, exec, s[58:59]
	s_trap 2
	ds_read_b64 v[24:25], v0
	s_waitcnt lgkmcnt(0)
	v_add_co_u32_e32 v26, vcc, v26, v0
	v_addc_co_u32_e32 v27, vcc, 0, v27, vcc
	v_cmp_lt_u64_e32 vcc, v[24:25], v[26:27]
	s_and_saveexec_b64 s[58:59], vcc
	s_cbranch_execz .LBB2_3447
; %bb.3439:                             ;   in Loop: Header=BB2_3291 Depth=1
	s_mov_b32 s88, 0
	s_mov_b64 s[60:61], 0
                                        ; implicit-def: $sgpr62_sgpr63
                                        ; implicit-def: $sgpr72_sgpr73
	s_branch .LBB2_3441
.LBB2_3440:                             ;   in Loop: Header=BB2_3441 Depth=2
	s_or_b64 exec, exec, s[76:77]
	s_and_b64 s[74:75], exec, s[78:79]
	s_or_b64 s[60:61], s[74:75], s[60:61]
	s_andn2_b64 s[62:63], s[62:63], exec
	s_and_b64 s[74:75], s[72:73], exec
	s_or_b64 s[62:63], s[62:63], s[74:75]
	s_andn2_b64 exec, exec, s[60:61]
	s_cbranch_execz .LBB2_3445
.LBB2_3441:                             ;   Parent Loop BB2_3291 Depth=1
                                        ; =>  This Inner Loop Header: Depth=2
	s_add_i32 s88, s88, 1
	s_cmpk_lg_i32 s88, 0x2710
	s_cselect_b64 s[74:75], -1, 0
	s_and_b64 vcc, exec, s[74:75]
	s_cbranch_vccz .LBB2_3443
; %bb.3442:                             ;   in Loop: Header=BB2_3441 Depth=2
	s_mov_b64 s[78:79], -1
	s_or_b64 s[72:73], s[72:73], exec
	s_and_saveexec_b64 s[76:77], s[74:75]
	s_cbranch_execz .LBB2_3440
	s_branch .LBB2_3444
.LBB2_3443:                             ;   in Loop: Header=BB2_3441 Depth=2
	s_trap 2
	ds_read_b64 v[24:25], v0
	s_andn2_b64 s[74:75], s[74:75], exec
	s_mov_b32 s88, 0
	s_waitcnt lgkmcnt(0)
	flat_load_dword v10, v[24:25] glc
	s_waitcnt vmcnt(0) lgkmcnt(0)
	buffer_wbinvl1_vol
	v_cmp_eq_u32_e32 vcc, 0, v10
	s_and_b64 s[76:77], vcc, exec
	s_or_b64 s[74:75], s[74:75], s[76:77]
	s_mov_b64 s[78:79], -1
	s_or_b64 s[72:73], s[72:73], exec
	s_and_saveexec_b64 s[76:77], s[74:75]
	s_cbranch_execz .LBB2_3440
.LBB2_3444:                             ;   in Loop: Header=BB2_3441 Depth=2
	s_sleep 1
	s_trap 2
	ds_read_b64 v[24:25], v0
	s_waitcnt lgkmcnt(0)
	s_andn2_b64 s[72:73], s[72:73], exec
	v_cmp_ge_u64_e32 vcc, v[24:25], v[26:27]
	s_orn2_b64 s[78:79], vcc, exec
	s_branch .LBB2_3440
.LBB2_3445:                             ;   in Loop: Header=BB2_3291 Depth=1
	s_or_b64 exec, exec, s[60:61]
	s_and_saveexec_b64 s[60:61], s[62:63]
	s_xor_b64 s[60:61], exec, s[60:61]
	s_cbranch_execz .LBB2_3447
; %bb.3446:                             ;   in Loop: Header=BB2_3291 Depth=1
	ds_write_b32 v0, v20
	s_trap 2
.LBB2_3447:                             ;   in Loop: Header=BB2_3291 Depth=1
	s_or_b64 exec, exec, s[58:59]
	;;#ASMSTART
	s_wakeup
	;;#ASMEND
.LBB2_3448:                             ;   in Loop: Header=BB2_3291 Depth=1
	s_or_b64 exec, exec, s[56:57]
.LBB2_3449:                             ;   in Loop: Header=BB2_3291 Depth=1
	s_andn2_saveexec_b64 s[44:45], s[44:45]
	s_cbranch_execz .LBB2_3451
; %bb.3450:                             ;   in Loop: Header=BB2_3291 Depth=1
	s_waitcnt vmcnt(0) lgkmcnt(0)
	buffer_wbinvl1_vol
	s_barrier
.LBB2_3451:                             ;   in Loop: Header=BB2_3291 Depth=1
	s_or_b64 exec, exec, s[44:45]
.LBB2_3452:                             ;   in Loop: Header=BB2_3291 Depth=1
	s_or_b64 exec, exec, s[20:21]
	s_trap 2
	ds_read_b32 v17, v0
	v_cmp_lt_i32_e32 vcc, 0, v16
	v_and_b32_e32 v10, 16, v60
	s_waitcnt lgkmcnt(0)
	v_readfirstlane_b32 s20, v17
	s_cmp_eq_u32 s20, 0
	s_cselect_b64 s[20:21], -1, 0
	s_and_b64 s[20:21], vcc, s[20:21]
	v_cmp_ne_u32_e32 vcc, 0, v10
	s_and_b64 s[44:45], vcc, s[20:21]
	s_and_saveexec_b64 s[20:21], s[44:45]
	s_cbranch_execz .LBB2_3454
; %bb.3453:                             ;   in Loop: Header=BB2_3291 Depth=1
	s_waitcnt vmcnt(0)
	buffer_wbinvl1_vol
.LBB2_3454:                             ;   in Loop: Header=BB2_3291 Depth=1
	s_or_b64 exec, exec, s[20:21]
	v_cmp_ne_u32_e32 vcc, 0, v10
	s_and_saveexec_b64 s[20:21], vcc
	s_cbranch_execz .LBB2_3289
; %bb.3455:                             ;   in Loop: Header=BB2_3291 Depth=1
	s_and_saveexec_b64 s[44:45], s[18:19]
	s_cbranch_execz .LBB2_3288
; %bb.3456:                             ;   in Loop: Header=BB2_3291 Depth=1
	flat_store_dword v[52:53], v20
	s_branch .LBB2_3288
.LBB2_3457:
	s_or_b64 exec, exec, s[40:41]
	v_mov_b32_e32 v19, v44
.LBB2_3458:
	s_or_b64 exec, exec, s[24:25]
.LBB2_3459:
	s_or_b64 exec, exec, s[22:23]
	v_and_b32_e32 v0, 0x800, v60
	v_cmp_eq_u32_e32 vcc, 0, v0
	s_and_saveexec_b64 s[6:7], vcc
	s_cbranch_execz .LBB2_3492
; %bb.3460:
	v_and_b32_e32 v0, 48, v60
	v_cmp_ne_u32_e32 vcc, 0, v0
	s_and_saveexec_b64 s[4:5], vcc
	s_cbranch_execz .LBB2_3462
; %bb.3461:
	s_waitcnt vmcnt(0) lgkmcnt(0)
	flat_store_dwordx2 v[58:59], v[8:9] offset:104
.LBB2_3462:
	s_or_b64 exec, exec, s[4:5]
	s_movk_i32 s4, 0x88
	v_and_b32_e32 v0, 0x88, v60
	v_cmp_eq_u32_e32 vcc, s4, v0
	s_and_saveexec_b64 s[10:11], vcc
	s_cbranch_execz .LBB2_3472
; %bb.3463:
	s_waitcnt lgkmcnt(0)
	v_add_u32_e32 v0, -1, v8
	v_and_b32_e32 v0, 7, v0
	v_mad_u64_u32 v[4:5], s[4:5], v0, 24, v[6:7]
	v_and_b32_e32 v2, 64, v60
	v_cmp_eq_u32_e64 s[4:5], 0, v2
	s_waitcnt vmcnt(0)
	flat_load_dwordx2 v[0:1], v[4:5] offset:8 glc
	s_waitcnt vmcnt(0)
	s_mov_b32 s22, 0
	s_waitcnt lgkmcnt(0)
	v_cmp_ne_u64_e32 vcc, -1, v[0:1]
	s_and_b64 s[4:5], vcc, s[4:5]
	s_and_b64 exec, exec, s[4:5]
	s_cbranch_execz .LBB2_3472
; %bb.3464:
	s_mov_b64 s[4:5], 0
                                        ; implicit-def: $sgpr12_sgpr13
                                        ; implicit-def: $sgpr14_sgpr15
	s_branch .LBB2_3467
.LBB2_3465:                             ;   in Loop: Header=BB2_3467 Depth=1
	flat_load_dwordx2 v[1:2], v[4:5] offset:8 glc
	s_waitcnt vmcnt(0)
	s_andn2_b64 s[14:15], s[14:15], exec
	s_waitcnt lgkmcnt(0)
	v_cmp_eq_u64_e32 vcc, -1, v[1:2]
	s_orn2_b64 s[18:19], vcc, exec
.LBB2_3466:                             ;   in Loop: Header=BB2_3467 Depth=1
	s_or_b64 exec, exec, s[20:21]
	s_and_b64 s[16:17], exec, s[18:19]
	s_or_b64 s[4:5], s[16:17], s[4:5]
	s_andn2_b64 s[12:13], s[12:13], exec
	s_and_b64 s[16:17], s[14:15], exec
	s_or_b64 s[12:13], s[12:13], s[16:17]
	s_andn2_b64 exec, exec, s[4:5]
	s_cbranch_execz .LBB2_3470
.LBB2_3467:                             ; =>This Inner Loop Header: Depth=1
	s_cmpk_lt_i32 s22, 0x270f
	s_cselect_b64 s[16:17], -1, 0
	s_and_b64 vcc, exec, s[16:17]
	s_cbranch_vccnz .LBB2_3469
; %bb.3468:                             ;   in Loop: Header=BB2_3467 Depth=1
	s_trap 2
	ds_read_b64 v[0:1], v0
	s_andn2_b64 s[16:17], s[16:17], exec
	s_mov_b32 s22, 0
	s_waitcnt lgkmcnt(0)
	flat_load_dword v0, v[0:1] glc
	s_waitcnt vmcnt(0) lgkmcnt(0)
	buffer_wbinvl1_vol
	v_cmp_eq_u32_e32 vcc, 0, v0
	s_and_b64 s[18:19], vcc, exec
	s_or_b64 s[16:17], s[16:17], s[18:19]
	s_mov_b64 s[18:19], -1
	s_or_b64 s[14:15], s[14:15], exec
	s_and_saveexec_b64 s[20:21], s[16:17]
	s_cbranch_execz .LBB2_3466
	s_branch .LBB2_3465
.LBB2_3469:                             ;   in Loop: Header=BB2_3467 Depth=1
	s_add_i32 s22, s22, 1
                                        ; implicit-def: $vgpr0
	s_mov_b64 s[18:19], -1
	s_or_b64 s[14:15], s[14:15], exec
	s_and_saveexec_b64 s[20:21], s[16:17]
	s_cbranch_execz .LBB2_3466
	s_branch .LBB2_3465
.LBB2_3470:
	s_or_b64 exec, exec, s[4:5]
	s_and_saveexec_b64 s[4:5], s[12:13]
	s_xor_b64 s[4:5], exec, s[4:5]
	s_cbranch_execz .LBB2_3472
; %bb.3471:
	ds_write_b32 v0, v0
	s_trap 2
.LBB2_3472:
	s_or_b64 exec, exec, s[10:11]
	v_and_b32_e32 v0, 0x2000, v60
	v_cmp_ne_u32_e32 vcc, 0, v0
	s_and_saveexec_b64 s[4:5], vcc
	s_cbranch_execz .LBB2_3474
; %bb.3473:
	s_trap 2
	s_waitcnt vmcnt(0)
	ds_read_b64 v[0:1], v0
	buffer_load_dword v2, off, s[0:3], s33 offset:144 ; 4-byte Folded Reload
	buffer_load_dword v3, off, s[0:3], s33 offset:148 ; 4-byte Folded Reload
	s_waitcnt vmcnt(0) lgkmcnt(0)
	flat_store_dwordx2 v[2:3], v[0:1] offset:16
.LBB2_3474:
	s_or_b64 exec, exec, s[4:5]
	s_waitcnt vmcnt(0)
	v_cmp_ne_u32_e32 vcc, 64, v19
	s_and_b64 exec, exec, vcc
	s_cbranch_execz .LBB2_3492
; %bb.3475:
	v_cmp_ne_u32_sdwa s[4:5], v19, v45 src0_sel:DWORD src1_sel:WORD_0
	s_and_saveexec_b64 s[10:11], s[4:5]
	s_xor_b64 s[4:5], exec, s[10:11]
	s_cbranch_execz .LBB2_3490
; %bb.3476:
	v_and_b32_e32 v0, 63, v31
	v_cmp_eq_u32_e32 vcc, 0, v0
	s_and_saveexec_b64 s[10:11], vcc
	s_cbranch_execz .LBB2_3489
; %bb.3477:
	s_mov_b64 s[14:15], exec
	v_mbcnt_lo_u32_b32 v0, s14, 0
	v_mbcnt_hi_u32_b32 v0, s15, v0
	v_cmp_eq_u32_e32 vcc, 0, v0
	s_waitcnt lgkmcnt(0)
	buffer_wbinvl1_vol
	s_and_saveexec_b64 s[12:13], vcc
	s_cbranch_execz .LBB2_3479
; %bb.3478:
	s_bcnt1_i32_b64 s14, s[14:15]
	v_mov_b32_e32 v0, s14
	v_mov_b32_e32 v1, 0
	ds_add_u64 v0, v[0:1]
	s_trap 2
.LBB2_3479:
	s_or_b64 exec, exec, s[12:13]
	v_lshrrev_b32_e32 v0, 6, v19
	s_trap 2
	ds_read_b64 v[2:3], v0
	s_waitcnt lgkmcnt(0)
	v_add_co_u32_e32 v0, vcc, v26, v0
	v_addc_co_u32_e32 v1, vcc, 0, v27, vcc
	v_cmp_lt_u64_e32 vcc, v[2:3], v[0:1]
	s_and_saveexec_b64 s[12:13], vcc
	s_cbranch_execz .LBB2_3488
; %bb.3480:
	s_mov_b32 s28, 0
	s_mov_b64 s[14:15], 0
                                        ; implicit-def: $sgpr16_sgpr17
                                        ; implicit-def: $sgpr18_sgpr19
	s_branch .LBB2_3482
.LBB2_3481:                             ;   in Loop: Header=BB2_3482 Depth=1
	s_or_b64 exec, exec, s[22:23]
	s_and_b64 s[20:21], exec, s[24:25]
	s_or_b64 s[14:15], s[20:21], s[14:15]
	s_andn2_b64 s[16:17], s[16:17], exec
	s_and_b64 s[20:21], s[18:19], exec
	s_or_b64 s[16:17], s[16:17], s[20:21]
	s_andn2_b64 exec, exec, s[14:15]
	s_cbranch_execz .LBB2_3486
.LBB2_3482:                             ; =>This Inner Loop Header: Depth=1
	s_add_i32 s28, s28, 1
	s_cmpk_lg_i32 s28, 0x2710
	s_cselect_b64 s[20:21], -1, 0
	s_and_b64 vcc, exec, s[20:21]
	s_cbranch_vccz .LBB2_3484
; %bb.3483:                             ;   in Loop: Header=BB2_3482 Depth=1
	s_mov_b64 s[24:25], -1
	s_or_b64 s[18:19], s[18:19], exec
	s_and_saveexec_b64 s[22:23], s[20:21]
	s_cbranch_execz .LBB2_3481
	s_branch .LBB2_3485
.LBB2_3484:                             ;   in Loop: Header=BB2_3482 Depth=1
	s_trap 2
	ds_read_b64 v[2:3], v0
	s_andn2_b64 s[20:21], s[20:21], exec
	s_mov_b32 s28, 0
	s_waitcnt lgkmcnt(0)
	flat_load_dword v2, v[2:3] glc
	s_waitcnt vmcnt(0) lgkmcnt(0)
	buffer_wbinvl1_vol
	v_cmp_eq_u32_e32 vcc, 0, v2
	s_and_b64 s[22:23], vcc, exec
	s_or_b64 s[20:21], s[20:21], s[22:23]
	s_mov_b64 s[24:25], -1
	s_or_b64 s[18:19], s[18:19], exec
	s_and_saveexec_b64 s[22:23], s[20:21]
	s_cbranch_execz .LBB2_3481
.LBB2_3485:                             ;   in Loop: Header=BB2_3482 Depth=1
	s_sleep 1
	s_trap 2
	ds_read_b64 v[2:3], v0
	s_waitcnt lgkmcnt(0)
	s_andn2_b64 s[18:19], s[18:19], exec
	v_cmp_ge_u64_e32 vcc, v[2:3], v[0:1]
	s_orn2_b64 s[24:25], vcc, exec
	s_branch .LBB2_3481
.LBB2_3486:
	s_or_b64 exec, exec, s[14:15]
	s_and_saveexec_b64 s[14:15], s[16:17]
	s_xor_b64 s[14:15], exec, s[14:15]
	s_cbranch_execz .LBB2_3488
; %bb.3487:
	v_mov_b32_e32 v0, 1
	ds_write_b32 v0, v0
	s_trap 2
.LBB2_3488:
	s_or_b64 exec, exec, s[12:13]
	;;#ASMSTART
	s_wakeup
	;;#ASMEND
.LBB2_3489:
	s_or_b64 exec, exec, s[10:11]
.LBB2_3490:
	s_andn2_saveexec_b64 s[4:5], s[4:5]
	s_cbranch_execz .LBB2_3492
; %bb.3491:
	s_waitcnt lgkmcnt(0)
	buffer_wbinvl1_vol
	s_barrier
.LBB2_3492:
	s_or_b64 exec, exec, s[6:7]
.LBB2_3493:
	s_andn2_saveexec_b64 s[26:27], s[26:27]
	s_cbranch_execz .LBB2_3495
; %bb.3494:
	s_getpc_b64 s[4:5]
	s_add_u32 s4, s4, __PRETTY_FUNCTION__._ZN10PrimitivesI14__hip_fp8_e5m28FuncProdIS0_E12FanSymmetricILi1EELi0E11ProtoSimpleILi1ELi1ELi0ELi1ELi0ELi0EELi0ELb0ELi0ELi0ELi0EEC2EiiPKiS9_PKvPvmhhhP15ncclDevWorkCollP14ncclDevWorkP2pii@rel32@lo+4
	s_addc_u32 s5, s5, __PRETTY_FUNCTION__._ZN10PrimitivesI14__hip_fp8_e5m28FuncProdIS0_E12FanSymmetricILi1EELi0E11ProtoSimpleILi1ELi1ELi0ELi1ELi0ELi0EELi0ELb0ELi0ELi0ELi0EEC2EiiPKiS9_PKvPvmhhhP15ncclDevWorkCollP14ncclDevWorkP2pii@rel32@hi+12
	s_getpc_b64 s[6:7]
	s_add_u32 s6, s6, __assert_fail@rel32@lo+4
	s_addc_u32 s7, s7, __assert_fail@rel32@hi+12
	v_mov_b32_e32 v0, s4
	s_waitcnt vmcnt(0)
	v_mov_b32_e32 v1, s5
	s_swappc_b64 s[30:31], s[6:7]
	; divergent unreachable
.LBB2_3495:
	s_or_b64 exec, exec, s[26:27]
	s_waitcnt lgkmcnt(0)
	buffer_load_dword v62, off, s[0:3], s33 ; 4-byte Folded Reload
	buffer_load_dword v61, off, s[0:3], s33 offset:4 ; 4-byte Folded Reload
	buffer_load_dword v60, off, s[0:3], s33 offset:8 ; 4-byte Folded Reload
	;; [unrolled: 1-line block ×14, first 2 shown]
	v_readlane_b32 s30, v63, 20
	v_readlane_b32 s31, v63, 21
	;; [unrolled: 1-line block ×22, first 2 shown]
	s_mov_b32 s32, s33
	v_readlane_b32 s4, v63, 22
	s_or_saveexec_b64 s[6:7], -1
	buffer_load_dword v63, off, s[0:3], s33 offset:184 ; 4-byte Folded Reload
	s_mov_b64 exec, s[6:7]
	s_mov_b32 s33, s4
	s_waitcnt vmcnt(0)
	s_setpc_b64 s[30:31]
.Lfunc_end2:
	.size	_ZN12_GLOBAL__N_17runRingI14__hip_fp8_e5m28FuncProdIS1_E11ProtoSimpleILi1ELi1ELi0ELi1ELi0ELi0EELi0ELi1ELi0EEEviiP15ncclDevWorkColl, .Lfunc_end2-_ZN12_GLOBAL__N_17runRingI14__hip_fp8_e5m28FuncProdIS1_E11ProtoSimpleILi1ELi1ELi0ELi1ELi0ELi0EELi0ELi1ELi0EEEviiP15ncclDevWorkColl
                                        ; -- End function
	.set .L_ZN12_GLOBAL__N_17runRingI14__hip_fp8_e5m28FuncProdIS1_E11ProtoSimpleILi1ELi1ELi0ELi1ELi0ELi0EELi0ELi1ELi0EEEviiP15ncclDevWorkColl.num_vgpr, max(64, .L__assert_fail.num_vgpr)
	.set .L_ZN12_GLOBAL__N_17runRingI14__hip_fp8_e5m28FuncProdIS1_E11ProtoSimpleILi1ELi1ELi0ELi1ELi0ELi0EELi0ELi1ELi0EEEviiP15ncclDevWorkColl.num_agpr, max(0, .L__assert_fail.num_agpr)
	.set .L_ZN12_GLOBAL__N_17runRingI14__hip_fp8_e5m28FuncProdIS1_E11ProtoSimpleILi1ELi1ELi0ELi1ELi0ELi0EELi0ELi1ELi0EEEviiP15ncclDevWorkColl.numbered_sgpr, max(96, .L__assert_fail.numbered_sgpr)
	.set .L_ZN12_GLOBAL__N_17runRingI14__hip_fp8_e5m28FuncProdIS1_E11ProtoSimpleILi1ELi1ELi0ELi1ELi0ELi0EELi0ELi1ELi0EEEviiP15ncclDevWorkColl.num_named_barrier, max(0, .L__assert_fail.num_named_barrier)
	.set .L_ZN12_GLOBAL__N_17runRingI14__hip_fp8_e5m28FuncProdIS1_E11ProtoSimpleILi1ELi1ELi0ELi1ELi0ELi0EELi0ELi1ELi0EEEviiP15ncclDevWorkColl.private_seg_size, 192+max(.L__assert_fail.private_seg_size)
	.set .L_ZN12_GLOBAL__N_17runRingI14__hip_fp8_e5m28FuncProdIS1_E11ProtoSimpleILi1ELi1ELi0ELi1ELi0ELi0EELi0ELi1ELi0EEEviiP15ncclDevWorkColl.uses_vcc, or(1, .L__assert_fail.uses_vcc)
	.set .L_ZN12_GLOBAL__N_17runRingI14__hip_fp8_e5m28FuncProdIS1_E11ProtoSimpleILi1ELi1ELi0ELi1ELi0ELi0EELi0ELi1ELi0EEEviiP15ncclDevWorkColl.uses_flat_scratch, or(0, .L__assert_fail.uses_flat_scratch)
	.set .L_ZN12_GLOBAL__N_17runRingI14__hip_fp8_e5m28FuncProdIS1_E11ProtoSimpleILi1ELi1ELi0ELi1ELi0ELi0EELi0ELi1ELi0EEEviiP15ncclDevWorkColl.has_dyn_sized_stack, or(0, .L__assert_fail.has_dyn_sized_stack)
	.set .L_ZN12_GLOBAL__N_17runRingI14__hip_fp8_e5m28FuncProdIS1_E11ProtoSimpleILi1ELi1ELi0ELi1ELi0ELi0EELi0ELi1ELi0EEEviiP15ncclDevWorkColl.has_recursion, or(1, .L__assert_fail.has_recursion)
	.set .L_ZN12_GLOBAL__N_17runRingI14__hip_fp8_e5m28FuncProdIS1_E11ProtoSimpleILi1ELi1ELi0ELi1ELi0ELi0EELi0ELi1ELi0EEEviiP15ncclDevWorkColl.has_indirect_call, or(0, .L__assert_fail.has_indirect_call)
	.section	.AMDGPU.csdata,"",@progbits
; Function info:
; codeLenInByte = 99472
; TotalNumSgprs: 100
; NumVgprs: 64
; ScratchSize: 256
; MemoryBound: 1
	.text
	.p2align	2                               ; -- Begin function _Z48ncclDevFunc_Reduce_RING_SIMPLE_Prod_f8e5m2_0_0_1v
	.type	_Z48ncclDevFunc_Reduce_RING_SIMPLE_Prod_f8e5m2_0_0_1v,@function
_Z48ncclDevFunc_Reduce_RING_SIMPLE_Prod_f8e5m2_0_0_1v: ; @_Z48ncclDevFunc_Reduce_RING_SIMPLE_Prod_f8e5m2_0_0_1v
; %bb.0:
	s_waitcnt vmcnt(0) expcnt(0) lgkmcnt(0)
	s_mov_b32 s4, s33
	s_mov_b32 s33, s32
	s_or_saveexec_b64 s[6:7], -1
	buffer_store_dword v43, off, s[0:3], s33 offset:16 ; 4-byte Folded Spill
	s_mov_b64 exec, s[6:7]
	v_writelane_b32 v43, s4, 28
	s_addk_i32 s32, 0x800
	buffer_store_dword v40, off, s[0:3], s33 offset:12 ; 4-byte Folded Spill
	buffer_store_dword v41, off, s[0:3], s33 offset:8 ; 4-byte Folded Spill
	buffer_store_dword v42, off, s[0:3], s33 offset:4 ; 4-byte Folded Spill
	buffer_store_dword v63, off, s[0:3], s33 ; 4-byte Folded Spill
	v_writelane_b32 v43, s34, 0
	v_writelane_b32 v43, s35, 1
	v_writelane_b32 v43, s36, 2
	v_writelane_b32 v43, s37, 3
	v_writelane_b32 v43, s38, 4
	v_writelane_b32 v43, s39, 5
	v_writelane_b32 v43, s48, 6
	v_writelane_b32 v43, s49, 7
	v_writelane_b32 v43, s50, 8
	v_writelane_b32 v43, s51, 9
	v_writelane_b32 v43, s52, 10
	v_writelane_b32 v43, s53, 11
	v_writelane_b32 v43, s54, 12
	v_writelane_b32 v43, s55, 13
	v_writelane_b32 v43, s64, 14
	v_writelane_b32 v43, s65, 15
	v_writelane_b32 v43, s66, 16
	v_writelane_b32 v43, s67, 17
	v_writelane_b32 v43, s68, 18
	v_writelane_b32 v43, s69, 19
	v_writelane_b32 v43, s70, 20
	v_writelane_b32 v43, s71, 21
	v_writelane_b32 v43, s80, 22
	v_writelane_b32 v43, s81, 23
	v_writelane_b32 v43, s82, 24
	v_writelane_b32 v43, s83, 25
	v_writelane_b32 v43, s30, 26
	v_writelane_b32 v43, s31, 27
	s_trap 2
	ds_read_b32 v0, v0
	v_mov_b32_e32 v40, v31
	s_mov_b32 s80, s12
	s_mov_b64 s[70:71], s[8:9]
	s_waitcnt lgkmcnt(0)
	v_cmp_gt_i32_e32 vcc, 1, v0
	s_cbranch_vccnz .LBB3_8
; %bb.1:
	s_mov_b32 s81, 0
	v_and_b32_e32 v41, 0x3ff, v40
	v_mov_b32_e32 v42, 6
	s_branch .LBB3_3
.LBB3_2:                                ;   in Loop: Header=BB3_3 Depth=1
	s_or_b64 exec, exec, s[82:83]
	s_trap 2
	ds_read_b32 v0, v0
	s_add_i32 s81, s81, 1
	s_waitcnt lgkmcnt(0)
	v_cmp_lt_i32_e32 vcc, s81, v0
	s_cbranch_vccz .LBB3_8
.LBB3_3:                                ; =>This Inner Loop Header: Depth=1
	s_trap 2
	ds_read_b32 v0, v0
	s_cmp_eq_u32 s81, 0
	s_cbranch_scc1 .LBB3_6
; %bb.4:                                ;   in Loop: Header=BB3_3 Depth=1
	s_trap 2
	s_waitcnt lgkmcnt(0)
	ds_read_b32 v1, v0
	s_waitcnt lgkmcnt(0)
	v_xor_b32_e32 v1, v1, v0
	v_and_b32_e32 v1, 0xff0000, v1
	v_cmp_eq_u32_e32 vcc, 0, v1
	s_cbranch_vccnz .LBB3_6
; %bb.5:                                ;   in Loop: Header=BB3_3 Depth=1
	s_waitcnt vmcnt(0)
	s_barrier
	ds_read_b32 v0, v0
.LBB3_6:                                ;   in Loop: Header=BB3_3 Depth=1
	s_waitcnt lgkmcnt(0)
	v_lshlrev_b32_sdwa v1, v42, v0 dst_sel:DWORD dst_unused:UNUSED_PAD src0_sel:DWORD src1_sel:BYTE_2
	v_cmp_lt_u32_e32 vcc, v41, v1
	s_and_saveexec_b64 s[82:83], vcc
	s_cbranch_execz .LBB3_2
; %bb.7:                                ;   in Loop: Header=BB3_3 Depth=1
	s_mov_b64 s[4:5], src_shared_base
	s_getpc_b64 s[6:7]
	s_add_u32 s6, s6, _ZN12_GLOBAL__N_17runRingI14__hip_fp8_e5m28FuncProdIS1_E11ProtoSimpleILi1ELi1ELi0ELi1ELi0ELi0EELi0ELi1ELi0EEEviiP15ncclDevWorkColl@rel32@lo+4
	s_addc_u32 s7, s7, _ZN12_GLOBAL__N_17runRingI14__hip_fp8_e5m28FuncProdIS1_E11ProtoSimpleILi1ELi1ELi0ELi1ELi0ELi0EELi0ELi1ELi0EEEviiP15ncclDevWorkColl@rel32@hi+12
	s_mov_b64 s[8:9], s[70:71]
	s_mov_b32 s12, s80
	v_mov_b32_e32 v31, v40
	v_mov_b32_e32 v0, v41
	;; [unrolled: 1-line block ×3, first 2 shown]
	s_swappc_b64 s[30:31], s[6:7]
	s_branch .LBB3_2
.LBB3_8:
	buffer_load_dword v63, off, s[0:3], s33 ; 4-byte Folded Reload
	buffer_load_dword v42, off, s[0:3], s33 offset:4 ; 4-byte Folded Reload
	buffer_load_dword v41, off, s[0:3], s33 offset:8 ; 4-byte Folded Reload
	;; [unrolled: 1-line block ×3, first 2 shown]
	v_readlane_b32 s30, v43, 26
	v_readlane_b32 s31, v43, 27
	;; [unrolled: 1-line block ×28, first 2 shown]
	s_mov_b32 s32, s33
	v_readlane_b32 s4, v43, 28
	s_or_saveexec_b64 s[6:7], -1
	buffer_load_dword v43, off, s[0:3], s33 offset:16 ; 4-byte Folded Reload
	s_mov_b64 exec, s[6:7]
	s_mov_b32 s33, s4
	s_waitcnt vmcnt(0)
	s_setpc_b64 s[30:31]
.Lfunc_end3:
	.size	_Z48ncclDevFunc_Reduce_RING_SIMPLE_Prod_f8e5m2_0_0_1v, .Lfunc_end3-_Z48ncclDevFunc_Reduce_RING_SIMPLE_Prod_f8e5m2_0_0_1v
                                        ; -- End function
	.set .L_Z48ncclDevFunc_Reduce_RING_SIMPLE_Prod_f8e5m2_0_0_1v.num_vgpr, max(64, .L_ZN12_GLOBAL__N_17runRingI14__hip_fp8_e5m28FuncProdIS1_E11ProtoSimpleILi1ELi1ELi0ELi1ELi0ELi0EELi0ELi1ELi0EEEviiP15ncclDevWorkColl.num_vgpr)
	.set .L_Z48ncclDevFunc_Reduce_RING_SIMPLE_Prod_f8e5m2_0_0_1v.num_agpr, max(0, .L_ZN12_GLOBAL__N_17runRingI14__hip_fp8_e5m28FuncProdIS1_E11ProtoSimpleILi1ELi1ELi0ELi1ELi0ELi0EELi0ELi1ELi0EEEviiP15ncclDevWorkColl.num_agpr)
	.set .L_Z48ncclDevFunc_Reduce_RING_SIMPLE_Prod_f8e5m2_0_0_1v.numbered_sgpr, max(84, .L_ZN12_GLOBAL__N_17runRingI14__hip_fp8_e5m28FuncProdIS1_E11ProtoSimpleILi1ELi1ELi0ELi1ELi0ELi0EELi0ELi1ELi0EEEviiP15ncclDevWorkColl.numbered_sgpr)
	.set .L_Z48ncclDevFunc_Reduce_RING_SIMPLE_Prod_f8e5m2_0_0_1v.num_named_barrier, max(0, .L_ZN12_GLOBAL__N_17runRingI14__hip_fp8_e5m28FuncProdIS1_E11ProtoSimpleILi1ELi1ELi0ELi1ELi0ELi0EELi0ELi1ELi0EEEviiP15ncclDevWorkColl.num_named_barrier)
	.set .L_Z48ncclDevFunc_Reduce_RING_SIMPLE_Prod_f8e5m2_0_0_1v.private_seg_size, 32+max(.L_ZN12_GLOBAL__N_17runRingI14__hip_fp8_e5m28FuncProdIS1_E11ProtoSimpleILi1ELi1ELi0ELi1ELi0ELi0EELi0ELi1ELi0EEEviiP15ncclDevWorkColl.private_seg_size)
	.set .L_Z48ncclDevFunc_Reduce_RING_SIMPLE_Prod_f8e5m2_0_0_1v.uses_vcc, or(1, .L_ZN12_GLOBAL__N_17runRingI14__hip_fp8_e5m28FuncProdIS1_E11ProtoSimpleILi1ELi1ELi0ELi1ELi0ELi0EELi0ELi1ELi0EEEviiP15ncclDevWorkColl.uses_vcc)
	.set .L_Z48ncclDevFunc_Reduce_RING_SIMPLE_Prod_f8e5m2_0_0_1v.uses_flat_scratch, or(0, .L_ZN12_GLOBAL__N_17runRingI14__hip_fp8_e5m28FuncProdIS1_E11ProtoSimpleILi1ELi1ELi0ELi1ELi0ELi0EELi0ELi1ELi0EEEviiP15ncclDevWorkColl.uses_flat_scratch)
	.set .L_Z48ncclDevFunc_Reduce_RING_SIMPLE_Prod_f8e5m2_0_0_1v.has_dyn_sized_stack, or(0, .L_ZN12_GLOBAL__N_17runRingI14__hip_fp8_e5m28FuncProdIS1_E11ProtoSimpleILi1ELi1ELi0ELi1ELi0ELi0EELi0ELi1ELi0EEEviiP15ncclDevWorkColl.has_dyn_sized_stack)
	.set .L_Z48ncclDevFunc_Reduce_RING_SIMPLE_Prod_f8e5m2_0_0_1v.has_recursion, or(1, .L_ZN12_GLOBAL__N_17runRingI14__hip_fp8_e5m28FuncProdIS1_E11ProtoSimpleILi1ELi1ELi0ELi1ELi0ELi0EELi0ELi1ELi0EEEviiP15ncclDevWorkColl.has_recursion)
	.set .L_Z48ncclDevFunc_Reduce_RING_SIMPLE_Prod_f8e5m2_0_0_1v.has_indirect_call, or(0, .L_ZN12_GLOBAL__N_17runRingI14__hip_fp8_e5m28FuncProdIS1_E11ProtoSimpleILi1ELi1ELi0ELi1ELi0ELi0EELi0ELi1ELi0EEEviiP15ncclDevWorkColl.has_indirect_call)
	.section	.AMDGPU.csdata,"",@progbits
; Function info:
; codeLenInByte = 832
; TotalNumSgprs: 100
; NumVgprs: 64
; ScratchSize: 288
; MemoryBound: 0
	.text
	.p2align	2                               ; -- Begin function _ZN12_GLOBAL__N_17runRingI14__hip_fp8_e5m28FuncProdIS1_E11ProtoSimpleILi1ELi1ELi0ELi2ELi0ELi0EELi0ELi2ELi0EEEviiP15ncclDevWorkColl
	.type	_ZN12_GLOBAL__N_17runRingI14__hip_fp8_e5m28FuncProdIS1_E11ProtoSimpleILi1ELi1ELi0ELi2ELi0ELi0EELi0ELi2ELi0EEEviiP15ncclDevWorkColl,@function
_ZN12_GLOBAL__N_17runRingI14__hip_fp8_e5m28FuncProdIS1_E11ProtoSimpleILi1ELi1ELi0ELi2ELi0ELi0EELi0ELi2ELi0EEEviiP15ncclDevWorkColl: ; @_ZN12_GLOBAL__N_17runRingI14__hip_fp8_e5m28FuncProdIS1_E11ProtoSimpleILi1ELi1ELi0ELi2ELi0ELi0EELi0ELi2ELi0EEEviiP15ncclDevWorkColl
; %bb.0:
	s_waitcnt vmcnt(0) expcnt(0) lgkmcnt(0)
	s_mov_b32 s4, s33
	s_mov_b32 s33, s32
	s_or_saveexec_b64 s[6:7], -1
	buffer_store_dword v63, off, s[0:3], s33 offset:244 ; 4-byte Folded Spill
	s_mov_b64 exec, s[6:7]
	v_writelane_b32 v63, s4, 22
	s_addk_i32 s32, 0x4000
	buffer_store_dword v40, off, s[0:3], s33 offset:56 ; 4-byte Folded Spill
	buffer_store_dword v41, off, s[0:3], s33 offset:52 ; 4-byte Folded Spill
	buffer_store_dword v42, off, s[0:3], s33 offset:48 ; 4-byte Folded Spill
	buffer_store_dword v43, off, s[0:3], s33 offset:44 ; 4-byte Folded Spill
	buffer_store_dword v44, off, s[0:3], s33 offset:40 ; 4-byte Folded Spill
	buffer_store_dword v45, off, s[0:3], s33 offset:36 ; 4-byte Folded Spill
	buffer_store_dword v46, off, s[0:3], s33 offset:32 ; 4-byte Folded Spill
	buffer_store_dword v47, off, s[0:3], s33 offset:28 ; 4-byte Folded Spill
	buffer_store_dword v56, off, s[0:3], s33 offset:24 ; 4-byte Folded Spill
	buffer_store_dword v57, off, s[0:3], s33 offset:20 ; 4-byte Folded Spill
	buffer_store_dword v58, off, s[0:3], s33 offset:16 ; 4-byte Folded Spill
	buffer_store_dword v59, off, s[0:3], s33 offset:12 ; 4-byte Folded Spill
	buffer_store_dword v60, off, s[0:3], s33 offset:8 ; 4-byte Folded Spill
	buffer_store_dword v61, off, s[0:3], s33 offset:4 ; 4-byte Folded Spill
	buffer_store_dword v62, off, s[0:3], s33 ; 4-byte Folded Spill
	v_writelane_b32 v63, s34, 0
	v_writelane_b32 v63, s35, 1
	;; [unrolled: 1-line block ×22, first 2 shown]
	s_trap 2
	ds_read_b64 v[14:15], v0
	ds_read_b32 v6, v0
	v_mov_b32_e32 v44, v1
	v_mov_b32_e32 v47, v0
	;; [unrolled: 1-line block ×3, first 2 shown]
	s_waitcnt lgkmcnt(1)
	v_ashrrev_i32_e32 v1, 31, v15
	v_mov_b32_e32 v0, v15
	v_lshlrev_b64 v[0:1], 2, v[0:1]
                                        ; implicit-def: $vgpr48_vgpr49
                                        ; implicit-def: $vgpr54_vgpr55
	v_add_co_u32_e32 v0, vcc, v14, v0
	v_addc_co_u32_e32 v5, vcc, v15, v1, vcc
	v_add_co_u32_e32 v4, vcc, -4, v0
	flat_load_ushort v1, v[2:3] offset:8
	flat_load_dwordx2 v[8:9], v[2:3]
	v_addc_co_u32_e32 v5, vcc, -1, v5, vcc
	flat_load_dword v4, v[4:5]
                                        ; implicit-def: $vgpr15_vgpr16
	s_waitcnt vmcnt(0) lgkmcnt(0)
	v_mov_b32_e32 v0, v9
	v_cmp_ne_u32_sdwa s[4:5], v6, v8 src0_sel:DWORD src1_sel:BYTE_0
	s_and_saveexec_b64 s[6:7], s[4:5]
	s_xor_b64 s[4:5], exec, s[6:7]
	s_cbranch_execz .LBB4_6
; %bb.1:
	v_not_b32_sdwa v5, v8 dst_sel:DWORD dst_unused:UNUSED_PAD src0_sel:BYTE_0
	v_cmp_ne_u32_sdwa s[6:7], v6, v8 src0_sel:DWORD src1_sel:BYTE_1
                                        ; implicit-def: $vgpr15_vgpr16
                                        ; implicit-def: $vgpr48_vgpr49
                                        ; implicit-def: $vgpr54_vgpr55
	s_and_saveexec_b64 s[10:11], s[6:7]
	s_xor_b64 s[6:7], exec, s[10:11]
	s_cbranch_execz .LBB4_3
; %bb.2:
	flat_load_dwordx4 v[7:10], v[2:3] offset:72
	flat_load_dwordx2 v[11:12], v[2:3] offset:96
	v_add_u32_e32 v5, v6, v5
	v_ashrrev_i32_e32 v6, 31, v5
	s_waitcnt vmcnt(0) lgkmcnt(0)
	v_mul_lo_u32 v6, v9, v6
	v_mad_u64_u32 v[54:55], s[10:11], v9, v5, v[7:8]
	v_mul_lo_u32 v5, v10, v5
	v_mov_b32_e32 v49, v10
	v_lshrrev_b64 v[15:16], 12, v[11:12]
	v_mov_b32_e32 v48, v9
	v_add3_u32 v55, v5, v55, v6
                                        ; implicit-def: $vgpr8
                                        ; implicit-def: $vgpr5
.LBB4_3:
	s_andn2_saveexec_b64 s[6:7], s[6:7]
	s_cbranch_execz .LBB4_5
; %bb.4:
	flat_load_dwordx4 v[9:12], v[2:3] offset:72
	flat_load_dwordx4 v[48:51], v[2:3] offset:88
	v_add_u32_sdwa v5, v8, v5 dst_sel:DWORD dst_unused:UNUSED_PAD src0_sel:BYTE_1 src1_sel:DWORD
	v_ashrrev_i32_e32 v6, 31, v5
	s_waitcnt vmcnt(0) lgkmcnt(0)
	v_mul_lo_u32 v6, v11, v6
	v_mad_u64_u32 v[54:55], s[10:11], v11, v5, v[9:10]
	v_mul_lo_u32 v5, v12, v5
	v_lshrrev_b32_e32 v15, 1, v51
	v_add3_u32 v55, v5, v55, v6
.LBB4_5:
	s_or_b64 exec, exec, s[6:7]
.LBB4_6:
	s_andn2_saveexec_b64 s[4:5], s[4:5]
	s_cbranch_execz .LBB4_8
; %bb.7:
	flat_load_dwordx2 v[5:6], v[2:3] offset:96
	flat_load_dwordx2 v[48:49], v[2:3] offset:72
	v_mov_b32_e32 v54, 0
	v_mov_b32_e32 v55, 0
	s_waitcnt vmcnt(0) lgkmcnt(0)
	v_lshlrev_b64 v[15:16], 9, v[5:6]
.LBB4_8:
	s_or_b64 exec, exec, s[4:5]
	s_trap 2
	ds_read_b64 v[5:6], v0
	s_waitcnt lgkmcnt(0)
	v_cmp_ne_u32_e32 vcc, -1, v5
	v_cndmask_b32_e64 v20, 0, 1, vcc
	v_cmp_ne_u32_e32 vcc, -1, v6
	v_addc_co_u32_e64 v5, s[4:5], 0, v20, vcc
	v_lshlrev_b32_e32 v6, 1, v5
	v_cmp_le_u32_e64 s[4:5], v6, v44
	s_and_saveexec_b64 s[6:7], s[4:5]
	s_xor_b64 s[26:27], exec, s[6:7]
	s_cbranch_execnz .LBB4_9
; %bb.5356:
	s_getpc_b64 s[70:71]
.Lpost_getpc0:
	s_add_u32 s70, s70, (.LBB4_5353-.Lpost_getpc0)&4294967295
	s_addc_u32 s71, s71, (.LBB4_5353-.Lpost_getpc0)>>32
	s_setpc_b64 s[70:71]
.LBB4_9:
	flat_load_dwordx4 v[10:13], v[2:3] offset:16
	flat_load_dwordx2 v[16:17], v[2:3] offset:104
	s_trap 2
	s_load_dword s4, s[8:9], 0x0
	v_mov_b32_e32 v2, 0
	v_mov_b32_e32 v56, 4
	s_waitcnt lgkmcnt(0)
	s_cmp_lt_u32 s12, s4
	s_cselect_b32 s4, 12, 18
	s_add_u32 s4, s8, s4
	s_addc_u32 s5, s9, 0
	global_load_ushort v61, v2, s[4:5]
	ds_read_b32 v2, v0
	v_cmp_ge_i32_e64 s[4:5], v47, v20
	s_waitcnt lgkmcnt(0)
	v_readfirstlane_b32 s48, v2
	s_and_saveexec_b64 s[6:7], s[4:5]
	s_cbranch_execz .LBB4_19
; %bb.10:
	v_cmp_ge_u32_e64 s[4:5], v47, v5
                                        ; implicit-def: $vgpr56
	s_and_saveexec_b64 s[10:11], s[4:5]
	s_xor_b64 s[4:5], exec, s[10:11]
	s_cbranch_execz .LBB4_16
; %bb.11:
	v_cndmask_b32_e64 v2, 0, 1, vcc
	v_sub_u32_e32 v2, v44, v2
	v_cmp_ge_u32_e32 vcc, v47, v2
	s_and_saveexec_b64 s[10:11], vcc
	s_xor_b64 s[10:11], exec, s[10:11]
; %bb.12:
                                        ; implicit-def: $vgpr5
; %bb.13:
	s_or_saveexec_b64 s[10:11], s[10:11]
	v_mov_b32_e32 v56, 16
	s_xor_b64 exec, exec, s[10:11]
; %bb.14:
	v_sub_u32_e32 v2, v44, v5
	v_cmp_lt_i32_e32 vcc, v47, v2
	v_cndmask_b32_e64 v56, 32, 0, vcc
; %bb.15:
	s_or_b64 exec, exec, s[10:11]
.LBB4_16:
	s_andn2_saveexec_b64 s[4:5], s[4:5]
; %bb.17:
	v_mov_b32_e32 v56, 8
; %bb.18:
	s_or_b64 exec, exec, s[4:5]
.LBB4_19:
	s_or_b64 exec, exec, s[6:7]
	v_and_b32_e32 v2, 36, v56
	v_cmp_ne_u32_e32 vcc, 0, v2
	v_mov_b32_e32 v2, -1
	s_and_saveexec_b64 s[4:5], vcc
	s_cbranch_execz .LBB4_21
; %bb.20:
	s_trap 2
	ds_read_b32 v2, v0
.LBB4_21:
	s_or_b64 exec, exec, s[4:5]
	v_and_b32_e32 v3, 24, v56
	v_cmp_ne_u32_e64 s[4:5], 0, v3
	s_and_saveexec_b64 s[6:7], s[4:5]
	s_cbranch_execz .LBB4_23
; %bb.22:
	s_trap 2
	s_waitcnt lgkmcnt(0)
	ds_read_b32 v2, v0
.LBB4_23:
	s_or_b64 exec, exec, s[6:7]
	v_lshrrev_b64 v[5:6], 31, v[0:1]
	v_mov_b32_e32 v30, 0
	v_mov_b32_e32 v6, 0
	;; [unrolled: 1-line block ×3, first 2 shown]
	v_and_b32_e32 v1, 3, v5
	v_mov_b32_e32 v7, 0
	s_waitcnt lgkmcnt(0)
	v_ashrrev_i32_e32 v3, 31, v2
                                        ; implicit-def: $vgpr8_vgpr9
                                        ; kill: killed $vgpr8_vgpr9
                                        ; implicit-def: $vgpr5
                                        ; kill: killed $vgpr5
                                        ; implicit-def: $vgpr38_vgpr39
                                        ; implicit-def: $vgpr8_vgpr9
                                        ; kill: killed $vgpr8_vgpr9
                                        ; implicit-def: $vgpr32_vgpr33
	s_and_saveexec_b64 s[4:5], vcc
	s_cbranch_execz .LBB4_33
; %bb.24:
	s_trap 2
	ds_read_b64 v[5:6], v0
	v_lshlrev_b64 v[7:8], 3, v[2:3]
	s_movk_i32 s6, 0xa8
	s_waitcnt lgkmcnt(0)
	v_add_co_u32_e32 v5, vcc, v5, v7
	v_addc_co_u32_e32 v6, vcc, v6, v8, vcc
	flat_load_dwordx2 v[5:6], v[5:6]
	v_and_b32_e32 v7, 0xffff, v1
	s_waitcnt vmcnt(0) lgkmcnt(0)
	v_mad_u64_u32 v[18:19], s[6:7], v7, s6, v[5:6]
	flat_load_dword v5, v[18:19] offset:640
	s_waitcnt vmcnt(0) lgkmcnt(0)
	v_cmp_eq_u32_e32 vcc, 1, v5
                                        ; implicit-def: $vgpr5_vgpr6
                                        ; kill: killed $vgpr5_vgpr6
	s_and_saveexec_b64 s[6:7], vcc
	s_cbranch_execz .LBB4_26
; %bb.25:
	flat_load_dwordx2 v[7:8], v[18:19] offset:648
	v_or_b32_e32 v56, 0x2000, v56
	s_waitcnt vmcnt(0) lgkmcnt(0)
	flat_load_dwordx2 v[5:6], v[7:8]
	s_trap 2
	s_waitcnt vmcnt(0) lgkmcnt(0)
	ds_write_b64 v0, v[5:6]
	flat_load_dwordx2 v[5:6], v[7:8] offset:8
	s_waitcnt vmcnt(0) lgkmcnt(0)
	ds_write_b64 v0, v[5:6]
	buffer_store_dword v7, off, s[0:3], s33 offset:196 ; 4-byte Folded Spill
	s_nop 0
	buffer_store_dword v8, off, s[0:3], s33 offset:200 ; 4-byte Folded Spill
	flat_load_dwordx2 v[5:6], v[7:8] offset:16
	s_waitcnt vmcnt(0) lgkmcnt(0)
	ds_write_b64 v0, v[5:6]
.LBB4_26:
	s_or_b64 exec, exec, s[6:7]
	flat_load_dwordx2 v[8:9], v[18:19] offset:608
	v_and_b32_e32 v5, 32, v56
	v_cmp_ne_u32_e32 vcc, 0, v5
                                        ; implicit-def: $vgpr32_vgpr33
	s_and_saveexec_b64 s[6:7], vcc
	s_cbranch_execz .LBB4_28
; %bb.27:
	flat_load_dwordx2 v[32:33], v[18:19] offset:560
	s_waitcnt vmcnt(0) lgkmcnt(0)
	flat_store_dwordx2 v[32:33], v[8:9]
.LBB4_28:
	s_or_b64 exec, exec, s[6:7]
	v_add_co_u32_e32 v30, vcc, 0x1f8, v18
	v_addc_co_u32_e32 v31, vcc, 0, v19, vcc
	v_and_b32_e32 v5, 4, v56
	v_mov_b32_e32 v6, 0
	v_mov_b32_e32 v7, 0
	v_cmp_ne_u32_e32 vcc, 0, v5
                                        ; implicit-def: $vgpr5
                                        ; kill: killed $vgpr5
                                        ; implicit-def: $vgpr38_vgpr39
                                        ; implicit-def: $vgpr21_vgpr22
                                        ; kill: killed $vgpr21_vgpr22
	s_and_saveexec_b64 s[6:7], vcc
	s_cbranch_execz .LBB4_32
; %bb.29:
	v_and_b32_e32 v5, 0x800, v56
	v_cmp_eq_u32_e32 vcc, 0, v5
	s_and_saveexec_b64 s[10:11], vcc
	s_cbranch_execz .LBB4_31
; %bb.30:
	s_trap 2
	ds_write_b64 v0, v[30:31]
.LBB4_31:
	s_or_b64 exec, exec, s[10:11]
	flat_load_dwordx2 v[32:33], v[18:19] offset:552
	s_waitcnt vmcnt(0) lgkmcnt(0)
	flat_load_dwordx2 v[38:39], v[32:33] glc
	flat_load_dwordx2 v[6:7], v[18:19] offset:600
	flat_load_dword v5, v[18:19] offset:576
	s_nop 0
	flat_load_dwordx2 v[18:19], v[18:19] offset:520
	s_waitcnt vmcnt(0) lgkmcnt(0)
	v_cmp_eq_u64_e32 vcc, 0, v[6:7]
	buffer_store_dword v5, off, s[0:3], s33 offset:144 ; 4-byte Folded Spill
	v_or_b32_e32 v5, 0x100, v56
	v_cndmask_b32_e32 v56, v5, v56, vcc
	buffer_store_dword v18, off, s[0:3], s33 offset:104 ; 4-byte Folded Spill
	s_nop 0
	buffer_store_dword v19, off, s[0:3], s33 offset:108 ; 4-byte Folded Spill
.LBB4_32:
	s_or_b64 exec, exec, s[6:7]
.LBB4_33:
	s_or_b64 exec, exec, s[4:5]
	v_and_b32_e32 v5, 24, v56
	v_cmp_ne_u32_e32 vcc, 0, v5
                                        ; implicit-def: $vgpr18_vgpr19
                                        ; kill: killed $vgpr18_vgpr19
	s_and_saveexec_b64 s[4:5], vcc
	s_cbranch_execz .LBB4_41
; %bb.34:
	s_trap 2
	ds_read_b64 v[5:6], v0
	v_lshlrev_b64 v[2:3], 3, v[2:3]
	v_and_b32_e32 v1, 0xffff, v1
	s_movk_i32 s6, 0xa8
	s_waitcnt lgkmcnt(0)
	v_add_co_u32_e32 v2, vcc, v5, v2
	v_addc_co_u32_e32 v3, vcc, v6, v3, vcc
	flat_load_dwordx2 v[2:3], v[2:3]
	s_waitcnt vmcnt(0) lgkmcnt(0)
	v_mad_u64_u32 v[30:31], s[6:7], v1, s6, v[2:3]
	v_or_b32_e32 v1, 0x100, v56
	flat_load_dwordx4 v[6:9], v[30:31] offset:96
	s_waitcnt vmcnt(0) lgkmcnt(0)
	v_cmp_eq_u64_e32 vcc, 0, v[6:7]
	v_cndmask_b32_e32 v56, v1, v56, vcc
	v_and_b32_e32 v1, 16, v56
	v_cmp_ne_u32_e32 vcc, 0, v1
                                        ; implicit-def: $vgpr1_vgpr2
                                        ; kill: killed $vgpr1_vgpr2
	s_and_saveexec_b64 s[6:7], vcc
	s_cbranch_execz .LBB4_36
; %bb.35:
	flat_load_dwordx2 v[32:33], v[30:31] offset:48
	flat_load_dwordx2 v[1:2], v[30:31] offset:120
	s_waitcnt vmcnt(0) lgkmcnt(0)
	buffer_store_dword v1, off, s[0:3], s33 offset:136 ; 4-byte Folded Spill
	s_nop 0
	buffer_store_dword v2, off, s[0:3], s33 offset:140 ; 4-byte Folded Spill
	flat_load_dwordx2 v[1:2], v[30:31] offset:16
	s_waitcnt vmcnt(0) lgkmcnt(0)
	buffer_store_dword v1, off, s[0:3], s33 offset:104 ; 4-byte Folded Spill
	s_nop 0
	buffer_store_dword v2, off, s[0:3], s33 offset:108 ; 4-byte Folded Spill
.LBB4_36:
	s_or_b64 exec, exec, s[6:7]
	v_and_b32_e32 v1, 8, v56
	v_cmp_ne_u32_e32 vcc, 0, v1
	s_and_saveexec_b64 s[6:7], vcc
	s_cbranch_execz .LBB4_40
; %bb.37:
	v_and_b32_e32 v1, 0x800, v56
	v_cmp_eq_u32_e32 vcc, 0, v1
	s_and_saveexec_b64 s[10:11], vcc
	s_cbranch_execz .LBB4_39
; %bb.38:
	s_trap 2
	ds_write_b64 v0, v[30:31]
.LBB4_39:
	s_or_b64 exec, exec, s[10:11]
	flat_load_dwordx2 v[32:33], v[30:31] offset:56
	s_waitcnt vmcnt(0) lgkmcnt(0)
	flat_load_dwordx2 v[38:39], v[32:33] glc
	flat_load_dword v1, v[30:31] offset:72
	s_waitcnt vmcnt(0) lgkmcnt(0)
	buffer_store_dword v1, off, s[0:3], s33 offset:144 ; 4-byte Folded Spill
	flat_load_dwordx2 v[1:2], v[30:31] offset:16
	s_waitcnt vmcnt(0) lgkmcnt(0)
	buffer_store_dword v1, off, s[0:3], s33 offset:104 ; 4-byte Folded Spill
	s_nop 0
	buffer_store_dword v2, off, s[0:3], s33 offset:108 ; 4-byte Folded Spill
.LBB4_40:
	s_or_b64 exec, exec, s[6:7]
.LBB4_41:
	s_or_b64 exec, exec, s[4:5]
	v_cmp_eq_u32_e64 s[4:5], 0, v47
	s_and_saveexec_b64 s[6:7], s[4:5]
	s_cbranch_execz .LBB4_43
; %bb.42:
	s_waitcnt vmcnt(0)
	v_mov_b32_e32 v1, v12
	v_mov_b32_e32 v2, v13
	ds_write2_b64 v0, v[1:2], v[10:11] offset1:1
	v_mov_b32_e32 v1, 0
	v_mov_b32_e32 v2, v1
	s_trap 2
	ds_write_b64 v0, v[1:2]
	ds_write_b64 v0, v[16:17]
.LBB4_43:
	s_or_b64 exec, exec, s[6:7]
	v_bfe_u32 v0, v0, 1, 30
	v_and_b32_e32 v36, 0x3ffffe00, v15
	v_mov_b32_e32 v37, 0
	v_cmp_ne_u32_e32 vcc, v4, v0
                                        ; implicit-def: $vgpr45_vgpr46
	s_and_saveexec_b64 s[6:7], vcc
	s_xor_b64 s[28:29], exec, s[6:7]
	s_cbranch_execnz .LBB4_44
; %bb.5358:
	s_getpc_b64 s[70:71]
.Lpost_getpc1:
	s_add_u32 s70, s70, (.LBB4_5145-.Lpost_getpc1)&4294967295
	s_addc_u32 s71, s71, (.LBB4_5145-.Lpost_getpc1)>>32
	s_setpc_b64 s[70:71]
.LBB4_44:
	v_cmp_ne_u32_e32 vcc, v14, v0
                                        ; implicit-def: $vgpr45_vgpr46
	s_and_saveexec_b64 s[6:7], vcc
	s_xor_b64 s[40:41], exec, s[6:7]
	s_cbranch_execz .LBB4_2598
; %bb.45:
	v_mov_b32_e32 v45, 0
	v_cmp_ne_u64_e32 vcc, 0, v[48:49]
	v_mov_b32_e32 v46, 0
	s_and_saveexec_b64 s[42:43], vcc
	s_cbranch_execz .LBB4_2597
; %bb.46:
	buffer_store_dword v30, off, s[0:3], s33 offset:204 ; 4-byte Folded Spill
	s_nop 0
	buffer_store_dword v31, off, s[0:3], s33 offset:208 ; 4-byte Folded Spill
	buffer_store_dword v54, off, s[0:3], s33 offset:152 ; 4-byte Folded Spill
	s_nop 0
	buffer_store_dword v55, off, s[0:3], s33 offset:156 ; 4-byte Folded Spill
	s_trap 2
	buffer_load_dword v0, off, s[0:3], s33 offset:144 ; 4-byte Folded Reload
	v_lshrrev_b32_e32 v2, 6, v44
	s_ashr_i32 s6, s48, 31
	s_lshr_b32 s6, s6, 24
	s_add_i32 s6, s48, s6
	v_cmp_eq_u32_e32 vcc, 64, v44
	v_mov_b32_e32 v54, 0
	s_mov_b32 s58, -1
	v_mov_b32_e32 v3, v36
	s_ashr_i32 s49, s6, 8
	v_cmp_ge_i32_e64 s[6:7], v47, v44
	v_cmp_ne_u32_e64 s[10:11], 64, v44
	s_waitcnt vmcnt(0)
	v_cmp_ne_u32_sdwa s[44:45], v44, v61 src0_sel:DWORD src1_sel:WORD_0
	v_mov_b32_e32 v35, 0
	s_movk_i32 s50, 0xffc0
	v_and_b32_e32 v57, 0x3fc0, v44
	s_mov_b64 s[46:47], 0
	v_mov_b32_e32 v55, 0
	s_movk_i32 s51, 0x108
	v_mov_b32_e32 v58, 1
	s_xor_b64 s[56:57], vcc, -1
	s_movk_i32 s52, 0xff80
	s_movk_i32 s53, 0x7c
	s_brev_b32 s54, 1
	s_mov_b32 s59, 0xffffff
	s_mov_b64 s[60:61], 0x7f800000
	s_movk_i32 s55, 0x80
	s_mov_b64 s[62:63], 0x47600001
	s_movk_i32 s64, 0x72
	;; [unrolled: 2-line block ×3, first 2 shown]
	s_mov_b32 s66, 0x7c0000
	s_brev_b32 s67, 62
	s_mov_b32 s68, 0x3ffffc00
	v_mov_b32_e32 v59, 0xc8
	v_mov_b32_e32 v5, 0xff800000
	;; [unrolled: 1-line block ×5, first 2 shown]
	v_ashrrev_i32_e32 v45, 31, v0
	v_and_b32_e32 v0, 63, v60
	v_cmp_eq_u32_e64 s[12:13], 0, v0
	v_ashrrev_i32_e32 v0, 31, v47
	v_lshrrev_b32_e32 v0, 26, v0
	v_add_u32_e32 v0, v47, v0
	v_and_b32_e32 v1, 0xffffffc0, v0
	v_ashrrev_i32_e32 v46, 6, v0
	v_sub_u32_e32 v1, v47, v1
	v_lshlrev_b32_e32 v0, 11, v46
	v_lshl_add_u32 v0, v1, 4, v0
	buffer_store_dword v0, off, s[0:3], s33 offset:236 ; 4-byte Folded Spill
	v_ashrrev_i32_e32 v0, 31, v0
	buffer_store_dword v0, off, s[0:3], s33 offset:240 ; 4-byte Folded Spill
	v_lshlrev_b32_e32 v0, 11, v2
	buffer_store_dword v1, off, s[0:3], s33 offset:232 ; 4-byte Folded Spill
	buffer_store_dword v0, off, s[0:3], s33 offset:128 ; 4-byte Folded Spill
	;; [unrolled: 1-line block ×3, first 2 shown]
	v_lshlrev_b32_e32 v0, 10, v2
	buffer_store_dword v0, off, s[0:3], s33 offset:84 ; 4-byte Folded Spill
	v_cmp_le_i32_e64 s[14:15], v1, v20
	v_cmp_lt_i32_e64 s[16:17], v1, v20
	buffer_load_dword v0, off, s[0:3], s33 offset:136 ; 4-byte Folded Reload
	buffer_load_dword v1, off, s[0:3], s33 offset:140 ; 4-byte Folded Reload
	s_waitcnt vmcnt(0)
	v_cmp_eq_u64_e64 s[18:19], 0, v[0:1]
	v_mov_b32_e32 v0, 0
	v_mov_b32_e32 v1, 0
	buffer_store_dword v0, off, s[0:3], s33 offset:60 ; 4-byte Folded Spill
	s_nop 0
	buffer_store_dword v1, off, s[0:3], s33 offset:64 ; 4-byte Folded Spill
	buffer_store_dword v47, off, s[0:3], s33 offset:184 ; 4-byte Folded Spill
	;; [unrolled: 1-line block ×9, first 2 shown]
	s_nop 0
	buffer_store_dword v49, off, s[0:3], s33 offset:92 ; 4-byte Folded Spill
	buffer_store_dword v50, off, s[0:3], s33 offset:96 ; 4-byte Folded Spill
	;; [unrolled: 1-line block ×4, first 2 shown]
	s_nop 0
	buffer_store_dword v4, off, s[0:3], s33 offset:124 ; 4-byte Folded Spill
	s_branch .LBB4_49
.LBB4_47:                               ;   in Loop: Header=BB4_49 Depth=1
	s_or_b64 exec, exec, s[20:21]
.LBB4_48:                               ;   in Loop: Header=BB4_49 Depth=1
	s_or_b64 exec, exec, s[22:23]
	buffer_load_dword v3, off, s[0:3], s33 offset:120 ; 4-byte Folded Reload
	buffer_load_dword v4, off, s[0:3], s33 offset:124 ; 4-byte Folded Reload
	;; [unrolled: 1-line block ×6, first 2 shown]
	s_waitcnt vmcnt(0)
	v_add_co_u32_e32 v54, vcc, v54, v3
	v_addc_co_u32_e32 v55, vcc, 0, v55, vcc
	v_cmp_ge_u64_e32 vcc, v[54:55], v[48:49]
	s_or_b64 s[46:47], vcc, s[46:47]
	s_andn2_b64 exec, exec, s[46:47]
	s_cbranch_execz .LBB4_2596
.LBB4_49:                               ; =>This Loop Header: Depth=1
                                        ;     Child Loop BB4_58 Depth 2
                                        ;     Child Loop BB4_84 Depth 2
	;; [unrolled: 1-line block ×10, first 2 shown]
	v_sub_co_u32_e32 v0, vcc, v48, v54
	v_subb_co_u32_e32 v1, vcc, v49, v55, vcc
	v_cmp_lt_u64_e32 vcc, v[3:4], v[0:1]
	v_cndmask_b32_e32 v10, v0, v3, vcc
	v_cndmask_b32_e64 v11, v1, 0, vcc
	v_mov_b32_e32 v1, v10
	buffer_store_dword v1, off, s[0:3], s33 offset:112 ; 4-byte Folded Spill
	s_nop 0
	buffer_store_dword v2, off, s[0:3], s33 offset:116 ; 4-byte Folded Spill
	v_add_u32_e32 v0, 15, v10
	v_and_b32_e32 v0, 0x7ffffff0, v0
	v_cmp_eq_u64_e32 vcc, 0, v[10:11]
	v_max_i32_e32 v0, s49, v0
	s_or_b64 s[74:75], s[6:7], vcc
	s_xor_b64 s[20:21], s[74:75], -1
	buffer_store_dword v0, off, s[0:3], s33 offset:72 ; 4-byte Folded Spill
	s_nop 0
	buffer_store_dword v1, off, s[0:3], s33 offset:76 ; 4-byte Folded Spill
	v_mov_b32_e32 v0, v35
	s_and_saveexec_b64 s[76:77], s[20:21]
	s_cbranch_execz .LBB4_2546
; %bb.50:                               ;   in Loop: Header=BB4_49 Depth=1
	s_and_saveexec_b64 s[20:21], s[4:5]
	s_cbranch_execz .LBB4_52
; %bb.51:                               ;   in Loop: Header=BB4_49 Depth=1
	s_trap 2
	ds_read_b64 v[0:1], v0
	buffer_load_dword v2, off, s[0:3], s33 offset:152 ; 4-byte Folded Reload
	buffer_load_dword v3, off, s[0:3], s33 offset:156 ; 4-byte Folded Reload
	v_mov_b32_e32 v34, v35
	s_waitcnt vmcnt(0) lgkmcnt(0)
	v_add_co_u32_e32 v0, vcc, v0, v2
	v_addc_co_u32_e32 v1, vcc, v1, v3, vcc
	v_add_co_u32_e32 v0, vcc, v0, v54
	v_addc_co_u32_e32 v1, vcc, v1, v55, vcc
	ds_write_b64 v0, v[0:1]
	ds_write_b64 v0, v[34:35]
.LBB4_52:                               ;   in Loop: Header=BB4_49 Depth=1
	s_or_b64 exec, exec, s[20:21]
	buffer_load_dword v0, off, s[0:3], s33 offset:112 ; 4-byte Folded Reload
	buffer_load_dword v1, off, s[0:3], s33 offset:116 ; 4-byte Folded Reload
	;; [unrolled: 1-line block ×4, first 2 shown]
	s_waitcnt vmcnt(0)
	v_min_u32_e32 v1, v1, v0
	v_and_b32_e32 v0, 12, v56
	v_cmp_ne_u32_e32 vcc, 0, v0
	buffer_store_dword v1, off, s[0:3], s33 offset:72 ; 4-byte Folded Spill
	s_nop 0
	buffer_store_dword v2, off, s[0:3], s33 offset:76 ; 4-byte Folded Spill
	s_and_saveexec_b64 s[22:23], vcc
	s_cbranch_execz .LBB4_76
; %bb.53:                               ;   in Loop: Header=BB4_49 Depth=1
	v_and_b32_e32 v4, 8, v56
	v_add_co_u32_e32 v2, vcc, v38, v4
	v_addc_co_u32_e32 v3, vcc, 0, v39, vcc
	s_waitcnt lgkmcnt(0)
	v_add_co_u32_e32 v0, vcc, 1, v8
	v_addc_co_u32_e32 v1, vcc, 0, v9, vcc
	v_cmp_lt_u64_e32 vcc, v[2:3], v[0:1]
	s_and_saveexec_b64 s[24:25], vcc
	s_cbranch_execz .LBB4_65
; %bb.54:                               ;   in Loop: Header=BB4_49 Depth=1
	v_and_b32_e32 v2, 64, v56
	s_mov_b32 s69, 0
	v_cmp_eq_u32_e32 vcc, 0, v2
	s_mov_b64 s[78:79], 0
                                        ; implicit-def: $sgpr88_sgpr89
                                        ; implicit-def: $sgpr90_sgpr91
                                        ; implicit-def: $sgpr92_sgpr93
	s_branch .LBB4_58
.LBB4_55:                               ;   in Loop: Header=BB4_58 Depth=2
	s_waitcnt vmcnt(0) lgkmcnt(0)
	v_add_co_u32_e64 v9, s[20:21], v38, v4
	v_addc_co_u32_e64 v10, s[20:21], 0, v39, s[20:21]
	v_cmp_ge_u64_e64 s[20:21], v[9:10], v[0:1]
	s_or_b64 s[34:35], s[34:35], exec
	s_orn2_b64 s[30:31], s[20:21], exec
.LBB4_56:                               ;   in Loop: Header=BB4_58 Depth=2
	s_or_b64 exec, exec, s[38:39]
	s_andn2_b64 s[20:21], s[92:93], exec
	s_and_b64 s[92:93], s[34:35], exec
	s_or_b64 s[92:93], s[20:21], s[92:93]
	s_andn2_b64 s[20:21], s[90:91], exec
	s_and_b64 s[90:91], s[30:31], exec
	s_or_b64 s[90:91], s[20:21], s[90:91]
.LBB4_57:                               ;   in Loop: Header=BB4_58 Depth=2
	s_or_b64 exec, exec, s[94:95]
	s_and_b64 s[20:21], exec, s[90:91]
	s_or_b64 s[78:79], s[20:21], s[78:79]
	s_andn2_b64 s[20:21], s[88:89], exec
	s_and_b64 s[88:89], s[92:93], exec
	s_or_b64 s[88:89], s[20:21], s[88:89]
	s_andn2_b64 exec, exec, s[78:79]
	s_cbranch_execz .LBB4_62
.LBB4_58:                               ;   Parent Loop BB4_49 Depth=1
                                        ; =>  This Inner Loop Header: Depth=2
	s_sleep 1
	s_waitcnt vmcnt(0) lgkmcnt(0)
	flat_load_dwordx2 v[38:39], v[32:33] glc
	s_or_b64 s[92:93], s[92:93], exec
	s_or_b64 s[90:91], s[90:91], exec
                                        ; implicit-def: $vgpr2
	s_and_saveexec_b64 s[94:95], vcc
	s_cbranch_execz .LBB4_57
; %bb.59:                               ;   in Loop: Header=BB4_58 Depth=2
	s_cmpk_lt_i32 s69, 0x270f
	s_cselect_b64 s[36:37], -1, 0
	s_cmpk_gt_i32 s69, 0x270e
	s_mov_b64 s[30:31], -1
	s_cbranch_scc0 .LBB4_61
; %bb.60:                               ;   in Loop: Header=BB4_58 Depth=2
	s_trap 2
	ds_read_b64 v[2:3], v0
	s_andn2_b64 s[36:37], s[36:37], exec
	s_mov_b32 s69, 0
	s_mov_b64 s[34:35], 0
	s_waitcnt vmcnt(0) lgkmcnt(0)
	flat_load_dword v2, v[2:3] glc
	s_waitcnt vmcnt(0) lgkmcnt(0)
	buffer_wbinvl1_vol
	v_cmp_eq_u32_e64 s[20:21], 0, v2
	s_and_b64 s[20:21], s[20:21], exec
	s_or_b64 s[36:37], s[36:37], s[20:21]
	s_and_saveexec_b64 s[38:39], s[36:37]
	s_cbranch_execz .LBB4_56
	s_branch .LBB4_55
.LBB4_61:                               ;   in Loop: Header=BB4_58 Depth=2
	s_add_i32 s69, s69, 1
	s_mov_b64 s[34:35], -1
                                        ; implicit-def: $vgpr2
	s_and_saveexec_b64 s[38:39], s[36:37]
	s_cbranch_execz .LBB4_56
	s_branch .LBB4_55
.LBB4_62:                               ;   in Loop: Header=BB4_49 Depth=1
	s_or_b64 exec, exec, s[78:79]
	s_xor_b64 s[20:21], s[88:89], -1
	s_and_saveexec_b64 s[78:79], s[20:21]
	s_xor_b64 s[20:21], exec, s[78:79]
	s_cbranch_execz .LBB4_64
; %bb.63:                               ;   in Loop: Header=BB4_49 Depth=1
	v_or_b32_e32 v56, 64, v56
	s_waitcnt lgkmcnt(0)
	ds_write_b32 v0, v2
	s_trap 2
.LBB4_64:                               ;   in Loop: Header=BB4_49 Depth=1
	s_or_b64 exec, exec, s[20:21]
.LBB4_65:                               ;   in Loop: Header=BB4_49 Depth=1
	s_or_b64 exec, exec, s[24:25]
	v_and_b32_e32 v2, 0x108, v56
	v_cmp_ne_u32_e32 vcc, s51, v2
	v_and_b32_e32 v10, 7, v8
	;;#ASMSTART
	s_wakeup
	;;#ASMEND
	s_and_saveexec_b64 s[20:21], vcc
	s_xor_b64 s[20:21], exec, s[20:21]
	s_andn2_saveexec_b64 s[20:21], s[20:21]
	s_cbranch_execz .LBB4_67
; %bb.66:                               ;   in Loop: Header=BB4_49 Depth=1
	buffer_load_dword v8, off, s[0:3], s33 offset:72 ; 4-byte Folded Reload
	buffer_load_dword v9, off, s[0:3], s33 offset:76 ; 4-byte Folded Reload
	v_mad_u64_u32 v[2:3], s[24:25], v10, 24, v[6:7]
	s_waitcnt vmcnt(0)
	v_mov_b32_e32 v9, v35
	v_mov_b32_e32 v11, v8
	buffer_store_dword v11, off, s[0:3], s33 offset:72 ; 4-byte Folded Spill
	s_nop 0
	buffer_store_dword v12, off, s[0:3], s33 offset:76 ; 4-byte Folded Spill
	flat_store_dwordx2 v[2:3], v[8:9] offset:8
.LBB4_67:                               ;   in Loop: Header=BB4_49 Depth=1
	s_or_b64 exec, exec, s[20:21]
	v_and_b32_e32 v2, 0x100, v56
	v_cmp_ne_u32_e32 vcc, 0, v2
	s_mov_b64 s[20:21], -1
                                        ; implicit-def: $vgpr2_vgpr3
	s_and_saveexec_b64 s[24:25], vcc
	s_cbranch_execz .LBB4_71
; %bb.68:                               ;   in Loop: Header=BB4_49 Depth=1
	v_mad_u64_u32 v[8:9], s[20:21], v10, 24, v[6:7]
	v_mov_b32_e32 v2, v9
	v_mad_u64_u32 v[2:3], s[20:21], v35, 24, v[2:3]
	v_mov_b32_e32 v9, v2
	flat_load_dword v2, v[8:9]
	s_waitcnt vmcnt(0) lgkmcnt(0)
	v_cmp_ne_u32_e32 vcc, 1, v2
	v_cmp_eq_u32_e64 s[20:21], 1, v2
                                        ; implicit-def: $vgpr2_vgpr3
	s_and_saveexec_b64 s[78:79], s[20:21]
	s_cbranch_execz .LBB4_70
; %bb.69:                               ;   in Loop: Header=BB4_49 Depth=1
	flat_load_dword v2, v[8:9] offset:4 glc
	s_waitcnt vmcnt(0) lgkmcnt(0)
	v_ashrrev_i32_e32 v3, 31, v2
.LBB4_70:                               ;   in Loop: Header=BB4_49 Depth=1
	s_or_b64 exec, exec, s[78:79]
	s_orn2_b64 s[20:21], vcc, exec
.LBB4_71:                               ;   in Loop: Header=BB4_49 Depth=1
	s_or_b64 exec, exec, s[24:25]
	s_and_saveexec_b64 s[24:25], s[20:21]
	s_cbranch_execz .LBB4_73
; %bb.72:                               ;   in Loop: Header=BB4_49 Depth=1
	buffer_load_dword v2, off, s[0:3], s33 offset:144 ; 4-byte Folded Reload
	v_mul_lo_u32 v9, v10, v45
	s_waitcnt vmcnt(0)
	v_mul_lo_u32 v8, v35, v2
	v_mad_u64_u32 v[2:3], s[20:21], v10, v2, 0
	v_add3_u32 v3, v3, v9, v8
.LBB4_73:                               ;   in Loop: Header=BB4_49 Depth=1
	s_or_b64 exec, exec, s[24:25]
	buffer_load_dword v8, off, s[0:3], s33 offset:104 ; 4-byte Folded Reload
	buffer_load_dword v9, off, s[0:3], s33 offset:108 ; 4-byte Folded Reload
	v_cmp_eq_u32_e32 vcc, 0, v4
	v_mov_b32_e32 v4, 0x90
	v_cndmask_b32_e32 v4, v59, v4, vcc
	v_add_u32_e32 v4, v0, v4
	s_waitcnt vmcnt(0)
	v_add_co_u32_e32 v2, vcc, v8, v2
	v_addc_co_u32_e32 v3, vcc, v9, v3, vcc
	ds_write_b64 v4, v[2:3] offset:584
	v_and_b32_e32 v2, 0x2000, v56
	v_cmp_ne_u32_e32 vcc, 0, v2
	s_and_saveexec_b64 s[20:21], vcc
	s_cbranch_execz .LBB4_75
; %bb.74:                               ;   in Loop: Header=BB4_49 Depth=1
	ds_read_b64 v[2:3], v0 offset:872
	s_waitcnt lgkmcnt(0)
	v_add_co_u32_e32 v2, vcc, 1, v2
	v_addc_co_u32_e32 v3, vcc, 0, v3, vcc
	ds_write_b64 v0, v[2:3] offset:872
.LBB4_75:                               ;   in Loop: Header=BB4_49 Depth=1
	s_or_b64 exec, exec, s[20:21]
	v_mov_b32_e32 v9, v1
	v_mov_b32_e32 v8, v0
.LBB4_76:                               ;   in Loop: Header=BB4_49 Depth=1
	s_or_b64 exec, exec, s[22:23]
	s_and_saveexec_b64 s[20:21], s[10:11]
	s_cbranch_execz .LBB4_95
; %bb.77:                               ;   in Loop: Header=BB4_49 Depth=1
	s_and_saveexec_b64 s[22:23], s[44:45]
	s_xor_b64 s[22:23], exec, s[22:23]
	s_cbranch_execz .LBB4_92
; %bb.78:                               ;   in Loop: Header=BB4_49 Depth=1
	s_and_saveexec_b64 s[24:25], s[12:13]
	s_cbranch_execz .LBB4_91
; %bb.79:                               ;   in Loop: Header=BB4_49 Depth=1
	s_mov_b64 s[88:89], exec
	v_mbcnt_lo_u32_b32 v0, s88, 0
	v_mbcnt_hi_u32_b32 v0, s89, v0
	v_cmp_eq_u32_e32 vcc, 0, v0
	s_waitcnt vmcnt(0) lgkmcnt(0)
	buffer_wbinvl1_vol
	s_and_saveexec_b64 s[78:79], vcc
	s_cbranch_execz .LBB4_81
; %bb.80:                               ;   in Loop: Header=BB4_49 Depth=1
	s_bcnt1_i32_b64 s88, s[88:89]
	v_mov_b32_e32 v34, s88
	ds_add_u64 v0, v[34:35]
	s_trap 2
.LBB4_81:                               ;   in Loop: Header=BB4_49 Depth=1
	s_or_b64 exec, exec, s[78:79]
	s_trap 2
	ds_read_b64 v[0:1], v0
	s_waitcnt lgkmcnt(0)
	buffer_load_dword v2, off, s[0:3], s33 offset:60 ; 4-byte Folded Reload
	buffer_load_dword v3, off, s[0:3], s33 offset:64 ; 4-byte Folded Reload
	;; [unrolled: 1-line block ×3, first 2 shown]
	s_waitcnt vmcnt(0)
	v_add_co_u32_e32 v2, vcc, v2, v4
	v_addc_co_u32_e32 v3, vcc, 0, v3, vcc
	buffer_store_dword v2, off, s[0:3], s33 offset:60 ; 4-byte Folded Spill
	s_nop 0
	buffer_store_dword v3, off, s[0:3], s33 offset:64 ; 4-byte Folded Spill
	v_cmp_lt_u64_e32 vcc, v[0:1], v[2:3]
	s_and_saveexec_b64 s[78:79], vcc
	s_cbranch_execz .LBB4_90
; %bb.82:                               ;   in Loop: Header=BB4_49 Depth=1
	s_mov_b32 s34, 0
	s_mov_b64 s[88:89], 0
                                        ; implicit-def: $sgpr90_sgpr91
                                        ; implicit-def: $sgpr92_sgpr93
	s_branch .LBB4_84
.LBB4_83:                               ;   in Loop: Header=BB4_84 Depth=2
	s_or_b64 exec, exec, s[30:31]
	s_and_b64 s[94:95], exec, vcc
	s_or_b64 s[88:89], s[94:95], s[88:89]
	s_andn2_b64 s[90:91], s[90:91], exec
	s_and_b64 s[94:95], s[92:93], exec
	s_or_b64 s[90:91], s[90:91], s[94:95]
	s_andn2_b64 exec, exec, s[88:89]
	s_cbranch_execz .LBB4_88
.LBB4_84:                               ;   Parent Loop BB4_49 Depth=1
                                        ; =>  This Inner Loop Header: Depth=2
	s_add_i32 s34, s34, 1
	s_cmpk_lg_i32 s34, 0x2710
	s_cselect_b64 s[94:95], -1, 0
	s_and_b64 vcc, exec, s[94:95]
	s_cbranch_vccz .LBB4_86
; %bb.85:                               ;   in Loop: Header=BB4_84 Depth=2
	s_mov_b64 vcc, -1
	s_or_b64 s[92:93], s[92:93], exec
	s_and_saveexec_b64 s[30:31], s[94:95]
	s_cbranch_execz .LBB4_83
	s_branch .LBB4_87
.LBB4_86:                               ;   in Loop: Header=BB4_84 Depth=2
	s_trap 2
	ds_read_b64 v[0:1], v0
	s_andn2_b64 s[94:95], s[94:95], exec
	s_mov_b32 s34, 0
	s_waitcnt vmcnt(0) lgkmcnt(0)
	flat_load_dword v0, v[0:1] glc
	s_waitcnt vmcnt(0) lgkmcnt(0)
	buffer_wbinvl1_vol
	v_cmp_eq_u32_e32 vcc, 0, v0
	s_and_b64 vcc, vcc, exec
	s_or_b64 s[94:95], s[94:95], vcc
	s_mov_b64 vcc, -1
	s_or_b64 s[92:93], s[92:93], exec
	s_and_saveexec_b64 s[30:31], s[94:95]
	s_cbranch_execz .LBB4_83
.LBB4_87:                               ;   in Loop: Header=BB4_84 Depth=2
	s_sleep 1
	s_trap 2
	ds_read_b64 v[0:1], v0
	s_waitcnt lgkmcnt(0)
	buffer_load_dword v2, off, s[0:3], s33 offset:60 ; 4-byte Folded Reload
	buffer_load_dword v3, off, s[0:3], s33 offset:64 ; 4-byte Folded Reload
	s_andn2_b64 s[92:93], s[92:93], exec
	s_waitcnt vmcnt(0)
	v_cmp_ge_u64_e32 vcc, v[0:1], v[2:3]
	s_orn2_b64 vcc, vcc, exec
	s_branch .LBB4_83
.LBB4_88:                               ;   in Loop: Header=BB4_49 Depth=1
	s_or_b64 exec, exec, s[88:89]
	s_and_saveexec_b64 s[88:89], s[90:91]
	s_xor_b64 s[88:89], exec, s[88:89]
	s_cbranch_execz .LBB4_90
; %bb.89:                               ;   in Loop: Header=BB4_49 Depth=1
	ds_write_b32 v0, v58
	s_trap 2
.LBB4_90:                               ;   in Loop: Header=BB4_49 Depth=1
	s_or_b64 exec, exec, s[78:79]
	;;#ASMSTART
	s_wakeup
	;;#ASMEND
.LBB4_91:                               ;   in Loop: Header=BB4_49 Depth=1
	s_or_b64 exec, exec, s[24:25]
.LBB4_92:                               ;   in Loop: Header=BB4_49 Depth=1
	s_andn2_saveexec_b64 s[22:23], s[22:23]
	s_cbranch_execz .LBB4_94
; %bb.93:                               ;   in Loop: Header=BB4_49 Depth=1
	s_waitcnt vmcnt(0) lgkmcnt(0)
	buffer_wbinvl1_vol
	s_barrier
.LBB4_94:                               ;   in Loop: Header=BB4_49 Depth=1
	s_or_b64 exec, exec, s[22:23]
.LBB4_95:                               ;   in Loop: Header=BB4_49 Depth=1
	s_or_b64 exec, exec, s[20:21]
	s_trap 2
	ds_read_b32 v0, v0
	v_and_b32_e32 v1, 0x4000, v56
	v_cmp_ne_u32_e32 vcc, 0, v1
	s_and_b64 s[22:23], s[56:57], vcc
	s_and_saveexec_b64 s[20:21], s[22:23]
	s_cbranch_execz .LBB4_114
; %bb.96:                               ;   in Loop: Header=BB4_49 Depth=1
	s_and_saveexec_b64 s[22:23], s[44:45]
	s_xor_b64 s[22:23], exec, s[22:23]
	s_cbranch_execz .LBB4_111
; %bb.97:                               ;   in Loop: Header=BB4_49 Depth=1
	s_and_saveexec_b64 s[24:25], s[12:13]
	s_cbranch_execz .LBB4_110
; %bb.98:                               ;   in Loop: Header=BB4_49 Depth=1
	s_mov_b64 s[88:89], exec
	v_mbcnt_lo_u32_b32 v1, s88, 0
	v_mbcnt_hi_u32_b32 v1, s89, v1
	v_cmp_eq_u32_e32 vcc, 0, v1
	s_waitcnt vmcnt(0) lgkmcnt(0)
	buffer_wbinvl1_vol
	s_and_saveexec_b64 s[78:79], vcc
	s_cbranch_execz .LBB4_100
; %bb.99:                               ;   in Loop: Header=BB4_49 Depth=1
	s_bcnt1_i32_b64 s88, s[88:89]
	v_mov_b32_e32 v34, s88
	ds_add_u64 v0, v[34:35]
	s_trap 2
.LBB4_100:                              ;   in Loop: Header=BB4_49 Depth=1
	s_or_b64 exec, exec, s[78:79]
	s_trap 2
	ds_read_b64 v[1:2], v0
	s_waitcnt lgkmcnt(0)
	buffer_load_dword v3, off, s[0:3], s33 offset:60 ; 4-byte Folded Reload
	buffer_load_dword v4, off, s[0:3], s33 offset:64 ; 4-byte Folded Reload
	;; [unrolled: 1-line block ×3, first 2 shown]
	s_waitcnt vmcnt(0)
	v_add_co_u32_e32 v3, vcc, v3, v10
	v_addc_co_u32_e32 v4, vcc, 0, v4, vcc
	buffer_store_dword v3, off, s[0:3], s33 offset:60 ; 4-byte Folded Spill
	s_nop 0
	buffer_store_dword v4, off, s[0:3], s33 offset:64 ; 4-byte Folded Spill
	v_cmp_lt_u64_e32 vcc, v[1:2], v[3:4]
	s_and_saveexec_b64 s[78:79], vcc
	s_cbranch_execz .LBB4_109
; %bb.101:                              ;   in Loop: Header=BB4_49 Depth=1
	s_mov_b32 s34, 0
	s_mov_b64 s[88:89], 0
                                        ; implicit-def: $sgpr90_sgpr91
                                        ; implicit-def: $sgpr92_sgpr93
	s_branch .LBB4_103
.LBB4_102:                              ;   in Loop: Header=BB4_103 Depth=2
	s_or_b64 exec, exec, s[30:31]
	s_and_b64 s[94:95], exec, vcc
	s_or_b64 s[88:89], s[94:95], s[88:89]
	s_andn2_b64 s[90:91], s[90:91], exec
	s_and_b64 s[94:95], s[92:93], exec
	s_or_b64 s[90:91], s[90:91], s[94:95]
	s_andn2_b64 exec, exec, s[88:89]
	s_cbranch_execz .LBB4_107
.LBB4_103:                              ;   Parent Loop BB4_49 Depth=1
                                        ; =>  This Inner Loop Header: Depth=2
	s_add_i32 s34, s34, 1
	s_cmpk_lg_i32 s34, 0x2710
	s_cselect_b64 s[94:95], -1, 0
	s_and_b64 vcc, exec, s[94:95]
	s_cbranch_vccz .LBB4_105
; %bb.104:                              ;   in Loop: Header=BB4_103 Depth=2
	s_mov_b64 vcc, -1
	s_or_b64 s[92:93], s[92:93], exec
	s_and_saveexec_b64 s[30:31], s[94:95]
	s_cbranch_execz .LBB4_102
	s_branch .LBB4_106
.LBB4_105:                              ;   in Loop: Header=BB4_103 Depth=2
	s_trap 2
	ds_read_b64 v[1:2], v0
	s_andn2_b64 s[94:95], s[94:95], exec
	s_mov_b32 s34, 0
	s_waitcnt vmcnt(0) lgkmcnt(0)
	flat_load_dword v1, v[1:2] glc
	s_waitcnt vmcnt(0) lgkmcnt(0)
	buffer_wbinvl1_vol
	v_cmp_eq_u32_e32 vcc, 0, v1
	s_and_b64 vcc, vcc, exec
	s_or_b64 s[94:95], s[94:95], vcc
	s_mov_b64 vcc, -1
	s_or_b64 s[92:93], s[92:93], exec
	s_and_saveexec_b64 s[30:31], s[94:95]
	s_cbranch_execz .LBB4_102
.LBB4_106:                              ;   in Loop: Header=BB4_103 Depth=2
	s_sleep 1
	s_trap 2
	ds_read_b64 v[1:2], v0
	s_waitcnt lgkmcnt(0)
	buffer_load_dword v3, off, s[0:3], s33 offset:60 ; 4-byte Folded Reload
	buffer_load_dword v4, off, s[0:3], s33 offset:64 ; 4-byte Folded Reload
	s_andn2_b64 s[92:93], s[92:93], exec
	s_waitcnt vmcnt(0)
	v_cmp_ge_u64_e32 vcc, v[1:2], v[3:4]
	s_orn2_b64 vcc, vcc, exec
	s_branch .LBB4_102
.LBB4_107:                              ;   in Loop: Header=BB4_49 Depth=1
	s_or_b64 exec, exec, s[88:89]
	s_and_saveexec_b64 s[88:89], s[90:91]
	s_xor_b64 s[88:89], exec, s[88:89]
	s_cbranch_execz .LBB4_109
; %bb.108:                              ;   in Loop: Header=BB4_49 Depth=1
	ds_write_b32 v0, v58
	s_trap 2
.LBB4_109:                              ;   in Loop: Header=BB4_49 Depth=1
	s_or_b64 exec, exec, s[78:79]
	;;#ASMSTART
	s_wakeup
	;;#ASMEND
.LBB4_110:                              ;   in Loop: Header=BB4_49 Depth=1
	s_or_b64 exec, exec, s[24:25]
.LBB4_111:                              ;   in Loop: Header=BB4_49 Depth=1
	s_andn2_saveexec_b64 s[22:23], s[22:23]
	s_cbranch_execz .LBB4_113
; %bb.112:                              ;   in Loop: Header=BB4_49 Depth=1
	s_waitcnt vmcnt(0) lgkmcnt(0)
	buffer_wbinvl1_vol
	s_barrier
.LBB4_113:                              ;   in Loop: Header=BB4_49 Depth=1
	s_or_b64 exec, exec, s[22:23]
.LBB4_114:                              ;   in Loop: Header=BB4_49 Depth=1
	s_or_b64 exec, exec, s[20:21]
	s_trap 2
	s_waitcnt lgkmcnt(0)
	ds_read_b64 v[1:2], v0
	s_waitcnt lgkmcnt(0)
	v_cmp_eq_u64_e32 vcc, 0, v[1:2]
	s_cbranch_vccnz .LBB4_122
; %bb.115:                              ;   in Loop: Header=BB4_49 Depth=1
	buffer_store_dword v1, off, s[0:3], s33 offset:160 ; 4-byte Folded Spill
	s_nop 0
	buffer_store_dword v2, off, s[0:3], s33 offset:164 ; 4-byte Folded Spill
	s_trap 2
	ds_read_b64 v[2:3], v0
	s_waitcnt lgkmcnt(0)
	v_cmp_eq_u64_e32 vcc, 0, v[2:3]
	s_cbranch_vccnz .LBB4_122
; %bb.116:                              ;   in Loop: Header=BB4_49 Depth=1
	s_mov_b64 s[22:23], -1
	s_and_saveexec_b64 s[20:21], s[14:15]
	s_cbranch_execz .LBB4_118
; %bb.117:                              ;   in Loop: Header=BB4_49 Depth=1
	ds_read_b32 v1, v0 offset:720
	s_waitcnt lgkmcnt(0)
	v_and_b32_e32 v1, 15, v1
	v_cmp_eq_u32_e32 vcc, 0, v1
	s_orn2_b64 s[22:23], vcc, exec
.LBB4_118:                              ;   in Loop: Header=BB4_49 Depth=1
	s_or_b64 exec, exec, s[20:21]
	s_and_saveexec_b64 s[20:21], s[16:17]
	s_cbranch_execz .LBB4_120
; %bb.119:                              ;   in Loop: Header=BB4_49 Depth=1
	ds_read_b32 v1, v0 offset:784
	s_waitcnt lgkmcnt(0)
	v_and_b32_e32 v1, 15, v1
	v_cmp_eq_u32_e32 vcc, 0, v1
	s_and_b64 s[24:25], s[22:23], vcc
	s_andn2_b64 s[22:23], s[22:23], exec
	s_and_b64 s[24:25], s[24:25], exec
	s_or_b64 s[22:23], s[22:23], s[24:25]
.LBB4_120:                              ;   in Loop: Header=BB4_49 Depth=1
	s_or_b64 exec, exec, s[20:21]
	v_cmp_eq_u32_e32 vcc, 0, v0
	buffer_load_dword v0, off, s[0:3], s33 offset:72 ; 4-byte Folded Reload
	buffer_load_dword v1, off, s[0:3], s33 offset:76 ; 4-byte Folded Reload
	s_xor_b64 s[22:23], s[22:23], -1
	s_mov_b64 s[20:21], -1
	v_mov_b32_e32 v10, 0
	v_mov_b32_e32 v12, v47
	s_waitcnt vmcnt(0)
	v_cndmask_b32_e32 v1, 0, v0, vcc
	v_cndmask_b32_e64 v0, 0, 1, s[22:23]
	v_cmp_ne_u32_e32 vcc, 0, v0
	v_mov_b32_e32 v11, v1
	v_mov_b32_e32 v0, v46
	buffer_store_dword v1, off, s[0:3], s33 offset:148 ; 4-byte Folded Spill
	s_cbranch_vccz .LBB4_123
; %bb.121:                              ;   in Loop: Header=BB4_49 Depth=1
	s_and_saveexec_b64 s[22:23], s[20:21]
	s_cbranch_execnz .LBB4_1832
	s_branch .LBB4_2520
.LBB4_122:                              ;   in Loop: Header=BB4_49 Depth=1
	s_mov_b64 s[20:21], 0
	s_and_saveexec_b64 s[22:23], s[10:11]
	s_cbranch_execnz .LBB4_2521
	s_branch .LBB4_2539
.LBB4_123:                              ;   in Loop: Header=BB4_49 Depth=1
	buffer_store_dword v2, off, s[0:3], s33 offset:188 ; 4-byte Folded Spill
	s_nop 0
	buffer_store_dword v3, off, s[0:3], s33 offset:192 ; 4-byte Folded Spill
	buffer_load_dword v0, off, s[0:3], s33 offset:148 ; 4-byte Folded Reload
	s_waitcnt vmcnt(0)
	v_lshrrev_b32_e32 v0, 11, v0
	v_sub_u32_e32 v3, v0, v46
	v_cmp_lt_i32_e32 vcc, 0, v3
	s_and_saveexec_b64 s[22:23], vcc
	s_cbranch_execz .LBB4_1279
; %bb.124:                              ;   in Loop: Header=BB4_49 Depth=1
	buffer_store_dword v56, off, s[0:3], s33 offset:176 ; 4-byte Folded Spill
	s_trap 2
	ds_read_b64 v[0:1], v0
	buffer_load_dword v2, off, s[0:3], s33 offset:236 ; 4-byte Folded Reload
	buffer_load_dword v10, off, s[0:3], s33 offset:160 ; 4-byte Folded Reload
	;; [unrolled: 1-line block ×4, first 2 shown]
	s_mov_b64 s[24:25], 0
	s_waitcnt vmcnt(2)
	v_add_co_u32_e32 v46, vcc, v10, v2
	s_waitcnt vmcnt(0)
	v_addc_co_u32_e32 v47, vcc, v11, v4, vcc
	s_waitcnt lgkmcnt(0)
	v_add_co_u32_e32 v56, vcc, v0, v2
	v_addc_co_u32_e32 v57, vcc, v1, v4, vcc
	buffer_load_dword v0, off, s[0:3], s33 offset:188 ; 4-byte Folded Reload
	buffer_load_dword v1, off, s[0:3], s33 offset:192 ; 4-byte Folded Reload
	s_waitcnt vmcnt(1)
	v_add_co_u32_e32 v58, vcc, v0, v2
	s_waitcnt vmcnt(0)
	v_addc_co_u32_e32 v59, vcc, v1, v4, vcc
	s_branch .LBB4_127
.LBB4_125:                              ;   in Loop: Header=BB4_127 Depth=2
	s_or_b64 exec, exec, s[78:79]
.LBB4_126:                              ;   in Loop: Header=BB4_127 Depth=2
	s_or_b64 exec, exec, s[20:21]
	v_lshl_or_b32 v1, v31, 8, v30
	v_lshlrev_b32_e32 v2, 16, v48
	v_lshlrev_b32_e32 v12, 24, v18
	v_or3_b32 v17, v1, v2, v12
	buffer_load_dword v1, off, s[0:3], s33 offset:80 ; 4-byte Folded Reload
	v_lshlrev_b32_e32 v2, 16, v28
	v_lshlrev_b32_e32 v12, 24, v29
	;; [unrolled: 1-line block ×3, first 2 shown]
	s_waitcnt vmcnt(0)
	v_lshl_or_b32 v1, v1, 8, v45
	v_or3_b32 v16, v1, v2, v12
	v_lshl_or_b32 v1, v22, 8, v19
	v_lshlrev_b32_e32 v2, 16, v23
	v_lshlrev_b32_e32 v12, 24, v49
	v_or3_b32 v18, v1, v2, v12
	v_lshlrev_b32_e32 v1, 24, v20
	v_lshlrev_b32_e32 v2, 16, v4
	v_lshl_or_b32 v4, v51, 8, v50
	v_or3_b32 v19, v4, v2, v1
	v_lshl_or_b32 v1, v40, 8, v53
	v_lshlrev_b32_e32 v2, 16, v41
	v_lshlrev_b32_e32 v4, 24, v10
	v_or3_b32 v13, v1, v2, v4
	v_lshl_or_b32 v1, v24, 8, v21
	v_lshlrev_b32_e32 v2, 16, v25
	v_lshlrev_b32_e32 v4, 24, v52
	v_or3_b32 v12, v1, v2, v4
	v_lshl_or_b32 v1, v14, 8, v11
	v_lshlrev_b32_e32 v2, 16, v15
	v_lshlrev_b32_e32 v4, 24, v60
	v_or3_b32 v14, v1, v2, v4
	v_lshlrev_b32_e32 v1, 16, v42
	v_lshl_or_b32 v2, v62, 8, v61
	v_or3_b32 v15, v2, v1, v0
	global_store_dwordx4 v[58:59], v[16:19], off glc slc
	global_store_dwordx4 v[58:59], v[12:15], off offset:1024 glc slc
	buffer_load_dword v1, off, s[0:3], s33 offset:128 ; 4-byte Folded Reload
	buffer_load_dword v0, off, s[0:3], s33 offset:68 ; 4-byte Folded Reload
	s_waitcnt vmcnt(1)
	v_add_co_u32_e32 v46, vcc, v46, v1
	v_addc_co_u32_e32 v47, vcc, 0, v47, vcc
	v_add_co_u32_e32 v56, vcc, v56, v1
	v_addc_co_u32_e32 v57, vcc, 0, v57, vcc
	s_waitcnt vmcnt(0)
	v_sub_u32_e32 v3, v3, v0
	v_cmp_gt_i32_e32 vcc, 1, v3
	s_or_b64 s[24:25], vcc, s[24:25]
	v_add_co_u32_e32 v58, vcc, v58, v1
	v_addc_co_u32_e32 v59, vcc, 0, v59, vcc
	s_andn2_b64 exec, exec, s[24:25]
	s_cbranch_execz .LBB4_1278
.LBB4_127:                              ;   Parent Loop BB4_49 Depth=1
                                        ; =>  This Inner Loop Header: Depth=2
	global_load_dwordx4 v[22:25], v[46:47], off glc slc
	global_load_dwordx4 v[14:17], v[46:47], off offset:1024 glc slc
	global_load_dwordx4 v[18:21], v[56:57], off glc slc
	global_load_dwordx4 v[10:13], v[56:57], off offset:1024 glc slc
	v_mov_b32_e32 v0, 0
	v_mov_b32_e32 v1, 0
	s_waitcnt vmcnt(3)
	v_cmp_ne_u16_sdwa s[78:79], v22, v35 src0_sel:BYTE_0 src1_sel:DWORD
	s_and_saveexec_b64 s[20:21], s[78:79]
	s_cbranch_execz .LBB4_135
; %bb.128:                              ;   in Loop: Header=BB4_127 Depth=2
	v_cmp_ne_u16_sdwa s[88:89], sext(v22), s52 src0_sel:BYTE_0 src1_sel:DWORD
	v_bfrev_b32_e32 v1, 1
	s_and_saveexec_b64 s[78:79], s[88:89]
	s_cbranch_execz .LBB4_134
; %bb.129:                              ;   in Loop: Header=BB4_127 Depth=2
	v_and_b32_e32 v1, 0x7c, v22
	v_and_b32_e32 v2, 3, v22
	v_cmp_ne_u32_e32 vcc, s53, v1
                                        ; implicit-def: $vgpr1
	s_and_saveexec_b64 s[88:89], vcc
	s_xor_b64 s[88:89], exec, s[88:89]
	s_cbranch_execz .LBB4_131
; %bb.130:                              ;   in Loop: Header=BB4_127 Depth=2
	v_ffbh_u32_e32 v4, v2
	v_min_u32_e32 v4, 32, v4
	v_bfe_u32 v1, v22, 2, 5
	v_subrev_u32_e32 v26, 29, v4
	v_lshlrev_b64 v[26:27], v26, v[22:23]
	v_sub_u32_e32 v4, 30, v4
	v_cmp_eq_u32_e32 vcc, 0, v1
	v_cndmask_b32_e32 v1, v1, v4, vcc
	v_lshlrev_b32_e32 v4, 24, v22
	v_and_b32_e32 v26, 3, v26
	v_and_b32_e32 v4, 0x80000000, v4
	v_cndmask_b32_e32 v2, v2, v26, vcc
	v_lshl_add_u32 v1, v1, 23, v4
	v_lshl_or_b32 v1, v2, 21, v1
	v_add_u32_e32 v1, 0x38000000, v1
                                        ; implicit-def: $vgpr2
.LBB4_131:                              ;   in Loop: Header=BB4_127 Depth=2
	s_andn2_saveexec_b64 s[88:89], s[88:89]
; %bb.132:                              ;   in Loop: Header=BB4_127 Depth=2
	v_mov_b32_e32 v1, -1
	v_cmp_gt_i16_sdwa vcc, sext(v22), v1 src0_sel:BYTE_0 src1_sel:DWORD
	v_cndmask_b32_e32 v1, v5, v36, vcc
	v_cmp_eq_u32_e32 vcc, 0, v2
	v_cndmask_b32_e32 v1, v37, v1, vcc
; %bb.133:                              ;   in Loop: Header=BB4_127 Depth=2
	s_or_b64 exec, exec, s[88:89]
.LBB4_134:                              ;   in Loop: Header=BB4_127 Depth=2
	s_or_b64 exec, exec, s[78:79]
.LBB4_135:                              ;   in Loop: Header=BB4_127 Depth=2
	s_or_b64 exec, exec, s[20:21]
	s_waitcnt vmcnt(1)
	v_cmp_ne_u16_sdwa s[78:79], v18, v35 src0_sel:BYTE_0 src1_sel:DWORD
	s_and_saveexec_b64 s[20:21], s[78:79]
	s_cbranch_execz .LBB4_143
; %bb.136:                              ;   in Loop: Header=BB4_127 Depth=2
	v_cmp_ne_u16_sdwa s[88:89], sext(v18), s52 src0_sel:BYTE_0 src1_sel:DWORD
	v_bfrev_b32_e32 v0, 1
	s_and_saveexec_b64 s[78:79], s[88:89]
	s_cbranch_execz .LBB4_142
; %bb.137:                              ;   in Loop: Header=BB4_127 Depth=2
	v_and_b32_e32 v0, 0x7c, v18
	v_and_b32_e32 v2, 3, v18
	v_cmp_ne_u32_e32 vcc, s53, v0
                                        ; implicit-def: $vgpr0
	s_and_saveexec_b64 s[88:89], vcc
	s_xor_b64 s[88:89], exec, s[88:89]
	s_cbranch_execz .LBB4_139
; %bb.138:                              ;   in Loop: Header=BB4_127 Depth=2
	v_ffbh_u32_e32 v4, v2
	v_min_u32_e32 v4, 32, v4
	v_bfe_u32 v0, v18, 2, 5
	v_subrev_u32_e32 v26, 29, v4
	v_lshlrev_b64 v[26:27], v26, v[18:19]
	v_sub_u32_e32 v4, 30, v4
	v_cmp_eq_u32_e32 vcc, 0, v0
	v_cndmask_b32_e32 v0, v0, v4, vcc
	v_lshlrev_b32_e32 v4, 24, v18
	v_and_b32_e32 v26, 3, v26
	v_and_b32_e32 v4, 0x80000000, v4
	v_cndmask_b32_e32 v2, v2, v26, vcc
	v_lshl_add_u32 v0, v0, 23, v4
	v_lshl_or_b32 v0, v2, 21, v0
	v_add_u32_e32 v0, 0x38000000, v0
                                        ; implicit-def: $vgpr2
.LBB4_139:                              ;   in Loop: Header=BB4_127 Depth=2
	s_andn2_saveexec_b64 s[88:89], s[88:89]
; %bb.140:                              ;   in Loop: Header=BB4_127 Depth=2
	v_mov_b32_e32 v0, -1
	v_cmp_gt_i16_sdwa vcc, sext(v18), v0 src0_sel:BYTE_0 src1_sel:DWORD
	v_cndmask_b32_e32 v0, v5, v36, vcc
	v_cmp_eq_u32_e32 vcc, 0, v2
	v_cndmask_b32_e32 v0, v37, v0, vcc
; %bb.141:                              ;   in Loop: Header=BB4_127 Depth=2
	s_or_b64 exec, exec, s[88:89]
.LBB4_142:                              ;   in Loop: Header=BB4_127 Depth=2
	s_or_b64 exec, exec, s[78:79]
.LBB4_143:                              ;   in Loop: Header=BB4_127 Depth=2
	s_or_b64 exec, exec, s[20:21]
	v_mul_f32_e32 v0, v1, v0
	v_and_b32_e32 v1, 0x7f800000, v0
	v_mov_b32_e32 v2, v35
	v_cmp_ne_u64_e32 vcc, s[60:61], v[1:2]
	v_and_b32_e32 v34, 0x7fffff, v0
                                        ; implicit-def: $vgpr45
	s_and_saveexec_b64 s[20:21], vcc
	s_xor_b64 s[78:79], exec, s[20:21]
	s_cbranch_execz .LBB4_157
; %bb.144:                              ;   in Loop: Header=BB4_127 Depth=2
	v_and_b32_e32 v1, 0x7fffffff, v0
	v_mov_b32_e32 v2, v35
	v_cmp_gt_u64_e32 vcc, s[62:63], v[1:2]
	v_and_b32_sdwa v4, v0, s55 dst_sel:DWORD dst_unused:UNUSED_PAD src0_sel:BYTE_3 src1_sel:DWORD
                                        ; implicit-def: $vgpr45
	s_and_saveexec_b64 s[20:21], vcc
	s_xor_b64 s[88:89], exec, s[20:21]
	s_cbranch_execz .LBB4_154
; %bb.145:                              ;   in Loop: Header=BB4_127 Depth=2
	v_mov_b32_e32 v45, 0
	v_cmp_ne_u32_e32 vcc, 0, v0
	s_and_saveexec_b64 s[90:91], vcc
	s_cbranch_execz .LBB4_153
; %bb.146:                              ;   in Loop: Header=BB4_127 Depth=2
	v_bfe_u32 v26, v0, 23, 8
	v_cmp_gt_u32_e64 s[20:21], s64, v26
	v_sub_u32_e32 v0, 0x71, v26
	v_cmp_eq_u32_e32 vcc, 0, v26
	v_cndmask_b32_e64 v0, 0, v0, s[20:21]
	v_mov_b32_e32 v2, 0x70
	v_cndmask_b32_e32 v27, v0, v2, vcc
	v_or_b32_e32 v1, 0x800000, v34
	v_add_u32_e32 v0, 21, v27
	v_cndmask_b32_e32 v34, v1, v34, vcc
	v_lshlrev_b64 v[0:1], v0, -1
	v_add_u32_e32 v2, 20, v27
	v_lshlrev_b64 v[28:29], v2, 1
	v_bfi_b32 v1, v1, 0, 0
	v_bfi_b32 v0, v0, 0, v34
	v_cmp_eq_u64_e64 s[20:21], v[0:1], v[28:29]
	v_lshrrev_b64 v[0:1], v27, v[34:35]
	v_mov_b32_e32 v2, v1
	v_mov_b32_e32 v1, v0
	s_and_saveexec_b64 s[92:93], s[20:21]
; %bb.147:                              ;   in Loop: Header=BB4_127 Depth=2
	v_bfe_u32 v1, v0, 21, 1
	v_add_co_u32_e64 v1, s[20:21], v0, v1
	v_add_co_u32_e64 v1, s[20:21], -1, v1
; %bb.148:                              ;   in Loop: Header=BB4_127 Depth=2
	s_or_b64 exec, exec, s[92:93]
	v_add_u32_e32 v2, 0xffffff81, v26
	v_mov_b32_e32 v26, 0xffffff82
	v_cndmask_b32_e32 v2, v2, v26, vcc
	v_lshrrev_b32_e32 v26, 23, v0
	v_add3_u32 v27, v27, v2, v26
	v_add_u32_e32 v26, 14, v27
	v_and_b32_e32 v1, 0x1fffff, v1
	v_add_u32_e32 v34, v1, v0
	v_cmp_ne_u32_e32 vcc, 0, v26
                                        ; implicit-def: $vgpr0_vgpr1
                                        ; implicit-def: $vgpr2
	s_and_saveexec_b64 s[20:21], vcc
	s_xor_b64 s[20:21], exec, s[20:21]
; %bb.149:                              ;   in Loop: Header=BB4_127 Depth=2
	v_cmp_lt_u64_e32 vcc, s[72:73], v[34:35]
	v_add_u32_e32 v0, 15, v27
	v_cndmask_b32_e32 v2, v26, v0, vcc
	v_cndmask_b32_e64 v0, 0, 1, vcc
	v_lshrrev_b64 v[0:1], v0, v[34:35]
; %bb.150:                              ;   in Loop: Header=BB4_127 Depth=2
	s_andn2_saveexec_b64 s[20:21], s[20:21]
; %bb.151:                              ;   in Loop: Header=BB4_127 Depth=2
	v_mov_b32_e32 v0, v34
	v_bfe_u32 v2, v34, 23, 1
	v_mov_b32_e32 v1, v35
; %bb.152:                              ;   in Loop: Header=BB4_127 Depth=2
	s_or_b64 exec, exec, s[20:21]
	v_lshrrev_b64 v[0:1], 21, v[0:1]
	v_cmp_gt_i32_e32 vcc, 32, v2
	v_cndmask_b32_e32 v1, 0, v1, vcc
	v_cndmask_b32_e32 v0, 3, v0, vcc
	v_cmp_eq_u64_e64 s[20:21], 0, v[0:1]
	v_min_i32_e32 v1, 31, v2
	v_lshlrev_b32_e32 v1, 2, v1
	v_cmp_eq_u32_e32 vcc, 0, v2
	v_and_b32_e32 v1, 0xfc, v1
	v_and_or_b32 v0, v0, 3, v1
	s_and_b64 s[20:21], vcc, s[20:21]
	v_cndmask_b32_e64 v0, v0, 0, s[20:21]
	v_or_b32_e32 v45, v0, v4
.LBB4_153:                              ;   in Loop: Header=BB4_127 Depth=2
	s_or_b64 exec, exec, s[90:91]
                                        ; implicit-def: $vgpr4
.LBB4_154:                              ;   in Loop: Header=BB4_127 Depth=2
	s_andn2_saveexec_b64 s[20:21], s[88:89]
; %bb.155:                              ;   in Loop: Header=BB4_127 Depth=2
	v_or_b32_e32 v45, 0x7b, v4
; %bb.156:                              ;   in Loop: Header=BB4_127 Depth=2
	s_or_b64 exec, exec, s[20:21]
                                        ; implicit-def: $vgpr0
.LBB4_157:                              ;   in Loop: Header=BB4_127 Depth=2
	s_andn2_saveexec_b64 s[20:21], s[78:79]
	s_cbranch_execz .LBB4_163
; %bb.158:                              ;   in Loop: Header=BB4_127 Depth=2
	v_cmp_ne_u64_e32 vcc, 0, v[34:35]
                                        ; implicit-def: $vgpr45
	s_and_saveexec_b64 s[78:79], vcc
	s_xor_b64 s[78:79], exec, s[78:79]
; %bb.159:                              ;   in Loop: Header=BB4_127 Depth=2
	v_or_b32_sdwa v45, v0, s65 dst_sel:DWORD dst_unused:UNUSED_PAD src0_sel:BYTE_3 src1_sel:DWORD
                                        ; implicit-def: $vgpr0
; %bb.160:                              ;   in Loop: Header=BB4_127 Depth=2
	s_andn2_saveexec_b64 s[78:79], s[78:79]
; %bb.161:                              ;   in Loop: Header=BB4_127 Depth=2
	v_cmp_lt_i32_e32 vcc, -1, v0
	v_bfrev_b32_e32 v0, 0.5
	v_mov_b32_e32 v1, 0x7c
	v_cndmask_b32_e32 v45, v0, v1, vcc
; %bb.162:                              ;   in Loop: Header=BB4_127 Depth=2
	s_or_b64 exec, exec, s[78:79]
.LBB4_163:                              ;   in Loop: Header=BB4_127 Depth=2
	s_or_b64 exec, exec, s[20:21]
	v_lshrrev_b16_e32 v34, 8, v22
	v_cmp_ne_u16_e32 vcc, 0, v34
	v_mov_b32_e32 v0, 0
	v_mov_b32_e32 v1, 0
	s_and_saveexec_b64 s[20:21], vcc
	s_cbranch_execz .LBB4_171
; %bb.164:                              ;   in Loop: Header=BB4_127 Depth=2
	v_cmp_ne_u16_e32 vcc, s55, v34
	v_bfrev_b32_e32 v1, 1
	s_and_saveexec_b64 s[78:79], vcc
	s_cbranch_execz .LBB4_170
; %bb.165:                              ;   in Loop: Header=BB4_127 Depth=2
	v_and_b32_e32 v1, 0x7c, v34
	v_and_b32_e32 v2, 3, v34
	v_cmp_ne_u32_e32 vcc, s53, v1
                                        ; implicit-def: $vgpr1
	s_and_saveexec_b64 s[88:89], vcc
	s_xor_b64 s[88:89], exec, s[88:89]
	s_cbranch_execz .LBB4_167
; %bb.166:                              ;   in Loop: Header=BB4_127 Depth=2
	v_ffbh_u32_e32 v4, v2
	v_min_u32_e32 v4, 32, v4
	v_bfe_u32 v1, v34, 2, 5
	v_subrev_u32_e32 v26, 29, v4
	v_lshlrev_b64 v[27:28], v26, v[34:35]
	v_sub_u32_e32 v4, 30, v4
	v_cmp_eq_u32_e32 vcc, 0, v1
	v_cndmask_b32_e32 v1, v1, v4, vcc
	v_lshlrev_b32_e32 v4, 16, v22
	v_and_b32_e32 v26, 3, v27
	v_and_b32_e32 v4, 0x80000000, v4
	v_cndmask_b32_e32 v2, v2, v26, vcc
	v_lshl_add_u32 v1, v1, 23, v4
	v_lshl_or_b32 v1, v2, 21, v1
	v_add_u32_e32 v1, 0x38000000, v1
                                        ; implicit-def: $vgpr2
.LBB4_167:                              ;   in Loop: Header=BB4_127 Depth=2
	s_andn2_saveexec_b64 s[88:89], s[88:89]
; %bb.168:                              ;   in Loop: Header=BB4_127 Depth=2
	v_cmp_lt_i16_e32 vcc, -1, v22
	v_cndmask_b32_e32 v1, v5, v36, vcc
	v_cmp_eq_u32_e32 vcc, 0, v2
	v_cndmask_b32_e32 v1, v37, v1, vcc
; %bb.169:                              ;   in Loop: Header=BB4_127 Depth=2
	s_or_b64 exec, exec, s[88:89]
.LBB4_170:                              ;   in Loop: Header=BB4_127 Depth=2
	s_or_b64 exec, exec, s[78:79]
.LBB4_171:                              ;   in Loop: Header=BB4_127 Depth=2
	s_or_b64 exec, exec, s[20:21]
	v_lshrrev_b16_e32 v34, 8, v18
	v_cmp_ne_u16_e32 vcc, 0, v34
	s_and_saveexec_b64 s[20:21], vcc
	s_cbranch_execz .LBB4_179
; %bb.172:                              ;   in Loop: Header=BB4_127 Depth=2
	v_cmp_ne_u16_e32 vcc, s55, v34
	v_bfrev_b32_e32 v0, 1
	s_and_saveexec_b64 s[78:79], vcc
	s_cbranch_execz .LBB4_178
; %bb.173:                              ;   in Loop: Header=BB4_127 Depth=2
	v_and_b32_e32 v0, 0x7c, v34
	v_and_b32_e32 v2, 3, v34
	v_cmp_ne_u32_e32 vcc, s53, v0
                                        ; implicit-def: $vgpr0
	s_and_saveexec_b64 s[88:89], vcc
	s_xor_b64 s[88:89], exec, s[88:89]
	s_cbranch_execz .LBB4_175
; %bb.174:                              ;   in Loop: Header=BB4_127 Depth=2
	v_ffbh_u32_e32 v4, v2
	v_min_u32_e32 v4, 32, v4
	v_bfe_u32 v0, v34, 2, 5
	v_subrev_u32_e32 v26, 29, v4
	v_lshlrev_b64 v[27:28], v26, v[34:35]
	v_sub_u32_e32 v4, 30, v4
	v_cmp_eq_u32_e32 vcc, 0, v0
	v_cndmask_b32_e32 v0, v0, v4, vcc
	v_lshlrev_b32_e32 v4, 16, v18
	v_and_b32_e32 v26, 3, v27
	v_and_b32_e32 v4, 0x80000000, v4
	v_cndmask_b32_e32 v2, v2, v26, vcc
	v_lshl_add_u32 v0, v0, 23, v4
	v_lshl_or_b32 v0, v2, 21, v0
	v_add_u32_e32 v0, 0x38000000, v0
                                        ; implicit-def: $vgpr2
.LBB4_175:                              ;   in Loop: Header=BB4_127 Depth=2
	s_andn2_saveexec_b64 s[88:89], s[88:89]
; %bb.176:                              ;   in Loop: Header=BB4_127 Depth=2
	v_cmp_lt_i16_e32 vcc, -1, v18
	v_cndmask_b32_e32 v0, v5, v36, vcc
	v_cmp_eq_u32_e32 vcc, 0, v2
	v_cndmask_b32_e32 v0, v37, v0, vcc
; %bb.177:                              ;   in Loop: Header=BB4_127 Depth=2
	s_or_b64 exec, exec, s[88:89]
.LBB4_178:                              ;   in Loop: Header=BB4_127 Depth=2
	s_or_b64 exec, exec, s[78:79]
.LBB4_179:                              ;   in Loop: Header=BB4_127 Depth=2
	s_or_b64 exec, exec, s[20:21]
	v_mul_f32_e32 v0, v1, v0
	v_and_b32_e32 v1, 0x7f800000, v0
	v_mov_b32_e32 v2, v35
	v_cmp_ne_u64_e32 vcc, s[60:61], v[1:2]
	v_and_b32_e32 v34, 0x7fffff, v0
                                        ; implicit-def: $vgpr1
                                        ; kill: killed $vgpr1
	s_and_saveexec_b64 s[20:21], vcc
	s_xor_b64 s[78:79], exec, s[20:21]
	s_cbranch_execz .LBB4_193
; %bb.180:                              ;   in Loop: Header=BB4_127 Depth=2
	v_and_b32_e32 v1, 0x7fffffff, v0
	v_mov_b32_e32 v2, v35
	v_cmp_gt_u64_e32 vcc, s[62:63], v[1:2]
	v_and_b32_sdwa v4, v0, s55 dst_sel:DWORD dst_unused:UNUSED_PAD src0_sel:BYTE_3 src1_sel:DWORD
                                        ; implicit-def: $vgpr1
                                        ; kill: killed $vgpr1
	s_and_saveexec_b64 s[20:21], vcc
	s_xor_b64 s[88:89], exec, s[20:21]
	s_cbranch_execz .LBB4_190
; %bb.181:                              ;   in Loop: Header=BB4_127 Depth=2
	v_mov_b32_e32 v1, 0
	v_cmp_ne_u32_e32 vcc, 0, v0
	buffer_store_dword v1, off, s[0:3], s33 offset:80 ; 4-byte Folded Spill
	s_and_saveexec_b64 s[90:91], vcc
	s_cbranch_execz .LBB4_189
; %bb.182:                              ;   in Loop: Header=BB4_127 Depth=2
	v_bfe_u32 v27, v0, 23, 8
	v_cmp_gt_u32_e64 s[20:21], s64, v27
	v_sub_u32_e32 v0, 0x71, v27
	v_cmp_eq_u32_e32 vcc, 0, v27
	v_cndmask_b32_e64 v0, 0, v0, s[20:21]
	v_mov_b32_e32 v2, 0x70
	v_cndmask_b32_e32 v28, v0, v2, vcc
	v_or_b32_e32 v1, 0x800000, v34
	v_add_u32_e32 v0, 21, v28
	v_cndmask_b32_e32 v34, v1, v34, vcc
	v_lshlrev_b64 v[0:1], v0, -1
	v_add_u32_e32 v2, 20, v28
	v_lshlrev_b64 v[29:30], v2, 1
	v_bfi_b32 v1, v1, 0, 0
	v_bfi_b32 v0, v0, 0, v34
	v_cmp_eq_u64_e64 s[20:21], v[0:1], v[29:30]
	v_lshrrev_b64 v[0:1], v28, v[34:35]
	v_mov_b32_e32 v2, v1
	v_mov_b32_e32 v1, v0
	s_and_saveexec_b64 s[92:93], s[20:21]
; %bb.183:                              ;   in Loop: Header=BB4_127 Depth=2
	v_bfe_u32 v1, v0, 21, 1
	v_add_co_u32_e64 v1, s[20:21], v0, v1
	v_add_co_u32_e64 v1, s[20:21], -1, v1
; %bb.184:                              ;   in Loop: Header=BB4_127 Depth=2
	s_or_b64 exec, exec, s[92:93]
	v_add_u32_e32 v2, 0xffffff81, v27
	v_mov_b32_e32 v26, 0xffffff82
	v_cndmask_b32_e32 v2, v2, v26, vcc
	v_lshrrev_b32_e32 v26, 23, v0
	v_add3_u32 v28, v28, v2, v26
	v_add_u32_e32 v27, 14, v28
	v_and_b32_e32 v1, 0x1fffff, v1
	v_add_u32_e32 v34, v1, v0
	v_cmp_ne_u32_e32 vcc, 0, v27
                                        ; implicit-def: $vgpr0_vgpr1
                                        ; implicit-def: $vgpr2
	s_and_saveexec_b64 s[20:21], vcc
	s_xor_b64 s[20:21], exec, s[20:21]
; %bb.185:                              ;   in Loop: Header=BB4_127 Depth=2
	v_cmp_lt_u64_e32 vcc, s[72:73], v[34:35]
	v_add_u32_e32 v0, 15, v28
	v_cndmask_b32_e32 v2, v27, v0, vcc
	v_cndmask_b32_e64 v0, 0, 1, vcc
	v_lshrrev_b64 v[0:1], v0, v[34:35]
; %bb.186:                              ;   in Loop: Header=BB4_127 Depth=2
	s_andn2_saveexec_b64 s[20:21], s[20:21]
; %bb.187:                              ;   in Loop: Header=BB4_127 Depth=2
	v_mov_b32_e32 v0, v34
	v_bfe_u32 v2, v34, 23, 1
	v_mov_b32_e32 v1, v35
; %bb.188:                              ;   in Loop: Header=BB4_127 Depth=2
	s_or_b64 exec, exec, s[20:21]
	v_lshrrev_b64 v[0:1], 21, v[0:1]
	v_cmp_gt_i32_e32 vcc, 32, v2
	v_cndmask_b32_e32 v1, 0, v1, vcc
	v_cndmask_b32_e32 v0, 3, v0, vcc
	v_cmp_eq_u64_e64 s[20:21], 0, v[0:1]
	v_min_i32_e32 v1, 31, v2
	v_lshlrev_b32_e32 v1, 2, v1
	v_cmp_eq_u32_e32 vcc, 0, v2
	v_and_b32_e32 v1, 0xfc, v1
	v_and_or_b32 v0, v0, 3, v1
	s_and_b64 s[20:21], vcc, s[20:21]
	v_cndmask_b32_e64 v0, v0, 0, s[20:21]
	v_or_b32_e32 v0, v0, v4
	buffer_store_dword v0, off, s[0:3], s33 offset:80 ; 4-byte Folded Spill
.LBB4_189:                              ;   in Loop: Header=BB4_127 Depth=2
	s_or_b64 exec, exec, s[90:91]
                                        ; implicit-def: $vgpr4
.LBB4_190:                              ;   in Loop: Header=BB4_127 Depth=2
	s_andn2_saveexec_b64 s[20:21], s[88:89]
	s_cbranch_execz .LBB4_192
; %bb.191:                              ;   in Loop: Header=BB4_127 Depth=2
	v_or_b32_e32 v0, 0x7b, v4
	buffer_store_dword v0, off, s[0:3], s33 offset:80 ; 4-byte Folded Spill
.LBB4_192:                              ;   in Loop: Header=BB4_127 Depth=2
	s_or_b64 exec, exec, s[20:21]
                                        ; implicit-def: $vgpr0
.LBB4_193:                              ;   in Loop: Header=BB4_127 Depth=2
	s_andn2_saveexec_b64 s[20:21], s[78:79]
	s_cbranch_execz .LBB4_199
; %bb.194:                              ;   in Loop: Header=BB4_127 Depth=2
	v_cmp_ne_u64_e32 vcc, 0, v[34:35]
                                        ; implicit-def: $vgpr1
                                        ; kill: killed $vgpr1
	s_and_saveexec_b64 s[78:79], vcc
	s_xor_b64 s[78:79], exec, s[78:79]
	s_cbranch_execz .LBB4_196
; %bb.195:                              ;   in Loop: Header=BB4_127 Depth=2
	v_or_b32_sdwa v0, v0, s65 dst_sel:DWORD dst_unused:UNUSED_PAD src0_sel:BYTE_3 src1_sel:DWORD
	buffer_store_dword v0, off, s[0:3], s33 offset:80 ; 4-byte Folded Spill
                                        ; implicit-def: $vgpr0
.LBB4_196:                              ;   in Loop: Header=BB4_127 Depth=2
	s_andn2_saveexec_b64 s[78:79], s[78:79]
	s_cbranch_execz .LBB4_198
; %bb.197:                              ;   in Loop: Header=BB4_127 Depth=2
	v_cmp_lt_i32_e32 vcc, -1, v0
	v_bfrev_b32_e32 v0, 0.5
	v_mov_b32_e32 v1, 0x7c
	v_cndmask_b32_e32 v0, v0, v1, vcc
	buffer_store_dword v0, off, s[0:3], s33 offset:80 ; 4-byte Folded Spill
.LBB4_198:                              ;   in Loop: Header=BB4_127 Depth=2
	s_or_b64 exec, exec, s[78:79]
.LBB4_199:                              ;   in Loop: Header=BB4_127 Depth=2
	s_or_b64 exec, exec, s[20:21]
	v_lshrrev_b32_e32 v0, 16, v22
	v_cmp_ne_u16_sdwa s[78:79], v0, v35 src0_sel:BYTE_0 src1_sel:DWORD
	v_mov_b32_e32 v1, 0
	v_mov_b32_e32 v2, 0
	s_and_saveexec_b64 s[20:21], s[78:79]
	s_cbranch_execz .LBB4_207
; %bb.200:                              ;   in Loop: Header=BB4_127 Depth=2
	v_cmp_ne_u16_sdwa s[88:89], v0, s55 src0_sel:BYTE_0 src1_sel:DWORD
	v_bfrev_b32_e32 v2, 1
	s_and_saveexec_b64 s[78:79], s[88:89]
	s_cbranch_execz .LBB4_206
; %bb.201:                              ;   in Loop: Header=BB4_127 Depth=2
	v_and_b32_e32 v2, 0x7c0000, v22
	v_bfe_u32 v4, v22, 16, 2
	v_cmp_ne_u32_e32 vcc, s66, v2
                                        ; implicit-def: $vgpr2
	s_and_saveexec_b64 s[88:89], vcc
	s_xor_b64 s[88:89], exec, s[88:89]
	s_cbranch_execz .LBB4_203
; %bb.202:                              ;   in Loop: Header=BB4_127 Depth=2
	v_ffbh_u32_e32 v26, v4
	v_min_u32_e32 v26, 32, v26
	v_subrev_u32_e32 v27, 29, v26
	v_lshlrev_b64 v[28:29], v27, v[0:1]
	v_bfe_u32 v2, v22, 18, 5
	v_sub_u32_e32 v0, 30, v26
	v_and_b32_e32 v26, 3, v28
	v_cmp_eq_u32_e32 vcc, 0, v2
	v_cndmask_b32_e32 v0, v2, v0, vcc
	v_cndmask_b32_e32 v2, v4, v26, vcc
	v_lshlrev_b32_e32 v4, 8, v22
	v_and_b32_e32 v4, 0x80000000, v4
	v_lshl_add_u32 v0, v0, 23, v4
	v_lshl_or_b32 v0, v2, 21, v0
	v_add_u32_e32 v2, 0x38000000, v0
                                        ; implicit-def: $vgpr4
                                        ; implicit-def: $vgpr0
.LBB4_203:                              ;   in Loop: Header=BB4_127 Depth=2
	s_andn2_saveexec_b64 s[88:89], s[88:89]
; %bb.204:                              ;   in Loop: Header=BB4_127 Depth=2
	v_mov_b32_e32 v2, -1
	v_cmp_gt_i16_sdwa vcc, sext(v0), v2 src0_sel:BYTE_0 src1_sel:DWORD
	v_cndmask_b32_e32 v0, v5, v36, vcc
	v_cmp_eq_u32_e32 vcc, 0, v4
	v_cndmask_b32_e32 v2, v37, v0, vcc
; %bb.205:                              ;   in Loop: Header=BB4_127 Depth=2
	s_or_b64 exec, exec, s[88:89]
.LBB4_206:                              ;   in Loop: Header=BB4_127 Depth=2
	s_or_b64 exec, exec, s[78:79]
.LBB4_207:                              ;   in Loop: Header=BB4_127 Depth=2
	s_or_b64 exec, exec, s[20:21]
	v_lshrrev_b32_e32 v0, 16, v18
	v_cmp_ne_u16_sdwa s[78:79], v0, v35 src0_sel:BYTE_0 src1_sel:DWORD
	s_and_saveexec_b64 s[20:21], s[78:79]
	s_cbranch_execz .LBB4_215
; %bb.208:                              ;   in Loop: Header=BB4_127 Depth=2
	v_cmp_ne_u16_sdwa s[88:89], v0, s55 src0_sel:BYTE_0 src1_sel:DWORD
	v_bfrev_b32_e32 v1, 1
	s_and_saveexec_b64 s[78:79], s[88:89]
	s_cbranch_execz .LBB4_214
; %bb.209:                              ;   in Loop: Header=BB4_127 Depth=2
	v_and_b32_e32 v1, 0x7c0000, v18
	v_bfe_u32 v4, v18, 16, 2
	v_cmp_ne_u32_e32 vcc, s66, v1
                                        ; implicit-def: $vgpr1
	s_and_saveexec_b64 s[88:89], vcc
	s_xor_b64 s[88:89], exec, s[88:89]
	s_cbranch_execz .LBB4_211
; %bb.210:                              ;   in Loop: Header=BB4_127 Depth=2
	v_ffbh_u32_e32 v1, v4
	v_min_u32_e32 v27, 32, v1
	v_subrev_u32_e32 v1, 29, v27
	v_lshlrev_b64 v[0:1], v1, v[0:1]
	v_bfe_u32 v26, v18, 18, 5
	v_and_b32_e32 v0, 3, v0
	v_cmp_eq_u32_e32 vcc, 0, v26
	v_sub_u32_e32 v1, 30, v27
	v_cndmask_b32_e32 v0, v4, v0, vcc
	v_lshlrev_b32_e32 v4, 8, v18
	v_cndmask_b32_e32 v1, v26, v1, vcc
	v_and_b32_e32 v4, 0x80000000, v4
	v_lshl_add_u32 v1, v1, 23, v4
	v_lshl_or_b32 v0, v0, 21, v1
	v_add_u32_e32 v1, 0x38000000, v0
                                        ; implicit-def: $vgpr4
                                        ; implicit-def: $vgpr0
.LBB4_211:                              ;   in Loop: Header=BB4_127 Depth=2
	s_andn2_saveexec_b64 s[88:89], s[88:89]
; %bb.212:                              ;   in Loop: Header=BB4_127 Depth=2
	v_mov_b32_e32 v1, -1
	v_cmp_gt_i16_sdwa vcc, sext(v0), v1 src0_sel:BYTE_0 src1_sel:DWORD
	v_cndmask_b32_e32 v0, v5, v36, vcc
	v_cmp_eq_u32_e32 vcc, 0, v4
	v_cndmask_b32_e32 v1, v37, v0, vcc
; %bb.213:                              ;   in Loop: Header=BB4_127 Depth=2
	s_or_b64 exec, exec, s[88:89]
.LBB4_214:                              ;   in Loop: Header=BB4_127 Depth=2
	s_or_b64 exec, exec, s[78:79]
.LBB4_215:                              ;   in Loop: Header=BB4_127 Depth=2
	s_or_b64 exec, exec, s[20:21]
	v_mul_f32_e32 v0, v2, v1
	v_and_b32_e32 v1, 0x7f800000, v0
	v_mov_b32_e32 v2, v35
	v_cmp_ne_u64_e32 vcc, s[60:61], v[1:2]
	v_and_b32_e32 v34, 0x7fffff, v0
                                        ; implicit-def: $vgpr28
	s_and_saveexec_b64 s[20:21], vcc
	s_xor_b64 s[78:79], exec, s[20:21]
	s_cbranch_execz .LBB4_229
; %bb.216:                              ;   in Loop: Header=BB4_127 Depth=2
	v_and_b32_e32 v1, 0x7fffffff, v0
	v_mov_b32_e32 v2, v35
	v_cmp_gt_u64_e32 vcc, s[62:63], v[1:2]
	v_and_b32_sdwa v4, v0, s55 dst_sel:DWORD dst_unused:UNUSED_PAD src0_sel:BYTE_3 src1_sel:DWORD
                                        ; implicit-def: $vgpr28
	s_and_saveexec_b64 s[20:21], vcc
	s_xor_b64 s[88:89], exec, s[20:21]
	s_cbranch_execz .LBB4_226
; %bb.217:                              ;   in Loop: Header=BB4_127 Depth=2
	v_mov_b32_e32 v28, 0
	v_cmp_ne_u32_e32 vcc, 0, v0
	s_and_saveexec_b64 s[90:91], vcc
	s_cbranch_execz .LBB4_225
; %bb.218:                              ;   in Loop: Header=BB4_127 Depth=2
	v_bfe_u32 v28, v0, 23, 8
	v_cmp_gt_u32_e64 s[20:21], s64, v28
	v_sub_u32_e32 v0, 0x71, v28
	v_cmp_eq_u32_e32 vcc, 0, v28
	v_cndmask_b32_e64 v0, 0, v0, s[20:21]
	v_mov_b32_e32 v2, 0x70
	v_cndmask_b32_e32 v29, v0, v2, vcc
	v_or_b32_e32 v1, 0x800000, v34
	v_add_u32_e32 v0, 21, v29
	v_cndmask_b32_e32 v34, v1, v34, vcc
	v_lshlrev_b64 v[0:1], v0, -1
	v_add_u32_e32 v2, 20, v29
	v_lshlrev_b64 v[30:31], v2, 1
	v_bfi_b32 v1, v1, 0, 0
	v_bfi_b32 v0, v0, 0, v34
	v_cmp_eq_u64_e64 s[20:21], v[0:1], v[30:31]
	v_lshrrev_b64 v[0:1], v29, v[34:35]
	v_mov_b32_e32 v2, v1
	v_mov_b32_e32 v1, v0
	s_and_saveexec_b64 s[92:93], s[20:21]
; %bb.219:                              ;   in Loop: Header=BB4_127 Depth=2
	v_bfe_u32 v1, v0, 21, 1
	v_add_co_u32_e64 v1, s[20:21], v0, v1
	v_add_co_u32_e64 v1, s[20:21], -1, v1
; %bb.220:                              ;   in Loop: Header=BB4_127 Depth=2
	s_or_b64 exec, exec, s[92:93]
	v_add_u32_e32 v2, 0xffffff81, v28
	v_mov_b32_e32 v26, 0xffffff82
	v_cndmask_b32_e32 v2, v2, v26, vcc
	v_lshrrev_b32_e32 v26, 23, v0
	v_add3_u32 v29, v29, v2, v26
	v_add_u32_e32 v28, 14, v29
	v_and_b32_e32 v1, 0x1fffff, v1
	v_add_u32_e32 v34, v1, v0
	v_cmp_ne_u32_e32 vcc, 0, v28
                                        ; implicit-def: $vgpr0_vgpr1
                                        ; implicit-def: $vgpr2
	s_and_saveexec_b64 s[20:21], vcc
	s_xor_b64 s[20:21], exec, s[20:21]
; %bb.221:                              ;   in Loop: Header=BB4_127 Depth=2
	v_cmp_lt_u64_e32 vcc, s[72:73], v[34:35]
	v_add_u32_e32 v0, 15, v29
	v_cndmask_b32_e32 v2, v28, v0, vcc
	v_cndmask_b32_e64 v0, 0, 1, vcc
	v_lshrrev_b64 v[0:1], v0, v[34:35]
; %bb.222:                              ;   in Loop: Header=BB4_127 Depth=2
	s_andn2_saveexec_b64 s[20:21], s[20:21]
; %bb.223:                              ;   in Loop: Header=BB4_127 Depth=2
	v_mov_b32_e32 v0, v34
	v_bfe_u32 v2, v34, 23, 1
	v_mov_b32_e32 v1, v35
; %bb.224:                              ;   in Loop: Header=BB4_127 Depth=2
	s_or_b64 exec, exec, s[20:21]
	v_lshrrev_b64 v[0:1], 21, v[0:1]
	v_cmp_gt_i32_e32 vcc, 32, v2
	v_cndmask_b32_e32 v1, 0, v1, vcc
	v_cndmask_b32_e32 v0, 3, v0, vcc
	v_cmp_eq_u64_e64 s[20:21], 0, v[0:1]
	v_min_i32_e32 v1, 31, v2
	v_lshlrev_b32_e32 v1, 2, v1
	v_cmp_eq_u32_e32 vcc, 0, v2
	v_and_b32_e32 v1, 0xfc, v1
	v_and_or_b32 v0, v0, 3, v1
	s_and_b64 s[20:21], vcc, s[20:21]
	v_cndmask_b32_e64 v0, v0, 0, s[20:21]
	v_or_b32_e32 v28, v0, v4
.LBB4_225:                              ;   in Loop: Header=BB4_127 Depth=2
	s_or_b64 exec, exec, s[90:91]
                                        ; implicit-def: $vgpr4
.LBB4_226:                              ;   in Loop: Header=BB4_127 Depth=2
	s_andn2_saveexec_b64 s[20:21], s[88:89]
; %bb.227:                              ;   in Loop: Header=BB4_127 Depth=2
	v_or_b32_e32 v28, 0x7b, v4
; %bb.228:                              ;   in Loop: Header=BB4_127 Depth=2
	s_or_b64 exec, exec, s[20:21]
                                        ; implicit-def: $vgpr0
.LBB4_229:                              ;   in Loop: Header=BB4_127 Depth=2
	s_andn2_saveexec_b64 s[20:21], s[78:79]
	s_cbranch_execz .LBB4_235
; %bb.230:                              ;   in Loop: Header=BB4_127 Depth=2
	v_cmp_ne_u64_e32 vcc, 0, v[34:35]
                                        ; implicit-def: $vgpr28
	s_and_saveexec_b64 s[78:79], vcc
	s_xor_b64 s[78:79], exec, s[78:79]
; %bb.231:                              ;   in Loop: Header=BB4_127 Depth=2
	v_or_b32_sdwa v28, v0, s65 dst_sel:DWORD dst_unused:UNUSED_PAD src0_sel:BYTE_3 src1_sel:DWORD
                                        ; implicit-def: $vgpr0
; %bb.232:                              ;   in Loop: Header=BB4_127 Depth=2
	s_andn2_saveexec_b64 s[78:79], s[78:79]
; %bb.233:                              ;   in Loop: Header=BB4_127 Depth=2
	v_cmp_lt_i32_e32 vcc, -1, v0
	v_bfrev_b32_e32 v0, 0.5
	v_mov_b32_e32 v1, 0x7c
	v_cndmask_b32_e32 v28, v0, v1, vcc
; %bb.234:                              ;   in Loop: Header=BB4_127 Depth=2
	s_or_b64 exec, exec, s[78:79]
.LBB4_235:                              ;   in Loop: Header=BB4_127 Depth=2
	s_or_b64 exec, exec, s[20:21]
	v_cmp_lt_u32_e32 vcc, s59, v22
	v_mov_b32_e32 v1, 0
	v_mov_b32_e32 v2, 0
	s_and_saveexec_b64 s[20:21], vcc
	s_cbranch_execz .LBB4_243
; %bb.236:                              ;   in Loop: Header=BB4_127 Depth=2
	v_lshrrev_b32_e32 v0, 24, v22
	v_cmp_ne_u32_e32 vcc, s55, v0
	v_bfrev_b32_e32 v2, 1
	s_and_saveexec_b64 s[78:79], vcc
	s_cbranch_execz .LBB4_242
; %bb.237:                              ;   in Loop: Header=BB4_127 Depth=2
	v_and_b32_e32 v2, 0x7c000000, v22
	v_bfe_u32 v4, v22, 24, 2
	v_cmp_ne_u32_e32 vcc, s67, v2
                                        ; implicit-def: $vgpr2
	s_and_saveexec_b64 s[88:89], vcc
	s_xor_b64 s[88:89], exec, s[88:89]
	s_cbranch_execz .LBB4_239
; %bb.238:                              ;   in Loop: Header=BB4_127 Depth=2
	v_ffbh_u32_e32 v26, v4
	v_min_u32_e32 v26, 32, v26
	v_subrev_u32_e32 v27, 29, v26
	v_lshlrev_b64 v[29:30], v27, v[0:1]
	v_bfe_u32 v2, v22, 26, 5
	v_sub_u32_e32 v0, 30, v26
	v_and_b32_e32 v26, 3, v29
	v_cmp_eq_u32_e32 vcc, 0, v2
	v_cndmask_b32_e32 v0, v2, v0, vcc
	v_cndmask_b32_e32 v2, v4, v26, vcc
	v_and_b32_e32 v4, 0x80000000, v22
	v_lshl_add_u32 v0, v0, 23, v4
	v_lshl_or_b32 v0, v2, 21, v0
	v_add_u32_e32 v2, 0x38000000, v0
                                        ; implicit-def: $vgpr4
.LBB4_239:                              ;   in Loop: Header=BB4_127 Depth=2
	s_andn2_saveexec_b64 s[88:89], s[88:89]
; %bb.240:                              ;   in Loop: Header=BB4_127 Depth=2
	v_cmp_lt_i32_e32 vcc, -1, v22
	v_cndmask_b32_e32 v0, v5, v36, vcc
	v_cmp_eq_u32_e32 vcc, 0, v4
	v_cndmask_b32_e32 v2, v37, v0, vcc
; %bb.241:                              ;   in Loop: Header=BB4_127 Depth=2
	s_or_b64 exec, exec, s[88:89]
.LBB4_242:                              ;   in Loop: Header=BB4_127 Depth=2
	s_or_b64 exec, exec, s[78:79]
.LBB4_243:                              ;   in Loop: Header=BB4_127 Depth=2
	s_or_b64 exec, exec, s[20:21]
	v_cmp_lt_u32_e32 vcc, s59, v18
	s_and_saveexec_b64 s[20:21], vcc
	s_cbranch_execz .LBB4_251
; %bb.244:                              ;   in Loop: Header=BB4_127 Depth=2
	v_lshrrev_b32_e32 v0, 24, v18
	v_cmp_ne_u32_e32 vcc, s55, v0
	v_bfrev_b32_e32 v1, 1
	s_and_saveexec_b64 s[78:79], vcc
	s_cbranch_execz .LBB4_250
; %bb.245:                              ;   in Loop: Header=BB4_127 Depth=2
	v_and_b32_e32 v1, 0x7c000000, v18
	v_bfe_u32 v4, v18, 24, 2
	v_cmp_ne_u32_e32 vcc, s67, v1
                                        ; implicit-def: $vgpr1
	s_and_saveexec_b64 s[88:89], vcc
	s_xor_b64 s[88:89], exec, s[88:89]
	s_cbranch_execz .LBB4_247
; %bb.246:                              ;   in Loop: Header=BB4_127 Depth=2
	v_ffbh_u32_e32 v1, v4
	v_min_u32_e32 v27, 32, v1
	v_subrev_u32_e32 v1, 29, v27
	v_lshlrev_b64 v[0:1], v1, v[0:1]
	v_bfe_u32 v26, v18, 26, 5
	v_sub_u32_e32 v1, 30, v27
	v_and_b32_e32 v0, 3, v0
	v_cmp_eq_u32_e32 vcc, 0, v26
	v_cndmask_b32_e32 v1, v26, v1, vcc
	v_cndmask_b32_e32 v0, v4, v0, vcc
	v_and_b32_e32 v4, 0x80000000, v18
	v_lshl_add_u32 v1, v1, 23, v4
	v_lshl_or_b32 v0, v0, 21, v1
	v_add_u32_e32 v1, 0x38000000, v0
                                        ; implicit-def: $vgpr4
.LBB4_247:                              ;   in Loop: Header=BB4_127 Depth=2
	s_andn2_saveexec_b64 s[88:89], s[88:89]
; %bb.248:                              ;   in Loop: Header=BB4_127 Depth=2
	v_cmp_lt_i32_e32 vcc, -1, v18
	v_cndmask_b32_e32 v0, v5, v36, vcc
	v_cmp_eq_u32_e32 vcc, 0, v4
	v_cndmask_b32_e32 v1, v37, v0, vcc
; %bb.249:                              ;   in Loop: Header=BB4_127 Depth=2
	s_or_b64 exec, exec, s[88:89]
.LBB4_250:                              ;   in Loop: Header=BB4_127 Depth=2
	s_or_b64 exec, exec, s[78:79]
.LBB4_251:                              ;   in Loop: Header=BB4_127 Depth=2
	s_or_b64 exec, exec, s[20:21]
	v_mul_f32_e32 v0, v2, v1
	v_and_b32_e32 v1, 0x7f800000, v0
	v_mov_b32_e32 v2, v35
	v_cmp_ne_u64_e32 vcc, s[60:61], v[1:2]
	v_and_b32_e32 v34, 0x7fffff, v0
                                        ; implicit-def: $vgpr29
	s_and_saveexec_b64 s[20:21], vcc
	s_xor_b64 s[78:79], exec, s[20:21]
	s_cbranch_execz .LBB4_265
; %bb.252:                              ;   in Loop: Header=BB4_127 Depth=2
	v_and_b32_e32 v1, 0x7fffffff, v0
	v_mov_b32_e32 v2, v35
	v_cmp_gt_u64_e32 vcc, s[62:63], v[1:2]
	v_and_b32_sdwa v4, v0, s55 dst_sel:DWORD dst_unused:UNUSED_PAD src0_sel:BYTE_3 src1_sel:DWORD
                                        ; implicit-def: $vgpr29
	s_and_saveexec_b64 s[20:21], vcc
	s_xor_b64 s[88:89], exec, s[20:21]
	s_cbranch_execz .LBB4_262
; %bb.253:                              ;   in Loop: Header=BB4_127 Depth=2
	v_mov_b32_e32 v29, 0
	v_cmp_ne_u32_e32 vcc, 0, v0
	s_and_saveexec_b64 s[90:91], vcc
	s_cbranch_execz .LBB4_261
; %bb.254:                              ;   in Loop: Header=BB4_127 Depth=2
	v_bfe_u32 v29, v0, 23, 8
	v_cmp_gt_u32_e64 s[20:21], s64, v29
	v_sub_u32_e32 v0, 0x71, v29
	v_cmp_eq_u32_e32 vcc, 0, v29
	v_cndmask_b32_e64 v0, 0, v0, s[20:21]
	v_mov_b32_e32 v2, 0x70
	v_cndmask_b32_e32 v30, v0, v2, vcc
	v_or_b32_e32 v1, 0x800000, v34
	v_add_u32_e32 v0, 21, v30
	v_cndmask_b32_e32 v34, v1, v34, vcc
	v_lshlrev_b64 v[0:1], v0, -1
	v_add_u32_e32 v2, 20, v30
	v_lshlrev_b64 v[48:49], v2, 1
	v_bfi_b32 v1, v1, 0, 0
	v_bfi_b32 v0, v0, 0, v34
	v_cmp_eq_u64_e64 s[20:21], v[0:1], v[48:49]
	v_lshrrev_b64 v[0:1], v30, v[34:35]
	v_mov_b32_e32 v2, v1
	v_mov_b32_e32 v1, v0
	s_and_saveexec_b64 s[92:93], s[20:21]
; %bb.255:                              ;   in Loop: Header=BB4_127 Depth=2
	v_bfe_u32 v1, v0, 21, 1
	v_add_co_u32_e64 v1, s[20:21], v0, v1
	v_add_co_u32_e64 v1, s[20:21], -1, v1
; %bb.256:                              ;   in Loop: Header=BB4_127 Depth=2
	s_or_b64 exec, exec, s[92:93]
	v_add_u32_e32 v2, 0xffffff81, v29
	v_mov_b32_e32 v26, 0xffffff82
	v_cndmask_b32_e32 v2, v2, v26, vcc
	v_lshrrev_b32_e32 v26, 23, v0
	v_add3_u32 v30, v30, v2, v26
	v_add_u32_e32 v29, 14, v30
	v_and_b32_e32 v1, 0x1fffff, v1
	v_add_u32_e32 v34, v1, v0
	v_cmp_ne_u32_e32 vcc, 0, v29
                                        ; implicit-def: $vgpr0_vgpr1
                                        ; implicit-def: $vgpr2
	s_and_saveexec_b64 s[20:21], vcc
	s_xor_b64 s[20:21], exec, s[20:21]
; %bb.257:                              ;   in Loop: Header=BB4_127 Depth=2
	v_cmp_lt_u64_e32 vcc, s[72:73], v[34:35]
	v_add_u32_e32 v0, 15, v30
	v_cndmask_b32_e32 v2, v29, v0, vcc
	v_cndmask_b32_e64 v0, 0, 1, vcc
	v_lshrrev_b64 v[0:1], v0, v[34:35]
; %bb.258:                              ;   in Loop: Header=BB4_127 Depth=2
	s_andn2_saveexec_b64 s[20:21], s[20:21]
; %bb.259:                              ;   in Loop: Header=BB4_127 Depth=2
	v_mov_b32_e32 v0, v34
	v_bfe_u32 v2, v34, 23, 1
	v_mov_b32_e32 v1, v35
; %bb.260:                              ;   in Loop: Header=BB4_127 Depth=2
	s_or_b64 exec, exec, s[20:21]
	v_lshrrev_b64 v[0:1], 21, v[0:1]
	v_cmp_gt_i32_e32 vcc, 32, v2
	v_cndmask_b32_e32 v1, 0, v1, vcc
	v_cndmask_b32_e32 v0, 3, v0, vcc
	v_cmp_eq_u64_e64 s[20:21], 0, v[0:1]
	v_min_i32_e32 v1, 31, v2
	v_lshlrev_b32_e32 v1, 2, v1
	v_cmp_eq_u32_e32 vcc, 0, v2
	v_and_b32_e32 v1, 0xfc, v1
	v_and_or_b32 v0, v0, 3, v1
	s_and_b64 s[20:21], vcc, s[20:21]
	v_cndmask_b32_e64 v0, v0, 0, s[20:21]
	v_or_b32_e32 v29, v0, v4
.LBB4_261:                              ;   in Loop: Header=BB4_127 Depth=2
	s_or_b64 exec, exec, s[90:91]
                                        ; implicit-def: $vgpr4
.LBB4_262:                              ;   in Loop: Header=BB4_127 Depth=2
	s_andn2_saveexec_b64 s[20:21], s[88:89]
; %bb.263:                              ;   in Loop: Header=BB4_127 Depth=2
	v_or_b32_e32 v29, 0x7b, v4
; %bb.264:                              ;   in Loop: Header=BB4_127 Depth=2
	s_or_b64 exec, exec, s[20:21]
                                        ; implicit-def: $vgpr0
.LBB4_265:                              ;   in Loop: Header=BB4_127 Depth=2
	s_andn2_saveexec_b64 s[20:21], s[78:79]
	s_cbranch_execz .LBB4_271
; %bb.266:                              ;   in Loop: Header=BB4_127 Depth=2
	v_cmp_ne_u64_e32 vcc, 0, v[34:35]
                                        ; implicit-def: $vgpr29
	s_and_saveexec_b64 s[78:79], vcc
	s_xor_b64 s[78:79], exec, s[78:79]
; %bb.267:                              ;   in Loop: Header=BB4_127 Depth=2
	v_or_b32_sdwa v29, v0, s65 dst_sel:DWORD dst_unused:UNUSED_PAD src0_sel:BYTE_3 src1_sel:DWORD
                                        ; implicit-def: $vgpr0
; %bb.268:                              ;   in Loop: Header=BB4_127 Depth=2
	s_andn2_saveexec_b64 s[78:79], s[78:79]
; %bb.269:                              ;   in Loop: Header=BB4_127 Depth=2
	v_cmp_lt_i32_e32 vcc, -1, v0
	v_bfrev_b32_e32 v0, 0.5
	v_mov_b32_e32 v1, 0x7c
	v_cndmask_b32_e32 v29, v0, v1, vcc
; %bb.270:                              ;   in Loop: Header=BB4_127 Depth=2
	s_or_b64 exec, exec, s[78:79]
.LBB4_271:                              ;   in Loop: Header=BB4_127 Depth=2
	s_or_b64 exec, exec, s[20:21]
	v_mov_b32_e32 v34, v23
	v_cmp_ne_u16_sdwa s[78:79], v23, v35 src0_sel:BYTE_0 src1_sel:DWORD
	v_mov_b32_e32 v1, 0
	v_mov_b32_e32 v0, 0
	s_and_saveexec_b64 s[20:21], s[78:79]
	s_cbranch_execz .LBB4_279
; %bb.272:                              ;   in Loop: Header=BB4_127 Depth=2
	v_cmp_ne_u16_sdwa s[88:89], v23, s55 src0_sel:BYTE_0 src1_sel:DWORD
	v_bfrev_b32_e32 v0, 1
	s_and_saveexec_b64 s[78:79], s[88:89]
	s_cbranch_execz .LBB4_278
; %bb.273:                              ;   in Loop: Header=BB4_127 Depth=2
	v_and_b32_e32 v0, 0x7c, v23
	v_and_b32_e32 v2, 3, v23
	v_cmp_ne_u32_e32 vcc, s53, v0
                                        ; implicit-def: $vgpr0
	s_and_saveexec_b64 s[88:89], vcc
	s_xor_b64 s[88:89], exec, s[88:89]
	s_cbranch_execz .LBB4_275
; %bb.274:                              ;   in Loop: Header=BB4_127 Depth=2
	v_ffbh_u32_e32 v4, v2
	v_min_u32_e32 v4, 32, v4
	v_bfe_u32 v0, v23, 2, 5
	v_subrev_u32_e32 v26, 29, v4
	v_lshlrev_b64 v[30:31], v26, v[34:35]
	v_sub_u32_e32 v4, 30, v4
	v_cmp_eq_u32_e32 vcc, 0, v0
	v_cndmask_b32_e32 v0, v0, v4, vcc
	v_lshlrev_b32_e32 v4, 24, v23
	v_and_b32_e32 v26, 3, v30
	v_and_b32_e32 v4, 0x80000000, v4
	v_cndmask_b32_e32 v2, v2, v26, vcc
	v_lshl_add_u32 v0, v0, 23, v4
	v_lshl_or_b32 v0, v2, 21, v0
	v_add_u32_e32 v0, 0x38000000, v0
                                        ; implicit-def: $vgpr2
.LBB4_275:                              ;   in Loop: Header=BB4_127 Depth=2
	s_andn2_saveexec_b64 s[88:89], s[88:89]
; %bb.276:                              ;   in Loop: Header=BB4_127 Depth=2
	v_mov_b32_e32 v0, -1
	v_cmp_gt_i16_sdwa vcc, sext(v23), v0 src0_sel:BYTE_0 src1_sel:DWORD
	v_cndmask_b32_e32 v0, v5, v36, vcc
	v_cmp_eq_u32_e32 vcc, 0, v2
	v_cndmask_b32_e32 v0, v37, v0, vcc
; %bb.277:                              ;   in Loop: Header=BB4_127 Depth=2
	s_or_b64 exec, exec, s[88:89]
.LBB4_278:                              ;   in Loop: Header=BB4_127 Depth=2
	s_or_b64 exec, exec, s[78:79]
.LBB4_279:                              ;   in Loop: Header=BB4_127 Depth=2
	s_or_b64 exec, exec, s[20:21]
	v_cmp_ne_u16_sdwa s[78:79], v19, v35 src0_sel:BYTE_0 src1_sel:DWORD
	s_and_saveexec_b64 s[20:21], s[78:79]
	s_cbranch_execz .LBB4_287
; %bb.280:                              ;   in Loop: Header=BB4_127 Depth=2
	v_cmp_ne_u16_sdwa s[88:89], v19, s55 src0_sel:BYTE_0 src1_sel:DWORD
	v_bfrev_b32_e32 v1, 1
	s_and_saveexec_b64 s[78:79], s[88:89]
	s_cbranch_execz .LBB4_286
; %bb.281:                              ;   in Loop: Header=BB4_127 Depth=2
	v_and_b32_e32 v1, 0x7c, v19
	v_and_b32_e32 v2, 3, v19
	v_cmp_ne_u32_e32 vcc, s53, v1
                                        ; implicit-def: $vgpr1
	s_and_saveexec_b64 s[88:89], vcc
	s_xor_b64 s[88:89], exec, s[88:89]
	s_cbranch_execz .LBB4_283
; %bb.282:                              ;   in Loop: Header=BB4_127 Depth=2
	v_ffbh_u32_e32 v4, v2
	v_min_u32_e32 v4, 32, v4
	v_mov_b32_e32 v30, v19
	v_mov_b32_e32 v31, v35
	v_bfe_u32 v1, v19, 2, 5
	v_subrev_u32_e32 v26, 29, v4
	v_lshlrev_b64 v[30:31], v26, v[30:31]
	v_sub_u32_e32 v4, 30, v4
	v_cmp_eq_u32_e32 vcc, 0, v1
	v_cndmask_b32_e32 v1, v1, v4, vcc
	v_lshlrev_b32_e32 v4, 24, v19
	v_and_b32_e32 v26, 3, v30
	v_and_b32_e32 v4, 0x80000000, v4
	v_cndmask_b32_e32 v2, v2, v26, vcc
	v_lshl_add_u32 v1, v1, 23, v4
	v_lshl_or_b32 v1, v2, 21, v1
	v_add_u32_e32 v1, 0x38000000, v1
                                        ; implicit-def: $vgpr2
.LBB4_283:                              ;   in Loop: Header=BB4_127 Depth=2
	s_andn2_saveexec_b64 s[88:89], s[88:89]
; %bb.284:                              ;   in Loop: Header=BB4_127 Depth=2
	v_mov_b32_e32 v1, -1
	v_cmp_gt_i16_sdwa vcc, sext(v19), v1 src0_sel:BYTE_0 src1_sel:DWORD
	v_cndmask_b32_e32 v1, v5, v36, vcc
	v_cmp_eq_u32_e32 vcc, 0, v2
	v_cndmask_b32_e32 v1, v37, v1, vcc
; %bb.285:                              ;   in Loop: Header=BB4_127 Depth=2
	s_or_b64 exec, exec, s[88:89]
.LBB4_286:                              ;   in Loop: Header=BB4_127 Depth=2
	s_or_b64 exec, exec, s[78:79]
.LBB4_287:                              ;   in Loop: Header=BB4_127 Depth=2
	s_or_b64 exec, exec, s[20:21]
	v_mul_f32_e32 v2, v0, v1
	v_and_b32_e32 v30, 0x7f800000, v2
	v_mov_b32_e32 v31, v35
	v_cmp_ne_u64_e32 vcc, s[60:61], v[30:31]
	v_and_b32_e32 v0, 0x7fffff, v2
	v_mov_b32_e32 v1, v35
                                        ; implicit-def: $vgpr30
	s_and_saveexec_b64 s[20:21], vcc
	s_xor_b64 s[78:79], exec, s[20:21]
	s_cbranch_execz .LBB4_301
; %bb.288:                              ;   in Loop: Header=BB4_127 Depth=2
	v_and_b32_e32 v30, 0x7fffffff, v2
	v_mov_b32_e32 v31, v35
	v_cmp_gt_u64_e32 vcc, s[62:63], v[30:31]
	v_and_b32_sdwa v4, v2, s55 dst_sel:DWORD dst_unused:UNUSED_PAD src0_sel:BYTE_3 src1_sel:DWORD
                                        ; implicit-def: $vgpr30
	s_and_saveexec_b64 s[20:21], vcc
	s_xor_b64 s[88:89], exec, s[20:21]
	s_cbranch_execz .LBB4_298
; %bb.289:                              ;   in Loop: Header=BB4_127 Depth=2
	v_mov_b32_e32 v30, 0
	v_cmp_ne_u32_e32 vcc, 0, v2
	s_and_saveexec_b64 s[90:91], vcc
	s_cbranch_execz .LBB4_297
; %bb.290:                              ;   in Loop: Header=BB4_127 Depth=2
	v_bfe_u32 v30, v2, 23, 8
	v_cmp_gt_u32_e64 s[20:21], s64, v30
	v_sub_u32_e32 v2, 0x71, v30
	v_cmp_eq_u32_e32 vcc, 0, v30
	v_cndmask_b32_e64 v2, 0, v2, s[20:21]
	v_mov_b32_e32 v27, 0x70
	v_cndmask_b32_e32 v31, v2, v27, vcc
	v_add_u32_e32 v2, 21, v31
	v_or_b32_e32 v26, 0x800000, v0
	v_lshlrev_b64 v[48:49], v2, -1
	v_cndmask_b32_e32 v0, v26, v0, vcc
	v_add_u32_e32 v2, 20, v31
	v_bfi_b32 v48, v48, 0, v0
	v_lshlrev_b64 v[50:51], v2, 1
	v_lshrrev_b64 v[0:1], v31, v[0:1]
	v_bfi_b32 v49, v49, 0, 0
	v_cmp_eq_u64_e64 s[20:21], v[48:49], v[50:51]
	v_mov_b32_e32 v2, v1
	v_mov_b32_e32 v1, v0
	s_and_saveexec_b64 s[92:93], s[20:21]
; %bb.291:                              ;   in Loop: Header=BB4_127 Depth=2
	v_bfe_u32 v1, v0, 21, 1
	v_add_co_u32_e64 v1, s[20:21], v0, v1
	v_add_co_u32_e64 v1, s[20:21], -1, v1
; %bb.292:                              ;   in Loop: Header=BB4_127 Depth=2
	s_or_b64 exec, exec, s[92:93]
	v_add_u32_e32 v2, 0xffffff81, v30
	v_mov_b32_e32 v26, 0xffffff82
	v_cndmask_b32_e32 v2, v2, v26, vcc
	v_lshrrev_b32_e32 v26, 23, v0
	v_add3_u32 v31, v31, v2, v26
	v_add_u32_e32 v30, 14, v31
	v_and_b32_e32 v1, 0x1fffff, v1
	v_add_u32_e32 v0, v1, v0
	v_mov_b32_e32 v1, v35
	v_cmp_ne_u32_e32 vcc, 0, v30
                                        ; implicit-def: $vgpr2
	s_and_saveexec_b64 s[20:21], vcc
	s_xor_b64 s[20:21], exec, s[20:21]
; %bb.293:                              ;   in Loop: Header=BB4_127 Depth=2
	v_cmp_lt_u64_e32 vcc, s[72:73], v[0:1]
	v_add_u32_e32 v2, 15, v31
	v_cndmask_b32_e64 v26, 0, 1, vcc
	v_cndmask_b32_e32 v2, v30, v2, vcc
	v_lshrrev_b64 v[0:1], v26, v[0:1]
; %bb.294:                              ;   in Loop: Header=BB4_127 Depth=2
	s_andn2_saveexec_b64 s[20:21], s[20:21]
; %bb.295:                              ;   in Loop: Header=BB4_127 Depth=2
	v_bfe_u32 v2, v0, 23, 1
; %bb.296:                              ;   in Loop: Header=BB4_127 Depth=2
	s_or_b64 exec, exec, s[20:21]
	v_lshrrev_b64 v[0:1], 21, v[0:1]
	v_cmp_gt_i32_e32 vcc, 32, v2
	v_cndmask_b32_e32 v1, 0, v1, vcc
	v_cndmask_b32_e32 v0, 3, v0, vcc
	v_cmp_eq_u64_e64 s[20:21], 0, v[0:1]
	v_min_i32_e32 v1, 31, v2
	v_lshlrev_b32_e32 v1, 2, v1
	v_cmp_eq_u32_e32 vcc, 0, v2
	v_and_b32_e32 v1, 0xfc, v1
	v_and_or_b32 v0, v0, 3, v1
	s_and_b64 s[20:21], vcc, s[20:21]
	v_cndmask_b32_e64 v0, v0, 0, s[20:21]
	v_or_b32_e32 v30, v0, v4
.LBB4_297:                              ;   in Loop: Header=BB4_127 Depth=2
	s_or_b64 exec, exec, s[90:91]
                                        ; implicit-def: $vgpr4
.LBB4_298:                              ;   in Loop: Header=BB4_127 Depth=2
	s_andn2_saveexec_b64 s[20:21], s[88:89]
; %bb.299:                              ;   in Loop: Header=BB4_127 Depth=2
	v_or_b32_e32 v30, 0x7b, v4
; %bb.300:                              ;   in Loop: Header=BB4_127 Depth=2
	s_or_b64 exec, exec, s[20:21]
                                        ; implicit-def: $vgpr2
                                        ; implicit-def: $vgpr0_vgpr1
.LBB4_301:                              ;   in Loop: Header=BB4_127 Depth=2
	s_andn2_saveexec_b64 s[20:21], s[78:79]
	s_cbranch_execz .LBB4_307
; %bb.302:                              ;   in Loop: Header=BB4_127 Depth=2
	v_cmp_ne_u64_e32 vcc, 0, v[0:1]
                                        ; implicit-def: $vgpr30
	s_and_saveexec_b64 s[78:79], vcc
	s_xor_b64 s[78:79], exec, s[78:79]
; %bb.303:                              ;   in Loop: Header=BB4_127 Depth=2
	v_or_b32_sdwa v30, v2, s65 dst_sel:DWORD dst_unused:UNUSED_PAD src0_sel:BYTE_3 src1_sel:DWORD
                                        ; implicit-def: $vgpr2
; %bb.304:                              ;   in Loop: Header=BB4_127 Depth=2
	s_andn2_saveexec_b64 s[78:79], s[78:79]
; %bb.305:                              ;   in Loop: Header=BB4_127 Depth=2
	v_cmp_lt_i32_e32 vcc, -1, v2
	v_bfrev_b32_e32 v0, 0.5
	v_mov_b32_e32 v1, 0x7c
	v_cndmask_b32_e32 v30, v0, v1, vcc
; %bb.306:                              ;   in Loop: Header=BB4_127 Depth=2
	s_or_b64 exec, exec, s[78:79]
.LBB4_307:                              ;   in Loop: Header=BB4_127 Depth=2
	s_or_b64 exec, exec, s[20:21]
	v_lshrrev_b16_e32 v0, 8, v34
	v_cmp_ne_u16_e32 vcc, 0, v0
	v_mov_b32_e32 v2, 0
	v_mov_b32_e32 v1, 0
	s_and_saveexec_b64 s[20:21], vcc
	s_cbranch_execz .LBB4_315
; %bb.308:                              ;   in Loop: Header=BB4_127 Depth=2
	v_cmp_ne_u16_e32 vcc, s55, v0
	v_bfrev_b32_e32 v1, 1
	s_and_saveexec_b64 s[78:79], vcc
	s_cbranch_execz .LBB4_314
; %bb.309:                              ;   in Loop: Header=BB4_127 Depth=2
	v_and_b32_e32 v1, 0x7c, v0
	v_and_b32_e32 v4, 3, v0
	v_cmp_ne_u32_e32 vcc, s53, v1
                                        ; implicit-def: $vgpr1
	s_and_saveexec_b64 s[88:89], vcc
	s_xor_b64 s[88:89], exec, s[88:89]
	s_cbranch_execz .LBB4_311
; %bb.310:                              ;   in Loop: Header=BB4_127 Depth=2
	v_ffbh_u32_e32 v27, v4
	v_min_u32_e32 v27, 32, v27
	v_mov_b32_e32 v1, v35
	v_subrev_u32_e32 v31, 29, v27
	v_bfe_u32 v26, v0, 2, 5
	v_lshlrev_b64 v[0:1], v31, v[0:1]
	v_cmp_eq_u32_e32 vcc, 0, v26
	v_and_b32_e32 v0, 3, v0
	v_sub_u32_e32 v1, 30, v27
	v_cndmask_b32_e32 v0, v4, v0, vcc
	v_lshlrev_b32_e32 v4, 16, v34
	v_cndmask_b32_e32 v1, v26, v1, vcc
	v_and_b32_e32 v4, 0x80000000, v4
	v_lshl_add_u32 v1, v1, 23, v4
	v_lshl_or_b32 v0, v0, 21, v1
	v_add_u32_e32 v1, 0x38000000, v0
                                        ; implicit-def: $vgpr4
.LBB4_311:                              ;   in Loop: Header=BB4_127 Depth=2
	s_andn2_saveexec_b64 s[88:89], s[88:89]
; %bb.312:                              ;   in Loop: Header=BB4_127 Depth=2
	v_cmp_lt_i16_e32 vcc, -1, v34
	v_cndmask_b32_e32 v0, v5, v36, vcc
	v_cmp_eq_u32_e32 vcc, 0, v4
	v_cndmask_b32_e32 v1, v37, v0, vcc
; %bb.313:                              ;   in Loop: Header=BB4_127 Depth=2
	s_or_b64 exec, exec, s[88:89]
.LBB4_314:                              ;   in Loop: Header=BB4_127 Depth=2
	s_or_b64 exec, exec, s[78:79]
.LBB4_315:                              ;   in Loop: Header=BB4_127 Depth=2
	s_or_b64 exec, exec, s[20:21]
	v_lshrrev_b16_e32 v34, 8, v19
	v_cmp_ne_u16_e32 vcc, 0, v34
	s_and_saveexec_b64 s[20:21], vcc
	s_cbranch_execz .LBB4_323
; %bb.316:                              ;   in Loop: Header=BB4_127 Depth=2
	v_cmp_ne_u16_e32 vcc, s55, v34
	v_bfrev_b32_e32 v2, 1
	s_and_saveexec_b64 s[78:79], vcc
	s_cbranch_execz .LBB4_322
; %bb.317:                              ;   in Loop: Header=BB4_127 Depth=2
	v_and_b32_e32 v2, 0x7c, v34
	v_and_b32_e32 v0, 3, v34
	v_cmp_ne_u32_e32 vcc, s53, v2
                                        ; implicit-def: $vgpr2
	s_and_saveexec_b64 s[88:89], vcc
	s_xor_b64 s[88:89], exec, s[88:89]
	s_cbranch_execz .LBB4_319
; %bb.318:                              ;   in Loop: Header=BB4_127 Depth=2
	v_ffbh_u32_e32 v4, v0
	v_min_u32_e32 v4, 32, v4
	v_bfe_u32 v2, v34, 2, 5
	v_subrev_u32_e32 v26, 29, v4
	v_lshlrev_b64 v[48:49], v26, v[34:35]
	v_sub_u32_e32 v4, 30, v4
	v_cmp_eq_u32_e32 vcc, 0, v2
	v_cndmask_b32_e32 v2, v2, v4, vcc
	v_lshlrev_b32_e32 v4, 16, v19
	v_and_b32_e32 v26, 3, v48
	v_and_b32_e32 v4, 0x80000000, v4
	v_cndmask_b32_e32 v0, v0, v26, vcc
	v_lshl_add_u32 v2, v2, 23, v4
	v_lshl_or_b32 v0, v0, 21, v2
	v_add_u32_e32 v2, 0x38000000, v0
                                        ; implicit-def: $vgpr0
.LBB4_319:                              ;   in Loop: Header=BB4_127 Depth=2
	s_andn2_saveexec_b64 s[88:89], s[88:89]
; %bb.320:                              ;   in Loop: Header=BB4_127 Depth=2
	v_cmp_lt_i16_e32 vcc, -1, v19
	v_cndmask_b32_e32 v2, v5, v36, vcc
	v_cmp_eq_u32_e32 vcc, 0, v0
	v_cndmask_b32_e32 v2, v37, v2, vcc
; %bb.321:                              ;   in Loop: Header=BB4_127 Depth=2
	s_or_b64 exec, exec, s[88:89]
.LBB4_322:                              ;   in Loop: Header=BB4_127 Depth=2
	s_or_b64 exec, exec, s[78:79]
.LBB4_323:                              ;   in Loop: Header=BB4_127 Depth=2
	s_or_b64 exec, exec, s[20:21]
	v_mul_f32_e32 v0, v1, v2
	v_and_b32_e32 v1, 0x7f800000, v0
	v_mov_b32_e32 v2, v35
	v_cmp_ne_u64_e32 vcc, s[60:61], v[1:2]
	v_and_b32_e32 v34, 0x7fffff, v0
                                        ; implicit-def: $vgpr31
	s_and_saveexec_b64 s[20:21], vcc
	s_xor_b64 s[78:79], exec, s[20:21]
	s_cbranch_execz .LBB4_337
; %bb.324:                              ;   in Loop: Header=BB4_127 Depth=2
	v_and_b32_e32 v1, 0x7fffffff, v0
	v_mov_b32_e32 v2, v35
	v_cmp_gt_u64_e32 vcc, s[62:63], v[1:2]
	v_and_b32_sdwa v4, v0, s55 dst_sel:DWORD dst_unused:UNUSED_PAD src0_sel:BYTE_3 src1_sel:DWORD
                                        ; implicit-def: $vgpr31
	s_and_saveexec_b64 s[20:21], vcc
	s_xor_b64 s[88:89], exec, s[20:21]
	s_cbranch_execz .LBB4_334
; %bb.325:                              ;   in Loop: Header=BB4_127 Depth=2
	v_mov_b32_e32 v31, 0
	v_cmp_ne_u32_e32 vcc, 0, v0
	s_and_saveexec_b64 s[90:91], vcc
	s_cbranch_execz .LBB4_333
; %bb.326:                              ;   in Loop: Header=BB4_127 Depth=2
	v_bfe_u32 v31, v0, 23, 8
	v_cmp_gt_u32_e64 s[20:21], s64, v31
	v_sub_u32_e32 v0, 0x71, v31
	v_cmp_eq_u32_e32 vcc, 0, v31
	v_cndmask_b32_e64 v0, 0, v0, s[20:21]
	v_mov_b32_e32 v2, 0x70
	v_cndmask_b32_e32 v48, v0, v2, vcc
	v_or_b32_e32 v1, 0x800000, v34
	v_add_u32_e32 v0, 21, v48
	v_cndmask_b32_e32 v34, v1, v34, vcc
	v_lshlrev_b64 v[0:1], v0, -1
	v_add_u32_e32 v2, 20, v48
	v_lshlrev_b64 v[49:50], v2, 1
	v_bfi_b32 v1, v1, 0, 0
	v_bfi_b32 v0, v0, 0, v34
	v_cmp_eq_u64_e64 s[20:21], v[0:1], v[49:50]
	v_lshrrev_b64 v[0:1], v48, v[34:35]
	v_mov_b32_e32 v2, v1
	v_mov_b32_e32 v1, v0
	s_and_saveexec_b64 s[92:93], s[20:21]
; %bb.327:                              ;   in Loop: Header=BB4_127 Depth=2
	v_bfe_u32 v1, v0, 21, 1
	v_add_co_u32_e64 v1, s[20:21], v0, v1
	v_add_co_u32_e64 v1, s[20:21], -1, v1
; %bb.328:                              ;   in Loop: Header=BB4_127 Depth=2
	s_or_b64 exec, exec, s[92:93]
	v_add_u32_e32 v2, 0xffffff81, v31
	v_mov_b32_e32 v26, 0xffffff82
	v_cndmask_b32_e32 v2, v2, v26, vcc
	v_lshrrev_b32_e32 v26, 23, v0
	v_add3_u32 v48, v48, v2, v26
	v_add_u32_e32 v31, 14, v48
	v_and_b32_e32 v1, 0x1fffff, v1
	v_add_u32_e32 v34, v1, v0
	v_cmp_ne_u32_e32 vcc, 0, v31
                                        ; implicit-def: $vgpr0_vgpr1
                                        ; implicit-def: $vgpr2
	s_and_saveexec_b64 s[20:21], vcc
	s_xor_b64 s[20:21], exec, s[20:21]
; %bb.329:                              ;   in Loop: Header=BB4_127 Depth=2
	v_cmp_lt_u64_e32 vcc, s[72:73], v[34:35]
	v_add_u32_e32 v0, 15, v48
	v_cndmask_b32_e32 v2, v31, v0, vcc
	v_cndmask_b32_e64 v0, 0, 1, vcc
	v_lshrrev_b64 v[0:1], v0, v[34:35]
; %bb.330:                              ;   in Loop: Header=BB4_127 Depth=2
	s_andn2_saveexec_b64 s[20:21], s[20:21]
; %bb.331:                              ;   in Loop: Header=BB4_127 Depth=2
	v_mov_b32_e32 v0, v34
	v_bfe_u32 v2, v34, 23, 1
	v_mov_b32_e32 v1, v35
; %bb.332:                              ;   in Loop: Header=BB4_127 Depth=2
	s_or_b64 exec, exec, s[20:21]
	v_lshrrev_b64 v[0:1], 21, v[0:1]
	v_cmp_gt_i32_e32 vcc, 32, v2
	v_cndmask_b32_e32 v1, 0, v1, vcc
	v_cndmask_b32_e32 v0, 3, v0, vcc
	v_cmp_eq_u64_e64 s[20:21], 0, v[0:1]
	v_min_i32_e32 v1, 31, v2
	v_lshlrev_b32_e32 v1, 2, v1
	v_cmp_eq_u32_e32 vcc, 0, v2
	v_and_b32_e32 v1, 0xfc, v1
	v_and_or_b32 v0, v0, 3, v1
	s_and_b64 s[20:21], vcc, s[20:21]
	v_cndmask_b32_e64 v0, v0, 0, s[20:21]
	v_or_b32_e32 v31, v0, v4
.LBB4_333:                              ;   in Loop: Header=BB4_127 Depth=2
	s_or_b64 exec, exec, s[90:91]
                                        ; implicit-def: $vgpr4
.LBB4_334:                              ;   in Loop: Header=BB4_127 Depth=2
	s_andn2_saveexec_b64 s[20:21], s[88:89]
; %bb.335:                              ;   in Loop: Header=BB4_127 Depth=2
	v_or_b32_e32 v31, 0x7b, v4
; %bb.336:                              ;   in Loop: Header=BB4_127 Depth=2
	s_or_b64 exec, exec, s[20:21]
                                        ; implicit-def: $vgpr0
.LBB4_337:                              ;   in Loop: Header=BB4_127 Depth=2
	s_andn2_saveexec_b64 s[20:21], s[78:79]
	s_cbranch_execz .LBB4_343
; %bb.338:                              ;   in Loop: Header=BB4_127 Depth=2
	v_cmp_ne_u64_e32 vcc, 0, v[34:35]
                                        ; implicit-def: $vgpr31
	s_and_saveexec_b64 s[78:79], vcc
	s_xor_b64 s[78:79], exec, s[78:79]
; %bb.339:                              ;   in Loop: Header=BB4_127 Depth=2
	v_or_b32_sdwa v31, v0, s65 dst_sel:DWORD dst_unused:UNUSED_PAD src0_sel:BYTE_3 src1_sel:DWORD
                                        ; implicit-def: $vgpr0
; %bb.340:                              ;   in Loop: Header=BB4_127 Depth=2
	s_andn2_saveexec_b64 s[78:79], s[78:79]
; %bb.341:                              ;   in Loop: Header=BB4_127 Depth=2
	v_cmp_lt_i32_e32 vcc, -1, v0
	v_bfrev_b32_e32 v0, 0.5
	v_mov_b32_e32 v1, 0x7c
	v_cndmask_b32_e32 v31, v0, v1, vcc
; %bb.342:                              ;   in Loop: Header=BB4_127 Depth=2
	s_or_b64 exec, exec, s[78:79]
.LBB4_343:                              ;   in Loop: Header=BB4_127 Depth=2
	s_or_b64 exec, exec, s[20:21]
	v_lshrrev_b32_e32 v0, 16, v23
	v_cmp_ne_u16_sdwa s[78:79], v0, v35 src0_sel:BYTE_0 src1_sel:DWORD
	v_mov_b32_e32 v1, 0
	v_mov_b32_e32 v2, 0
	s_and_saveexec_b64 s[20:21], s[78:79]
	s_cbranch_execz .LBB4_351
; %bb.344:                              ;   in Loop: Header=BB4_127 Depth=2
	v_cmp_ne_u16_sdwa s[88:89], v0, s55 src0_sel:BYTE_0 src1_sel:DWORD
	v_bfrev_b32_e32 v2, 1
	s_and_saveexec_b64 s[78:79], s[88:89]
	s_cbranch_execz .LBB4_350
; %bb.345:                              ;   in Loop: Header=BB4_127 Depth=2
	v_and_b32_e32 v2, 0x7c0000, v23
	v_bfe_u32 v4, v23, 16, 2
	v_cmp_ne_u32_e32 vcc, s66, v2
                                        ; implicit-def: $vgpr2
	s_and_saveexec_b64 s[88:89], vcc
	s_xor_b64 s[88:89], exec, s[88:89]
	s_cbranch_execz .LBB4_347
; %bb.346:                              ;   in Loop: Header=BB4_127 Depth=2
	v_ffbh_u32_e32 v26, v4
	v_min_u32_e32 v26, 32, v26
	v_subrev_u32_e32 v27, 29, v26
	v_lshlrev_b64 v[48:49], v27, v[0:1]
	v_bfe_u32 v2, v23, 18, 5
	v_sub_u32_e32 v0, 30, v26
	v_and_b32_e32 v26, 3, v48
	v_cmp_eq_u32_e32 vcc, 0, v2
	v_cndmask_b32_e32 v0, v2, v0, vcc
	v_cndmask_b32_e32 v2, v4, v26, vcc
	v_lshlrev_b32_e32 v4, 8, v23
	v_and_b32_e32 v4, 0x80000000, v4
	v_lshl_add_u32 v0, v0, 23, v4
	v_lshl_or_b32 v0, v2, 21, v0
	v_add_u32_e32 v2, 0x38000000, v0
                                        ; implicit-def: $vgpr4
                                        ; implicit-def: $vgpr0
.LBB4_347:                              ;   in Loop: Header=BB4_127 Depth=2
	s_andn2_saveexec_b64 s[88:89], s[88:89]
; %bb.348:                              ;   in Loop: Header=BB4_127 Depth=2
	v_mov_b32_e32 v2, -1
	v_cmp_gt_i16_sdwa vcc, sext(v0), v2 src0_sel:BYTE_0 src1_sel:DWORD
	v_cndmask_b32_e32 v0, v5, v36, vcc
	v_cmp_eq_u32_e32 vcc, 0, v4
	v_cndmask_b32_e32 v2, v37, v0, vcc
; %bb.349:                              ;   in Loop: Header=BB4_127 Depth=2
	s_or_b64 exec, exec, s[88:89]
.LBB4_350:                              ;   in Loop: Header=BB4_127 Depth=2
	s_or_b64 exec, exec, s[78:79]
.LBB4_351:                              ;   in Loop: Header=BB4_127 Depth=2
	s_or_b64 exec, exec, s[20:21]
	v_lshrrev_b32_e32 v0, 16, v19
	v_cmp_ne_u16_sdwa s[78:79], v0, v35 src0_sel:BYTE_0 src1_sel:DWORD
	s_and_saveexec_b64 s[20:21], s[78:79]
	s_cbranch_execz .LBB4_359
; %bb.352:                              ;   in Loop: Header=BB4_127 Depth=2
	v_cmp_ne_u16_sdwa s[88:89], v0, s55 src0_sel:BYTE_0 src1_sel:DWORD
	v_bfrev_b32_e32 v1, 1
	s_and_saveexec_b64 s[78:79], s[88:89]
	s_cbranch_execz .LBB4_358
; %bb.353:                              ;   in Loop: Header=BB4_127 Depth=2
	v_and_b32_e32 v1, 0x7c0000, v19
	v_bfe_u32 v4, v19, 16, 2
	v_cmp_ne_u32_e32 vcc, s66, v1
                                        ; implicit-def: $vgpr1
	s_and_saveexec_b64 s[88:89], vcc
	s_xor_b64 s[88:89], exec, s[88:89]
	s_cbranch_execz .LBB4_355
; %bb.354:                              ;   in Loop: Header=BB4_127 Depth=2
	v_ffbh_u32_e32 v1, v4
	v_min_u32_e32 v27, 32, v1
	v_subrev_u32_e32 v1, 29, v27
	v_lshlrev_b64 v[0:1], v1, v[0:1]
	v_bfe_u32 v26, v19, 18, 5
	v_and_b32_e32 v0, 3, v0
	v_cmp_eq_u32_e32 vcc, 0, v26
	v_sub_u32_e32 v1, 30, v27
	v_cndmask_b32_e32 v0, v4, v0, vcc
	v_lshlrev_b32_e32 v4, 8, v19
	v_cndmask_b32_e32 v1, v26, v1, vcc
	v_and_b32_e32 v4, 0x80000000, v4
	v_lshl_add_u32 v1, v1, 23, v4
	v_lshl_or_b32 v0, v0, 21, v1
	v_add_u32_e32 v1, 0x38000000, v0
                                        ; implicit-def: $vgpr4
                                        ; implicit-def: $vgpr0
.LBB4_355:                              ;   in Loop: Header=BB4_127 Depth=2
	s_andn2_saveexec_b64 s[88:89], s[88:89]
; %bb.356:                              ;   in Loop: Header=BB4_127 Depth=2
	v_mov_b32_e32 v1, -1
	v_cmp_gt_i16_sdwa vcc, sext(v0), v1 src0_sel:BYTE_0 src1_sel:DWORD
	v_cndmask_b32_e32 v0, v5, v36, vcc
	v_cmp_eq_u32_e32 vcc, 0, v4
	v_cndmask_b32_e32 v1, v37, v0, vcc
; %bb.357:                              ;   in Loop: Header=BB4_127 Depth=2
	s_or_b64 exec, exec, s[88:89]
.LBB4_358:                              ;   in Loop: Header=BB4_127 Depth=2
	s_or_b64 exec, exec, s[78:79]
.LBB4_359:                              ;   in Loop: Header=BB4_127 Depth=2
	s_or_b64 exec, exec, s[20:21]
	v_mul_f32_e32 v0, v2, v1
	v_and_b32_e32 v1, 0x7f800000, v0
	v_mov_b32_e32 v2, v35
	v_cmp_ne_u64_e32 vcc, s[60:61], v[1:2]
	v_and_b32_e32 v34, 0x7fffff, v0
                                        ; implicit-def: $vgpr48
	s_and_saveexec_b64 s[20:21], vcc
	s_xor_b64 s[78:79], exec, s[20:21]
	s_cbranch_execz .LBB4_373
; %bb.360:                              ;   in Loop: Header=BB4_127 Depth=2
	v_and_b32_e32 v1, 0x7fffffff, v0
	v_mov_b32_e32 v2, v35
	v_cmp_gt_u64_e32 vcc, s[62:63], v[1:2]
	v_and_b32_sdwa v4, v0, s55 dst_sel:DWORD dst_unused:UNUSED_PAD src0_sel:BYTE_3 src1_sel:DWORD
                                        ; implicit-def: $vgpr48
	s_and_saveexec_b64 s[20:21], vcc
	s_xor_b64 s[88:89], exec, s[20:21]
	s_cbranch_execz .LBB4_370
; %bb.361:                              ;   in Loop: Header=BB4_127 Depth=2
	v_mov_b32_e32 v48, 0
	v_cmp_ne_u32_e32 vcc, 0, v0
	s_and_saveexec_b64 s[90:91], vcc
	s_cbranch_execz .LBB4_369
; %bb.362:                              ;   in Loop: Header=BB4_127 Depth=2
	v_bfe_u32 v48, v0, 23, 8
	v_cmp_gt_u32_e64 s[20:21], s64, v48
	v_sub_u32_e32 v0, 0x71, v48
	v_cmp_eq_u32_e32 vcc, 0, v48
	v_cndmask_b32_e64 v0, 0, v0, s[20:21]
	v_mov_b32_e32 v2, 0x70
	v_cndmask_b32_e32 v49, v0, v2, vcc
	v_or_b32_e32 v1, 0x800000, v34
	v_add_u32_e32 v0, 21, v49
	v_cndmask_b32_e32 v34, v1, v34, vcc
	v_lshlrev_b64 v[0:1], v0, -1
	v_add_u32_e32 v2, 20, v49
	v_lshlrev_b64 v[50:51], v2, 1
	v_bfi_b32 v1, v1, 0, 0
	v_bfi_b32 v0, v0, 0, v34
	v_cmp_eq_u64_e64 s[20:21], v[0:1], v[50:51]
	v_lshrrev_b64 v[0:1], v49, v[34:35]
	v_mov_b32_e32 v2, v1
	v_mov_b32_e32 v1, v0
	s_and_saveexec_b64 s[92:93], s[20:21]
; %bb.363:                              ;   in Loop: Header=BB4_127 Depth=2
	v_bfe_u32 v1, v0, 21, 1
	v_add_co_u32_e64 v1, s[20:21], v0, v1
	v_add_co_u32_e64 v1, s[20:21], -1, v1
; %bb.364:                              ;   in Loop: Header=BB4_127 Depth=2
	s_or_b64 exec, exec, s[92:93]
	v_add_u32_e32 v2, 0xffffff81, v48
	v_mov_b32_e32 v26, 0xffffff82
	v_cndmask_b32_e32 v2, v2, v26, vcc
	v_lshrrev_b32_e32 v26, 23, v0
	v_add3_u32 v49, v49, v2, v26
	v_add_u32_e32 v48, 14, v49
	v_and_b32_e32 v1, 0x1fffff, v1
	v_add_u32_e32 v34, v1, v0
	v_cmp_ne_u32_e32 vcc, 0, v48
                                        ; implicit-def: $vgpr0_vgpr1
                                        ; implicit-def: $vgpr2
	s_and_saveexec_b64 s[20:21], vcc
	s_xor_b64 s[20:21], exec, s[20:21]
; %bb.365:                              ;   in Loop: Header=BB4_127 Depth=2
	v_cmp_lt_u64_e32 vcc, s[72:73], v[34:35]
	v_add_u32_e32 v0, 15, v49
	v_cndmask_b32_e32 v2, v48, v0, vcc
	v_cndmask_b32_e64 v0, 0, 1, vcc
	v_lshrrev_b64 v[0:1], v0, v[34:35]
; %bb.366:                              ;   in Loop: Header=BB4_127 Depth=2
	s_andn2_saveexec_b64 s[20:21], s[20:21]
; %bb.367:                              ;   in Loop: Header=BB4_127 Depth=2
	v_mov_b32_e32 v0, v34
	v_bfe_u32 v2, v34, 23, 1
	v_mov_b32_e32 v1, v35
; %bb.368:                              ;   in Loop: Header=BB4_127 Depth=2
	s_or_b64 exec, exec, s[20:21]
	v_lshrrev_b64 v[0:1], 21, v[0:1]
	v_cmp_gt_i32_e32 vcc, 32, v2
	v_cndmask_b32_e32 v1, 0, v1, vcc
	v_cndmask_b32_e32 v0, 3, v0, vcc
	v_cmp_eq_u64_e64 s[20:21], 0, v[0:1]
	v_min_i32_e32 v1, 31, v2
	v_lshlrev_b32_e32 v1, 2, v1
	v_cmp_eq_u32_e32 vcc, 0, v2
	v_and_b32_e32 v1, 0xfc, v1
	v_and_or_b32 v0, v0, 3, v1
	s_and_b64 s[20:21], vcc, s[20:21]
	v_cndmask_b32_e64 v0, v0, 0, s[20:21]
	v_or_b32_e32 v48, v0, v4
.LBB4_369:                              ;   in Loop: Header=BB4_127 Depth=2
	s_or_b64 exec, exec, s[90:91]
                                        ; implicit-def: $vgpr4
.LBB4_370:                              ;   in Loop: Header=BB4_127 Depth=2
	s_andn2_saveexec_b64 s[20:21], s[88:89]
; %bb.371:                              ;   in Loop: Header=BB4_127 Depth=2
	v_or_b32_e32 v48, 0x7b, v4
; %bb.372:                              ;   in Loop: Header=BB4_127 Depth=2
	s_or_b64 exec, exec, s[20:21]
                                        ; implicit-def: $vgpr0
.LBB4_373:                              ;   in Loop: Header=BB4_127 Depth=2
	s_andn2_saveexec_b64 s[20:21], s[78:79]
	s_cbranch_execz .LBB4_379
; %bb.374:                              ;   in Loop: Header=BB4_127 Depth=2
	v_cmp_ne_u64_e32 vcc, 0, v[34:35]
                                        ; implicit-def: $vgpr48
	s_and_saveexec_b64 s[78:79], vcc
	s_xor_b64 s[78:79], exec, s[78:79]
; %bb.375:                              ;   in Loop: Header=BB4_127 Depth=2
	v_or_b32_sdwa v48, v0, s65 dst_sel:DWORD dst_unused:UNUSED_PAD src0_sel:BYTE_3 src1_sel:DWORD
                                        ; implicit-def: $vgpr0
; %bb.376:                              ;   in Loop: Header=BB4_127 Depth=2
	s_andn2_saveexec_b64 s[78:79], s[78:79]
; %bb.377:                              ;   in Loop: Header=BB4_127 Depth=2
	v_cmp_lt_i32_e32 vcc, -1, v0
	v_bfrev_b32_e32 v0, 0.5
	v_mov_b32_e32 v1, 0x7c
	v_cndmask_b32_e32 v48, v0, v1, vcc
; %bb.378:                              ;   in Loop: Header=BB4_127 Depth=2
	s_or_b64 exec, exec, s[78:79]
.LBB4_379:                              ;   in Loop: Header=BB4_127 Depth=2
	s_or_b64 exec, exec, s[20:21]
	v_cmp_lt_u64_e32 vcc, s[58:59], v[22:23]
	v_mov_b32_e32 v1, 0
	v_mov_b32_e32 v2, 0
	s_and_saveexec_b64 s[20:21], vcc
	s_cbranch_execz .LBB4_387
; %bb.380:                              ;   in Loop: Header=BB4_127 Depth=2
	v_lshrrev_b32_e32 v0, 24, v23
	v_cmp_ne_u32_e32 vcc, s55, v0
	v_bfrev_b32_e32 v2, 1
	s_and_saveexec_b64 s[78:79], vcc
	s_cbranch_execz .LBB4_386
; %bb.381:                              ;   in Loop: Header=BB4_127 Depth=2
	v_and_b32_e32 v2, 0x7c000000, v23
	v_bfe_u32 v4, v23, 24, 2
	v_cmp_ne_u32_e32 vcc, s67, v2
                                        ; implicit-def: $vgpr2
	s_and_saveexec_b64 s[88:89], vcc
	s_xor_b64 s[88:89], exec, s[88:89]
	s_cbranch_execz .LBB4_383
; %bb.382:                              ;   in Loop: Header=BB4_127 Depth=2
	v_ffbh_u32_e32 v26, v4
	v_min_u32_e32 v26, 32, v26
	v_subrev_u32_e32 v27, 29, v26
	v_lshlrev_b64 v[49:50], v27, v[0:1]
	v_bfe_u32 v2, v23, 26, 5
	v_sub_u32_e32 v0, 30, v26
	v_and_b32_e32 v26, 3, v49
	v_cmp_eq_u32_e32 vcc, 0, v2
	v_cndmask_b32_e32 v0, v2, v0, vcc
	v_cndmask_b32_e32 v2, v4, v26, vcc
	v_and_b32_e32 v4, 0x80000000, v23
	v_lshl_add_u32 v0, v0, 23, v4
	v_lshl_or_b32 v0, v2, 21, v0
	v_add_u32_e32 v2, 0x38000000, v0
                                        ; implicit-def: $vgpr4
.LBB4_383:                              ;   in Loop: Header=BB4_127 Depth=2
	s_andn2_saveexec_b64 s[88:89], s[88:89]
; %bb.384:                              ;   in Loop: Header=BB4_127 Depth=2
	v_cmp_lt_i64_e32 vcc, -1, v[22:23]
	v_cndmask_b32_e32 v0, v5, v36, vcc
	v_cmp_eq_u32_e32 vcc, 0, v4
	v_cndmask_b32_e32 v2, v37, v0, vcc
; %bb.385:                              ;   in Loop: Header=BB4_127 Depth=2
	s_or_b64 exec, exec, s[88:89]
.LBB4_386:                              ;   in Loop: Header=BB4_127 Depth=2
	s_or_b64 exec, exec, s[78:79]
.LBB4_387:                              ;   in Loop: Header=BB4_127 Depth=2
	s_or_b64 exec, exec, s[20:21]
	v_cmp_lt_u64_e32 vcc, s[58:59], v[18:19]
	s_and_saveexec_b64 s[20:21], vcc
	s_cbranch_execz .LBB4_395
; %bb.388:                              ;   in Loop: Header=BB4_127 Depth=2
	v_lshrrev_b32_e32 v0, 24, v19
	v_cmp_ne_u32_e32 vcc, s55, v0
	v_bfrev_b32_e32 v1, 1
	s_and_saveexec_b64 s[78:79], vcc
	s_cbranch_execz .LBB4_394
; %bb.389:                              ;   in Loop: Header=BB4_127 Depth=2
	v_and_b32_e32 v1, 0x7c000000, v19
	v_bfe_u32 v4, v19, 24, 2
	v_cmp_ne_u32_e32 vcc, s67, v1
                                        ; implicit-def: $vgpr1
	s_and_saveexec_b64 s[88:89], vcc
	s_xor_b64 s[88:89], exec, s[88:89]
	s_cbranch_execz .LBB4_391
; %bb.390:                              ;   in Loop: Header=BB4_127 Depth=2
	v_ffbh_u32_e32 v1, v4
	v_min_u32_e32 v23, 32, v1
	v_subrev_u32_e32 v1, 29, v23
	v_lshlrev_b64 v[0:1], v1, v[0:1]
	v_bfe_u32 v22, v19, 26, 5
	v_sub_u32_e32 v1, 30, v23
	v_and_b32_e32 v0, 3, v0
	v_cmp_eq_u32_e32 vcc, 0, v22
	v_cndmask_b32_e32 v1, v22, v1, vcc
	v_cndmask_b32_e32 v0, v4, v0, vcc
	v_and_b32_e32 v4, 0x80000000, v19
	v_lshl_add_u32 v1, v1, 23, v4
	v_lshl_or_b32 v0, v0, 21, v1
	v_add_u32_e32 v1, 0x38000000, v0
                                        ; implicit-def: $vgpr4
.LBB4_391:                              ;   in Loop: Header=BB4_127 Depth=2
	s_andn2_saveexec_b64 s[88:89], s[88:89]
; %bb.392:                              ;   in Loop: Header=BB4_127 Depth=2
	v_cmp_lt_i64_e32 vcc, -1, v[18:19]
	v_cndmask_b32_e32 v0, v5, v36, vcc
	v_cmp_eq_u32_e32 vcc, 0, v4
	v_cndmask_b32_e32 v1, v37, v0, vcc
; %bb.393:                              ;   in Loop: Header=BB4_127 Depth=2
	s_or_b64 exec, exec, s[88:89]
.LBB4_394:                              ;   in Loop: Header=BB4_127 Depth=2
	s_or_b64 exec, exec, s[78:79]
.LBB4_395:                              ;   in Loop: Header=BB4_127 Depth=2
	s_or_b64 exec, exec, s[20:21]
	v_mul_f32_e32 v0, v2, v1
	v_and_b32_e32 v1, 0x7f800000, v0
	v_mov_b32_e32 v2, v35
	v_cmp_ne_u64_e32 vcc, s[60:61], v[1:2]
	v_and_b32_e32 v34, 0x7fffff, v0
                                        ; implicit-def: $vgpr18
	s_and_saveexec_b64 s[20:21], vcc
	s_xor_b64 s[78:79], exec, s[20:21]
	s_cbranch_execz .LBB4_409
; %bb.396:                              ;   in Loop: Header=BB4_127 Depth=2
	v_and_b32_e32 v1, 0x7fffffff, v0
	v_mov_b32_e32 v2, v35
	v_cmp_gt_u64_e32 vcc, s[62:63], v[1:2]
	v_and_b32_sdwa v4, v0, s55 dst_sel:DWORD dst_unused:UNUSED_PAD src0_sel:BYTE_3 src1_sel:DWORD
                                        ; implicit-def: $vgpr18
	s_and_saveexec_b64 s[20:21], vcc
	s_xor_b64 s[88:89], exec, s[20:21]
	s_cbranch_execz .LBB4_406
; %bb.397:                              ;   in Loop: Header=BB4_127 Depth=2
	v_mov_b32_e32 v18, 0
	v_cmp_ne_u32_e32 vcc, 0, v0
	s_and_saveexec_b64 s[90:91], vcc
	s_cbranch_execz .LBB4_405
; %bb.398:                              ;   in Loop: Header=BB4_127 Depth=2
	v_bfe_u32 v18, v0, 23, 8
	v_cmp_gt_u32_e64 s[20:21], s64, v18
	v_sub_u32_e32 v0, 0x71, v18
	v_cmp_eq_u32_e32 vcc, 0, v18
	v_cndmask_b32_e64 v0, 0, v0, s[20:21]
	v_mov_b32_e32 v2, 0x70
	v_cndmask_b32_e32 v19, v0, v2, vcc
	v_or_b32_e32 v1, 0x800000, v34
	v_add_u32_e32 v0, 21, v19
	v_cndmask_b32_e32 v34, v1, v34, vcc
	v_lshlrev_b64 v[0:1], v0, -1
	v_add_u32_e32 v2, 20, v19
	v_lshlrev_b64 v[22:23], v2, 1
	v_bfi_b32 v1, v1, 0, 0
	v_bfi_b32 v0, v0, 0, v34
	v_cmp_eq_u64_e64 s[20:21], v[0:1], v[22:23]
	v_lshrrev_b64 v[0:1], v19, v[34:35]
	v_mov_b32_e32 v2, v1
	v_mov_b32_e32 v1, v0
	s_and_saveexec_b64 s[92:93], s[20:21]
; %bb.399:                              ;   in Loop: Header=BB4_127 Depth=2
	v_bfe_u32 v1, v0, 21, 1
	v_add_co_u32_e64 v1, s[20:21], v0, v1
	v_add_co_u32_e64 v1, s[20:21], -1, v1
; %bb.400:                              ;   in Loop: Header=BB4_127 Depth=2
	s_or_b64 exec, exec, s[92:93]
	v_add_u32_e32 v2, 0xffffff81, v18
	v_mov_b32_e32 v18, 0xffffff82
	v_cndmask_b32_e32 v2, v2, v18, vcc
	v_lshrrev_b32_e32 v18, 23, v0
	v_add3_u32 v19, v19, v2, v18
	v_add_u32_e32 v18, 14, v19
	v_and_b32_e32 v1, 0x1fffff, v1
	v_add_u32_e32 v34, v1, v0
	v_cmp_ne_u32_e32 vcc, 0, v18
                                        ; implicit-def: $vgpr0_vgpr1
                                        ; implicit-def: $vgpr2
	s_and_saveexec_b64 s[20:21], vcc
	s_xor_b64 s[20:21], exec, s[20:21]
; %bb.401:                              ;   in Loop: Header=BB4_127 Depth=2
	v_cmp_lt_u64_e32 vcc, s[72:73], v[34:35]
	v_add_u32_e32 v0, 15, v19
	v_cndmask_b32_e32 v2, v18, v0, vcc
	v_cndmask_b32_e64 v0, 0, 1, vcc
	v_lshrrev_b64 v[0:1], v0, v[34:35]
; %bb.402:                              ;   in Loop: Header=BB4_127 Depth=2
	s_andn2_saveexec_b64 s[20:21], s[20:21]
; %bb.403:                              ;   in Loop: Header=BB4_127 Depth=2
	v_mov_b32_e32 v0, v34
	v_bfe_u32 v2, v34, 23, 1
	v_mov_b32_e32 v1, v35
; %bb.404:                              ;   in Loop: Header=BB4_127 Depth=2
	s_or_b64 exec, exec, s[20:21]
	v_lshrrev_b64 v[0:1], 21, v[0:1]
	v_cmp_gt_i32_e32 vcc, 32, v2
	v_cndmask_b32_e32 v1, 0, v1, vcc
	v_cndmask_b32_e32 v0, 3, v0, vcc
	v_cmp_eq_u64_e64 s[20:21], 0, v[0:1]
	v_min_i32_e32 v1, 31, v2
	v_lshlrev_b32_e32 v1, 2, v1
	v_cmp_eq_u32_e32 vcc, 0, v2
	v_and_b32_e32 v1, 0xfc, v1
	v_and_or_b32 v0, v0, 3, v1
	s_and_b64 s[20:21], vcc, s[20:21]
	v_cndmask_b32_e64 v0, v0, 0, s[20:21]
	v_or_b32_e32 v18, v0, v4
.LBB4_405:                              ;   in Loop: Header=BB4_127 Depth=2
	s_or_b64 exec, exec, s[90:91]
                                        ; implicit-def: $vgpr4
.LBB4_406:                              ;   in Loop: Header=BB4_127 Depth=2
	s_andn2_saveexec_b64 s[20:21], s[88:89]
; %bb.407:                              ;   in Loop: Header=BB4_127 Depth=2
	v_or_b32_e32 v18, 0x7b, v4
; %bb.408:                              ;   in Loop: Header=BB4_127 Depth=2
	s_or_b64 exec, exec, s[20:21]
                                        ; implicit-def: $vgpr0
.LBB4_409:                              ;   in Loop: Header=BB4_127 Depth=2
	s_andn2_saveexec_b64 s[20:21], s[78:79]
	s_cbranch_execz .LBB4_415
; %bb.410:                              ;   in Loop: Header=BB4_127 Depth=2
	v_cmp_ne_u64_e32 vcc, 0, v[34:35]
                                        ; implicit-def: $vgpr18
	s_and_saveexec_b64 s[78:79], vcc
	s_xor_b64 s[78:79], exec, s[78:79]
; %bb.411:                              ;   in Loop: Header=BB4_127 Depth=2
	v_or_b32_sdwa v18, v0, s65 dst_sel:DWORD dst_unused:UNUSED_PAD src0_sel:BYTE_3 src1_sel:DWORD
                                        ; implicit-def: $vgpr0
; %bb.412:                              ;   in Loop: Header=BB4_127 Depth=2
	s_andn2_saveexec_b64 s[78:79], s[78:79]
; %bb.413:                              ;   in Loop: Header=BB4_127 Depth=2
	v_cmp_lt_i32_e32 vcc, -1, v0
	v_bfrev_b32_e32 v0, 0.5
	v_mov_b32_e32 v1, 0x7c
	v_cndmask_b32_e32 v18, v0, v1, vcc
; %bb.414:                              ;   in Loop: Header=BB4_127 Depth=2
	s_or_b64 exec, exec, s[78:79]
.LBB4_415:                              ;   in Loop: Header=BB4_127 Depth=2
	s_or_b64 exec, exec, s[20:21]
	v_cmp_ne_u16_sdwa s[78:79], v24, v35 src0_sel:BYTE_0 src1_sel:DWORD
	v_mov_b32_e32 v0, 0
	v_mov_b32_e32 v1, 0
	s_and_saveexec_b64 s[20:21], s[78:79]
	s_cbranch_execz .LBB4_423
; %bb.416:                              ;   in Loop: Header=BB4_127 Depth=2
	v_cmp_ne_u16_sdwa s[88:89], sext(v24), s52 src0_sel:BYTE_0 src1_sel:DWORD
	v_bfrev_b32_e32 v1, 1
	s_and_saveexec_b64 s[78:79], s[88:89]
	s_cbranch_execz .LBB4_422
; %bb.417:                              ;   in Loop: Header=BB4_127 Depth=2
	v_and_b32_e32 v1, 0x7c, v24
	v_and_b32_e32 v2, 3, v24
	v_cmp_ne_u32_e32 vcc, s53, v1
                                        ; implicit-def: $vgpr1
	s_and_saveexec_b64 s[88:89], vcc
	s_xor_b64 s[88:89], exec, s[88:89]
	s_cbranch_execz .LBB4_419
; %bb.418:                              ;   in Loop: Header=BB4_127 Depth=2
	v_ffbh_u32_e32 v4, v2
	v_min_u32_e32 v4, 32, v4
	v_bfe_u32 v1, v24, 2, 5
	v_subrev_u32_e32 v19, 29, v4
	v_lshlrev_b64 v[22:23], v19, v[24:25]
	v_sub_u32_e32 v4, 30, v4
	v_cmp_eq_u32_e32 vcc, 0, v1
	v_cndmask_b32_e32 v1, v1, v4, vcc
	v_lshlrev_b32_e32 v4, 24, v24
	v_and_b32_e32 v19, 3, v22
	v_and_b32_e32 v4, 0x80000000, v4
	v_cndmask_b32_e32 v2, v2, v19, vcc
	v_lshl_add_u32 v1, v1, 23, v4
	v_lshl_or_b32 v1, v2, 21, v1
	v_add_u32_e32 v1, 0x38000000, v1
                                        ; implicit-def: $vgpr2
.LBB4_419:                              ;   in Loop: Header=BB4_127 Depth=2
	s_andn2_saveexec_b64 s[88:89], s[88:89]
; %bb.420:                              ;   in Loop: Header=BB4_127 Depth=2
	v_mov_b32_e32 v1, -1
	v_cmp_gt_i16_sdwa vcc, sext(v24), v1 src0_sel:BYTE_0 src1_sel:DWORD
	v_cndmask_b32_e32 v1, v5, v36, vcc
	v_cmp_eq_u32_e32 vcc, 0, v2
	v_cndmask_b32_e32 v1, v37, v1, vcc
; %bb.421:                              ;   in Loop: Header=BB4_127 Depth=2
	s_or_b64 exec, exec, s[88:89]
.LBB4_422:                              ;   in Loop: Header=BB4_127 Depth=2
	s_or_b64 exec, exec, s[78:79]
.LBB4_423:                              ;   in Loop: Header=BB4_127 Depth=2
	s_or_b64 exec, exec, s[20:21]
	v_cmp_ne_u16_sdwa s[78:79], v20, v35 src0_sel:BYTE_0 src1_sel:DWORD
	s_and_saveexec_b64 s[20:21], s[78:79]
	s_cbranch_execz .LBB4_431
; %bb.424:                              ;   in Loop: Header=BB4_127 Depth=2
	v_cmp_ne_u16_sdwa s[88:89], sext(v20), s52 src0_sel:BYTE_0 src1_sel:DWORD
	v_bfrev_b32_e32 v0, 1
	s_and_saveexec_b64 s[78:79], s[88:89]
	s_cbranch_execz .LBB4_430
; %bb.425:                              ;   in Loop: Header=BB4_127 Depth=2
	v_and_b32_e32 v0, 0x7c, v20
	v_and_b32_e32 v2, 3, v20
	v_cmp_ne_u32_e32 vcc, s53, v0
                                        ; implicit-def: $vgpr0
	s_and_saveexec_b64 s[88:89], vcc
	s_xor_b64 s[88:89], exec, s[88:89]
	s_cbranch_execz .LBB4_427
; %bb.426:                              ;   in Loop: Header=BB4_127 Depth=2
	v_ffbh_u32_e32 v4, v2
	v_min_u32_e32 v4, 32, v4
	v_bfe_u32 v0, v20, 2, 5
	v_subrev_u32_e32 v19, 29, v4
	v_lshlrev_b64 v[22:23], v19, v[20:21]
	v_sub_u32_e32 v4, 30, v4
	v_cmp_eq_u32_e32 vcc, 0, v0
	v_cndmask_b32_e32 v0, v0, v4, vcc
	v_lshlrev_b32_e32 v4, 24, v20
	v_and_b32_e32 v19, 3, v22
	v_and_b32_e32 v4, 0x80000000, v4
	v_cndmask_b32_e32 v2, v2, v19, vcc
	v_lshl_add_u32 v0, v0, 23, v4
	v_lshl_or_b32 v0, v2, 21, v0
	v_add_u32_e32 v0, 0x38000000, v0
                                        ; implicit-def: $vgpr2
.LBB4_427:                              ;   in Loop: Header=BB4_127 Depth=2
	s_andn2_saveexec_b64 s[88:89], s[88:89]
; %bb.428:                              ;   in Loop: Header=BB4_127 Depth=2
	v_mov_b32_e32 v0, -1
	v_cmp_gt_i16_sdwa vcc, sext(v20), v0 src0_sel:BYTE_0 src1_sel:DWORD
	v_cndmask_b32_e32 v0, v5, v36, vcc
	v_cmp_eq_u32_e32 vcc, 0, v2
	v_cndmask_b32_e32 v0, v37, v0, vcc
; %bb.429:                              ;   in Loop: Header=BB4_127 Depth=2
	s_or_b64 exec, exec, s[88:89]
.LBB4_430:                              ;   in Loop: Header=BB4_127 Depth=2
	s_or_b64 exec, exec, s[78:79]
.LBB4_431:                              ;   in Loop: Header=BB4_127 Depth=2
	s_or_b64 exec, exec, s[20:21]
	v_mul_f32_e32 v0, v1, v0
	v_and_b32_e32 v1, 0x7f800000, v0
	v_mov_b32_e32 v2, v35
	v_cmp_ne_u64_e32 vcc, s[60:61], v[1:2]
	v_and_b32_e32 v34, 0x7fffff, v0
                                        ; implicit-def: $vgpr19
	s_and_saveexec_b64 s[20:21], vcc
	s_xor_b64 s[78:79], exec, s[20:21]
	s_cbranch_execz .LBB4_445
; %bb.432:                              ;   in Loop: Header=BB4_127 Depth=2
	v_and_b32_e32 v1, 0x7fffffff, v0
	v_mov_b32_e32 v2, v35
	v_cmp_gt_u64_e32 vcc, s[62:63], v[1:2]
	v_and_b32_sdwa v4, v0, s55 dst_sel:DWORD dst_unused:UNUSED_PAD src0_sel:BYTE_3 src1_sel:DWORD
                                        ; implicit-def: $vgpr19
	s_and_saveexec_b64 s[20:21], vcc
	s_xor_b64 s[88:89], exec, s[20:21]
	s_cbranch_execz .LBB4_442
; %bb.433:                              ;   in Loop: Header=BB4_127 Depth=2
	v_mov_b32_e32 v19, 0
	v_cmp_ne_u32_e32 vcc, 0, v0
	s_and_saveexec_b64 s[90:91], vcc
	s_cbranch_execz .LBB4_441
; %bb.434:                              ;   in Loop: Header=BB4_127 Depth=2
	v_bfe_u32 v19, v0, 23, 8
	v_cmp_gt_u32_e64 s[20:21], s64, v19
	v_sub_u32_e32 v0, 0x71, v19
	v_cmp_eq_u32_e32 vcc, 0, v19
	v_cndmask_b32_e64 v0, 0, v0, s[20:21]
	v_mov_b32_e32 v2, 0x70
	v_cndmask_b32_e32 v22, v0, v2, vcc
	v_or_b32_e32 v1, 0x800000, v34
	v_add_u32_e32 v0, 21, v22
	v_cndmask_b32_e32 v34, v1, v34, vcc
	v_lshlrev_b64 v[0:1], v0, -1
	v_add_u32_e32 v2, 20, v22
	v_lshlrev_b64 v[49:50], v2, 1
	v_bfi_b32 v1, v1, 0, 0
	v_bfi_b32 v0, v0, 0, v34
	v_cmp_eq_u64_e64 s[20:21], v[0:1], v[49:50]
	v_lshrrev_b64 v[0:1], v22, v[34:35]
	v_mov_b32_e32 v2, v1
	v_mov_b32_e32 v1, v0
	s_and_saveexec_b64 s[92:93], s[20:21]
; %bb.435:                              ;   in Loop: Header=BB4_127 Depth=2
	v_bfe_u32 v1, v0, 21, 1
	v_add_co_u32_e64 v1, s[20:21], v0, v1
	v_add_co_u32_e64 v1, s[20:21], -1, v1
; %bb.436:                              ;   in Loop: Header=BB4_127 Depth=2
	s_or_b64 exec, exec, s[92:93]
	v_add_u32_e32 v2, 0xffffff81, v19
	v_mov_b32_e32 v19, 0xffffff82
	v_cndmask_b32_e32 v2, v2, v19, vcc
	v_lshrrev_b32_e32 v19, 23, v0
	v_add3_u32 v22, v22, v2, v19
	v_add_u32_e32 v19, 14, v22
	v_and_b32_e32 v1, 0x1fffff, v1
	v_add_u32_e32 v34, v1, v0
	v_cmp_ne_u32_e32 vcc, 0, v19
                                        ; implicit-def: $vgpr0_vgpr1
                                        ; implicit-def: $vgpr2
	s_and_saveexec_b64 s[20:21], vcc
	s_xor_b64 s[20:21], exec, s[20:21]
; %bb.437:                              ;   in Loop: Header=BB4_127 Depth=2
	v_cmp_lt_u64_e32 vcc, s[72:73], v[34:35]
	v_add_u32_e32 v0, 15, v22
	v_cndmask_b32_e32 v2, v19, v0, vcc
	v_cndmask_b32_e64 v0, 0, 1, vcc
	v_lshrrev_b64 v[0:1], v0, v[34:35]
; %bb.438:                              ;   in Loop: Header=BB4_127 Depth=2
	s_andn2_saveexec_b64 s[20:21], s[20:21]
; %bb.439:                              ;   in Loop: Header=BB4_127 Depth=2
	v_mov_b32_e32 v0, v34
	v_bfe_u32 v2, v34, 23, 1
	v_mov_b32_e32 v1, v35
; %bb.440:                              ;   in Loop: Header=BB4_127 Depth=2
	s_or_b64 exec, exec, s[20:21]
	v_lshrrev_b64 v[0:1], 21, v[0:1]
	v_cmp_gt_i32_e32 vcc, 32, v2
	v_cndmask_b32_e32 v1, 0, v1, vcc
	v_cndmask_b32_e32 v0, 3, v0, vcc
	v_cmp_eq_u64_e64 s[20:21], 0, v[0:1]
	v_min_i32_e32 v1, 31, v2
	v_lshlrev_b32_e32 v1, 2, v1
	v_cmp_eq_u32_e32 vcc, 0, v2
	v_and_b32_e32 v1, 0xfc, v1
	v_and_or_b32 v0, v0, 3, v1
	s_and_b64 s[20:21], vcc, s[20:21]
	v_cndmask_b32_e64 v0, v0, 0, s[20:21]
	v_or_b32_e32 v19, v0, v4
.LBB4_441:                              ;   in Loop: Header=BB4_127 Depth=2
	s_or_b64 exec, exec, s[90:91]
                                        ; implicit-def: $vgpr4
.LBB4_442:                              ;   in Loop: Header=BB4_127 Depth=2
	s_andn2_saveexec_b64 s[20:21], s[88:89]
; %bb.443:                              ;   in Loop: Header=BB4_127 Depth=2
	v_or_b32_e32 v19, 0x7b, v4
; %bb.444:                              ;   in Loop: Header=BB4_127 Depth=2
	s_or_b64 exec, exec, s[20:21]
                                        ; implicit-def: $vgpr0
.LBB4_445:                              ;   in Loop: Header=BB4_127 Depth=2
	s_andn2_saveexec_b64 s[20:21], s[78:79]
	s_cbranch_execz .LBB4_451
; %bb.446:                              ;   in Loop: Header=BB4_127 Depth=2
	v_cmp_ne_u64_e32 vcc, 0, v[34:35]
                                        ; implicit-def: $vgpr19
	s_and_saveexec_b64 s[78:79], vcc
	s_xor_b64 s[78:79], exec, s[78:79]
; %bb.447:                              ;   in Loop: Header=BB4_127 Depth=2
	v_or_b32_sdwa v19, v0, s65 dst_sel:DWORD dst_unused:UNUSED_PAD src0_sel:BYTE_3 src1_sel:DWORD
                                        ; implicit-def: $vgpr0
; %bb.448:                              ;   in Loop: Header=BB4_127 Depth=2
	s_andn2_saveexec_b64 s[78:79], s[78:79]
; %bb.449:                              ;   in Loop: Header=BB4_127 Depth=2
	v_cmp_lt_i32_e32 vcc, -1, v0
	v_bfrev_b32_e32 v0, 0.5
	v_mov_b32_e32 v1, 0x7c
	v_cndmask_b32_e32 v19, v0, v1, vcc
; %bb.450:                              ;   in Loop: Header=BB4_127 Depth=2
	s_or_b64 exec, exec, s[78:79]
.LBB4_451:                              ;   in Loop: Header=BB4_127 Depth=2
	s_or_b64 exec, exec, s[20:21]
	v_lshrrev_b16_e32 v34, 8, v24
	v_cmp_ne_u16_e32 vcc, 0, v34
	v_mov_b32_e32 v0, 0
	v_mov_b32_e32 v1, 0
	s_and_saveexec_b64 s[20:21], vcc
	s_cbranch_execz .LBB4_459
; %bb.452:                              ;   in Loop: Header=BB4_127 Depth=2
	v_cmp_ne_u16_e32 vcc, s55, v34
	v_bfrev_b32_e32 v1, 1
	s_and_saveexec_b64 s[78:79], vcc
	s_cbranch_execz .LBB4_458
; %bb.453:                              ;   in Loop: Header=BB4_127 Depth=2
	v_and_b32_e32 v1, 0x7c, v34
	v_and_b32_e32 v2, 3, v34
	v_cmp_ne_u32_e32 vcc, s53, v1
                                        ; implicit-def: $vgpr1
	s_and_saveexec_b64 s[88:89], vcc
	s_xor_b64 s[88:89], exec, s[88:89]
	s_cbranch_execz .LBB4_455
; %bb.454:                              ;   in Loop: Header=BB4_127 Depth=2
	v_ffbh_u32_e32 v4, v2
	v_min_u32_e32 v4, 32, v4
	v_bfe_u32 v1, v34, 2, 5
	v_subrev_u32_e32 v22, 29, v4
	v_lshlrev_b64 v[22:23], v22, v[34:35]
	v_sub_u32_e32 v4, 30, v4
	v_cmp_eq_u32_e32 vcc, 0, v1
	v_cndmask_b32_e32 v1, v1, v4, vcc
	v_lshlrev_b32_e32 v4, 16, v24
	v_and_b32_e32 v22, 3, v22
	v_and_b32_e32 v4, 0x80000000, v4
	v_cndmask_b32_e32 v2, v2, v22, vcc
	v_lshl_add_u32 v1, v1, 23, v4
	v_lshl_or_b32 v1, v2, 21, v1
	v_add_u32_e32 v1, 0x38000000, v1
                                        ; implicit-def: $vgpr2
.LBB4_455:                              ;   in Loop: Header=BB4_127 Depth=2
	s_andn2_saveexec_b64 s[88:89], s[88:89]
; %bb.456:                              ;   in Loop: Header=BB4_127 Depth=2
	v_cmp_lt_i16_e32 vcc, -1, v24
	v_cndmask_b32_e32 v1, v5, v36, vcc
	v_cmp_eq_u32_e32 vcc, 0, v2
	v_cndmask_b32_e32 v1, v37, v1, vcc
; %bb.457:                              ;   in Loop: Header=BB4_127 Depth=2
	s_or_b64 exec, exec, s[88:89]
.LBB4_458:                              ;   in Loop: Header=BB4_127 Depth=2
	s_or_b64 exec, exec, s[78:79]
.LBB4_459:                              ;   in Loop: Header=BB4_127 Depth=2
	s_or_b64 exec, exec, s[20:21]
	v_lshrrev_b16_e32 v34, 8, v20
	v_cmp_ne_u16_e32 vcc, 0, v34
	s_and_saveexec_b64 s[20:21], vcc
	s_cbranch_execz .LBB4_467
; %bb.460:                              ;   in Loop: Header=BB4_127 Depth=2
	v_cmp_ne_u16_e32 vcc, s55, v34
	v_bfrev_b32_e32 v0, 1
	s_and_saveexec_b64 s[78:79], vcc
	s_cbranch_execz .LBB4_466
; %bb.461:                              ;   in Loop: Header=BB4_127 Depth=2
	v_and_b32_e32 v0, 0x7c, v34
	v_and_b32_e32 v2, 3, v34
	v_cmp_ne_u32_e32 vcc, s53, v0
                                        ; implicit-def: $vgpr0
	s_and_saveexec_b64 s[88:89], vcc
	s_xor_b64 s[88:89], exec, s[88:89]
	s_cbranch_execz .LBB4_463
; %bb.462:                              ;   in Loop: Header=BB4_127 Depth=2
	v_ffbh_u32_e32 v4, v2
	v_min_u32_e32 v4, 32, v4
	v_bfe_u32 v0, v34, 2, 5
	v_subrev_u32_e32 v22, 29, v4
	v_lshlrev_b64 v[22:23], v22, v[34:35]
	v_sub_u32_e32 v4, 30, v4
	v_cmp_eq_u32_e32 vcc, 0, v0
	v_cndmask_b32_e32 v0, v0, v4, vcc
	v_lshlrev_b32_e32 v4, 16, v20
	v_and_b32_e32 v22, 3, v22
	v_and_b32_e32 v4, 0x80000000, v4
	v_cndmask_b32_e32 v2, v2, v22, vcc
	v_lshl_add_u32 v0, v0, 23, v4
	v_lshl_or_b32 v0, v2, 21, v0
	v_add_u32_e32 v0, 0x38000000, v0
                                        ; implicit-def: $vgpr2
.LBB4_463:                              ;   in Loop: Header=BB4_127 Depth=2
	s_andn2_saveexec_b64 s[88:89], s[88:89]
; %bb.464:                              ;   in Loop: Header=BB4_127 Depth=2
	v_cmp_lt_i16_e32 vcc, -1, v20
	v_cndmask_b32_e32 v0, v5, v36, vcc
	v_cmp_eq_u32_e32 vcc, 0, v2
	v_cndmask_b32_e32 v0, v37, v0, vcc
; %bb.465:                              ;   in Loop: Header=BB4_127 Depth=2
	s_or_b64 exec, exec, s[88:89]
.LBB4_466:                              ;   in Loop: Header=BB4_127 Depth=2
	s_or_b64 exec, exec, s[78:79]
.LBB4_467:                              ;   in Loop: Header=BB4_127 Depth=2
	s_or_b64 exec, exec, s[20:21]
	v_mul_f32_e32 v0, v1, v0
	v_and_b32_e32 v1, 0x7f800000, v0
	v_mov_b32_e32 v2, v35
	v_cmp_ne_u64_e32 vcc, s[60:61], v[1:2]
	v_and_b32_e32 v34, 0x7fffff, v0
                                        ; implicit-def: $vgpr22
	s_and_saveexec_b64 s[20:21], vcc
	s_xor_b64 s[78:79], exec, s[20:21]
	s_cbranch_execz .LBB4_481
; %bb.468:                              ;   in Loop: Header=BB4_127 Depth=2
	v_and_b32_e32 v1, 0x7fffffff, v0
	v_mov_b32_e32 v2, v35
	v_cmp_gt_u64_e32 vcc, s[62:63], v[1:2]
	v_and_b32_sdwa v4, v0, s55 dst_sel:DWORD dst_unused:UNUSED_PAD src0_sel:BYTE_3 src1_sel:DWORD
                                        ; implicit-def: $vgpr22
	s_and_saveexec_b64 s[20:21], vcc
	s_xor_b64 s[88:89], exec, s[20:21]
	s_cbranch_execz .LBB4_478
; %bb.469:                              ;   in Loop: Header=BB4_127 Depth=2
	v_mov_b32_e32 v22, 0
	v_cmp_ne_u32_e32 vcc, 0, v0
	s_and_saveexec_b64 s[90:91], vcc
	s_cbranch_execz .LBB4_477
; %bb.470:                              ;   in Loop: Header=BB4_127 Depth=2
	v_bfe_u32 v22, v0, 23, 8
	v_cmp_gt_u32_e64 s[20:21], s64, v22
	v_sub_u32_e32 v0, 0x71, v22
	v_cmp_eq_u32_e32 vcc, 0, v22
	v_cndmask_b32_e64 v0, 0, v0, s[20:21]
	v_mov_b32_e32 v2, 0x70
	v_cndmask_b32_e32 v23, v0, v2, vcc
	v_or_b32_e32 v1, 0x800000, v34
	v_add_u32_e32 v0, 21, v23
	v_cndmask_b32_e32 v34, v1, v34, vcc
	v_lshlrev_b64 v[0:1], v0, -1
	v_add_u32_e32 v2, 20, v23
	v_lshlrev_b64 v[49:50], v2, 1
	v_bfi_b32 v1, v1, 0, 0
	v_bfi_b32 v0, v0, 0, v34
	v_cmp_eq_u64_e64 s[20:21], v[0:1], v[49:50]
	v_lshrrev_b64 v[0:1], v23, v[34:35]
	v_mov_b32_e32 v2, v1
	v_mov_b32_e32 v1, v0
	s_and_saveexec_b64 s[92:93], s[20:21]
; %bb.471:                              ;   in Loop: Header=BB4_127 Depth=2
	v_bfe_u32 v1, v0, 21, 1
	v_add_co_u32_e64 v1, s[20:21], v0, v1
	v_add_co_u32_e64 v1, s[20:21], -1, v1
; %bb.472:                              ;   in Loop: Header=BB4_127 Depth=2
	s_or_b64 exec, exec, s[92:93]
	v_add_u32_e32 v2, 0xffffff81, v22
	v_mov_b32_e32 v22, 0xffffff82
	v_cndmask_b32_e32 v2, v2, v22, vcc
	v_lshrrev_b32_e32 v22, 23, v0
	v_add3_u32 v23, v23, v2, v22
	v_add_u32_e32 v22, 14, v23
	v_and_b32_e32 v1, 0x1fffff, v1
	v_add_u32_e32 v34, v1, v0
	v_cmp_ne_u32_e32 vcc, 0, v22
                                        ; implicit-def: $vgpr0_vgpr1
                                        ; implicit-def: $vgpr2
	s_and_saveexec_b64 s[20:21], vcc
	s_xor_b64 s[20:21], exec, s[20:21]
; %bb.473:                              ;   in Loop: Header=BB4_127 Depth=2
	v_cmp_lt_u64_e32 vcc, s[72:73], v[34:35]
	v_add_u32_e32 v0, 15, v23
	v_cndmask_b32_e32 v2, v22, v0, vcc
	v_cndmask_b32_e64 v0, 0, 1, vcc
	v_lshrrev_b64 v[0:1], v0, v[34:35]
; %bb.474:                              ;   in Loop: Header=BB4_127 Depth=2
	s_andn2_saveexec_b64 s[20:21], s[20:21]
; %bb.475:                              ;   in Loop: Header=BB4_127 Depth=2
	v_mov_b32_e32 v0, v34
	v_bfe_u32 v2, v34, 23, 1
	v_mov_b32_e32 v1, v35
; %bb.476:                              ;   in Loop: Header=BB4_127 Depth=2
	s_or_b64 exec, exec, s[20:21]
	v_lshrrev_b64 v[0:1], 21, v[0:1]
	v_cmp_gt_i32_e32 vcc, 32, v2
	v_cndmask_b32_e32 v1, 0, v1, vcc
	v_cndmask_b32_e32 v0, 3, v0, vcc
	v_cmp_eq_u64_e64 s[20:21], 0, v[0:1]
	v_min_i32_e32 v1, 31, v2
	v_lshlrev_b32_e32 v1, 2, v1
	v_cmp_eq_u32_e32 vcc, 0, v2
	v_and_b32_e32 v1, 0xfc, v1
	v_and_or_b32 v0, v0, 3, v1
	s_and_b64 s[20:21], vcc, s[20:21]
	v_cndmask_b32_e64 v0, v0, 0, s[20:21]
	v_or_b32_e32 v22, v0, v4
.LBB4_477:                              ;   in Loop: Header=BB4_127 Depth=2
	s_or_b64 exec, exec, s[90:91]
                                        ; implicit-def: $vgpr4
.LBB4_478:                              ;   in Loop: Header=BB4_127 Depth=2
	s_andn2_saveexec_b64 s[20:21], s[88:89]
; %bb.479:                              ;   in Loop: Header=BB4_127 Depth=2
	v_or_b32_e32 v22, 0x7b, v4
; %bb.480:                              ;   in Loop: Header=BB4_127 Depth=2
	s_or_b64 exec, exec, s[20:21]
                                        ; implicit-def: $vgpr0
.LBB4_481:                              ;   in Loop: Header=BB4_127 Depth=2
	s_andn2_saveexec_b64 s[20:21], s[78:79]
	s_cbranch_execz .LBB4_487
; %bb.482:                              ;   in Loop: Header=BB4_127 Depth=2
	v_cmp_ne_u64_e32 vcc, 0, v[34:35]
                                        ; implicit-def: $vgpr22
	s_and_saveexec_b64 s[78:79], vcc
	s_xor_b64 s[78:79], exec, s[78:79]
; %bb.483:                              ;   in Loop: Header=BB4_127 Depth=2
	v_or_b32_sdwa v22, v0, s65 dst_sel:DWORD dst_unused:UNUSED_PAD src0_sel:BYTE_3 src1_sel:DWORD
                                        ; implicit-def: $vgpr0
; %bb.484:                              ;   in Loop: Header=BB4_127 Depth=2
	s_andn2_saveexec_b64 s[78:79], s[78:79]
; %bb.485:                              ;   in Loop: Header=BB4_127 Depth=2
	v_cmp_lt_i32_e32 vcc, -1, v0
	v_bfrev_b32_e32 v0, 0.5
	v_mov_b32_e32 v1, 0x7c
	v_cndmask_b32_e32 v22, v0, v1, vcc
; %bb.486:                              ;   in Loop: Header=BB4_127 Depth=2
	s_or_b64 exec, exec, s[78:79]
.LBB4_487:                              ;   in Loop: Header=BB4_127 Depth=2
	s_or_b64 exec, exec, s[20:21]
	v_lshrrev_b32_e32 v0, 16, v24
	v_cmp_ne_u16_sdwa s[78:79], v0, v35 src0_sel:BYTE_0 src1_sel:DWORD
	v_mov_b32_e32 v1, 0
	v_mov_b32_e32 v2, 0
	s_and_saveexec_b64 s[20:21], s[78:79]
	s_cbranch_execz .LBB4_495
; %bb.488:                              ;   in Loop: Header=BB4_127 Depth=2
	v_cmp_ne_u16_sdwa s[88:89], v0, s55 src0_sel:BYTE_0 src1_sel:DWORD
	v_bfrev_b32_e32 v2, 1
	s_and_saveexec_b64 s[78:79], s[88:89]
	s_cbranch_execz .LBB4_494
; %bb.489:                              ;   in Loop: Header=BB4_127 Depth=2
	v_and_b32_e32 v2, 0x7c0000, v24
	v_bfe_u32 v4, v24, 16, 2
	v_cmp_ne_u32_e32 vcc, s66, v2
                                        ; implicit-def: $vgpr2
	s_and_saveexec_b64 s[88:89], vcc
	s_xor_b64 s[88:89], exec, s[88:89]
	s_cbranch_execz .LBB4_491
; %bb.490:                              ;   in Loop: Header=BB4_127 Depth=2
	v_ffbh_u32_e32 v23, v4
	v_min_u32_e32 v23, 32, v23
	v_subrev_u32_e32 v26, 29, v23
	v_lshlrev_b64 v[49:50], v26, v[0:1]
	v_bfe_u32 v2, v24, 18, 5
	v_sub_u32_e32 v0, 30, v23
	v_and_b32_e32 v23, 3, v49
	v_cmp_eq_u32_e32 vcc, 0, v2
	v_cndmask_b32_e32 v0, v2, v0, vcc
	v_cndmask_b32_e32 v2, v4, v23, vcc
	v_lshlrev_b32_e32 v4, 8, v24
	v_and_b32_e32 v4, 0x80000000, v4
	v_lshl_add_u32 v0, v0, 23, v4
	v_lshl_or_b32 v0, v2, 21, v0
	v_add_u32_e32 v2, 0x38000000, v0
                                        ; implicit-def: $vgpr4
                                        ; implicit-def: $vgpr0
.LBB4_491:                              ;   in Loop: Header=BB4_127 Depth=2
	s_andn2_saveexec_b64 s[88:89], s[88:89]
; %bb.492:                              ;   in Loop: Header=BB4_127 Depth=2
	v_mov_b32_e32 v2, -1
	v_cmp_gt_i16_sdwa vcc, sext(v0), v2 src0_sel:BYTE_0 src1_sel:DWORD
	v_cndmask_b32_e32 v0, v5, v36, vcc
	v_cmp_eq_u32_e32 vcc, 0, v4
	v_cndmask_b32_e32 v2, v37, v0, vcc
; %bb.493:                              ;   in Loop: Header=BB4_127 Depth=2
	s_or_b64 exec, exec, s[88:89]
.LBB4_494:                              ;   in Loop: Header=BB4_127 Depth=2
	s_or_b64 exec, exec, s[78:79]
.LBB4_495:                              ;   in Loop: Header=BB4_127 Depth=2
	s_or_b64 exec, exec, s[20:21]
	v_lshrrev_b32_e32 v0, 16, v20
	v_cmp_ne_u16_sdwa s[78:79], v0, v35 src0_sel:BYTE_0 src1_sel:DWORD
	s_and_saveexec_b64 s[20:21], s[78:79]
	s_cbranch_execz .LBB4_503
; %bb.496:                              ;   in Loop: Header=BB4_127 Depth=2
	v_cmp_ne_u16_sdwa s[88:89], v0, s55 src0_sel:BYTE_0 src1_sel:DWORD
	v_bfrev_b32_e32 v1, 1
	s_and_saveexec_b64 s[78:79], s[88:89]
	s_cbranch_execz .LBB4_502
; %bb.497:                              ;   in Loop: Header=BB4_127 Depth=2
	v_and_b32_e32 v1, 0x7c0000, v20
	v_bfe_u32 v4, v20, 16, 2
	v_cmp_ne_u32_e32 vcc, s66, v1
                                        ; implicit-def: $vgpr1
	s_and_saveexec_b64 s[88:89], vcc
	s_xor_b64 s[88:89], exec, s[88:89]
	s_cbranch_execz .LBB4_499
; %bb.498:                              ;   in Loop: Header=BB4_127 Depth=2
	v_ffbh_u32_e32 v1, v4
	v_min_u32_e32 v26, 32, v1
	v_subrev_u32_e32 v1, 29, v26
	v_lshlrev_b64 v[0:1], v1, v[0:1]
	v_bfe_u32 v23, v20, 18, 5
	v_and_b32_e32 v0, 3, v0
	v_cmp_eq_u32_e32 vcc, 0, v23
	v_sub_u32_e32 v1, 30, v26
	v_cndmask_b32_e32 v0, v4, v0, vcc
	v_lshlrev_b32_e32 v4, 8, v20
	v_cndmask_b32_e32 v1, v23, v1, vcc
	v_and_b32_e32 v4, 0x80000000, v4
	v_lshl_add_u32 v1, v1, 23, v4
	v_lshl_or_b32 v0, v0, 21, v1
	v_add_u32_e32 v1, 0x38000000, v0
                                        ; implicit-def: $vgpr4
                                        ; implicit-def: $vgpr0
.LBB4_499:                              ;   in Loop: Header=BB4_127 Depth=2
	s_andn2_saveexec_b64 s[88:89], s[88:89]
; %bb.500:                              ;   in Loop: Header=BB4_127 Depth=2
	v_mov_b32_e32 v1, -1
	v_cmp_gt_i16_sdwa vcc, sext(v0), v1 src0_sel:BYTE_0 src1_sel:DWORD
	v_cndmask_b32_e32 v0, v5, v36, vcc
	v_cmp_eq_u32_e32 vcc, 0, v4
	v_cndmask_b32_e32 v1, v37, v0, vcc
; %bb.501:                              ;   in Loop: Header=BB4_127 Depth=2
	s_or_b64 exec, exec, s[88:89]
.LBB4_502:                              ;   in Loop: Header=BB4_127 Depth=2
	s_or_b64 exec, exec, s[78:79]
.LBB4_503:                              ;   in Loop: Header=BB4_127 Depth=2
	s_or_b64 exec, exec, s[20:21]
	v_mul_f32_e32 v0, v2, v1
	v_and_b32_e32 v1, 0x7f800000, v0
	v_mov_b32_e32 v2, v35
	v_cmp_ne_u64_e32 vcc, s[60:61], v[1:2]
	v_and_b32_e32 v34, 0x7fffff, v0
                                        ; implicit-def: $vgpr23
	s_and_saveexec_b64 s[20:21], vcc
	s_xor_b64 s[78:79], exec, s[20:21]
	s_cbranch_execz .LBB4_517
; %bb.504:                              ;   in Loop: Header=BB4_127 Depth=2
	v_and_b32_e32 v1, 0x7fffffff, v0
	v_mov_b32_e32 v2, v35
	v_cmp_gt_u64_e32 vcc, s[62:63], v[1:2]
	v_and_b32_sdwa v4, v0, s55 dst_sel:DWORD dst_unused:UNUSED_PAD src0_sel:BYTE_3 src1_sel:DWORD
                                        ; implicit-def: $vgpr23
	s_and_saveexec_b64 s[20:21], vcc
	s_xor_b64 s[88:89], exec, s[20:21]
	s_cbranch_execz .LBB4_514
; %bb.505:                              ;   in Loop: Header=BB4_127 Depth=2
	v_mov_b32_e32 v23, 0
	v_cmp_ne_u32_e32 vcc, 0, v0
	s_and_saveexec_b64 s[90:91], vcc
	s_cbranch_execz .LBB4_513
; %bb.506:                              ;   in Loop: Header=BB4_127 Depth=2
	v_bfe_u32 v23, v0, 23, 8
	v_cmp_gt_u32_e64 s[20:21], s64, v23
	v_sub_u32_e32 v0, 0x71, v23
	v_cmp_eq_u32_e32 vcc, 0, v23
	v_cndmask_b32_e64 v0, 0, v0, s[20:21]
	v_mov_b32_e32 v2, 0x70
	v_cndmask_b32_e32 v49, v0, v2, vcc
	v_or_b32_e32 v1, 0x800000, v34
	v_add_u32_e32 v0, 21, v49
	v_cndmask_b32_e32 v34, v1, v34, vcc
	v_lshlrev_b64 v[0:1], v0, -1
	v_add_u32_e32 v2, 20, v49
	v_lshlrev_b64 v[50:51], v2, 1
	v_bfi_b32 v1, v1, 0, 0
	v_bfi_b32 v0, v0, 0, v34
	v_cmp_eq_u64_e64 s[20:21], v[0:1], v[50:51]
	v_lshrrev_b64 v[0:1], v49, v[34:35]
	v_mov_b32_e32 v2, v1
	v_mov_b32_e32 v1, v0
	s_and_saveexec_b64 s[92:93], s[20:21]
; %bb.507:                              ;   in Loop: Header=BB4_127 Depth=2
	v_bfe_u32 v1, v0, 21, 1
	v_add_co_u32_e64 v1, s[20:21], v0, v1
	v_add_co_u32_e64 v1, s[20:21], -1, v1
; %bb.508:                              ;   in Loop: Header=BB4_127 Depth=2
	s_or_b64 exec, exec, s[92:93]
	v_add_u32_e32 v2, 0xffffff81, v23
	v_mov_b32_e32 v23, 0xffffff82
	v_cndmask_b32_e32 v2, v2, v23, vcc
	v_lshrrev_b32_e32 v23, 23, v0
	v_add3_u32 v49, v49, v2, v23
	v_add_u32_e32 v23, 14, v49
	v_and_b32_e32 v1, 0x1fffff, v1
	v_add_u32_e32 v34, v1, v0
	v_cmp_ne_u32_e32 vcc, 0, v23
                                        ; implicit-def: $vgpr0_vgpr1
                                        ; implicit-def: $vgpr2
	s_and_saveexec_b64 s[20:21], vcc
	s_xor_b64 s[20:21], exec, s[20:21]
; %bb.509:                              ;   in Loop: Header=BB4_127 Depth=2
	v_cmp_lt_u64_e32 vcc, s[72:73], v[34:35]
	v_add_u32_e32 v0, 15, v49
	v_cndmask_b32_e32 v2, v23, v0, vcc
	v_cndmask_b32_e64 v0, 0, 1, vcc
	v_lshrrev_b64 v[0:1], v0, v[34:35]
; %bb.510:                              ;   in Loop: Header=BB4_127 Depth=2
	s_andn2_saveexec_b64 s[20:21], s[20:21]
; %bb.511:                              ;   in Loop: Header=BB4_127 Depth=2
	v_mov_b32_e32 v0, v34
	v_bfe_u32 v2, v34, 23, 1
	v_mov_b32_e32 v1, v35
; %bb.512:                              ;   in Loop: Header=BB4_127 Depth=2
	s_or_b64 exec, exec, s[20:21]
	v_lshrrev_b64 v[0:1], 21, v[0:1]
	v_cmp_gt_i32_e32 vcc, 32, v2
	v_cndmask_b32_e32 v1, 0, v1, vcc
	v_cndmask_b32_e32 v0, 3, v0, vcc
	v_cmp_eq_u64_e64 s[20:21], 0, v[0:1]
	v_min_i32_e32 v1, 31, v2
	v_lshlrev_b32_e32 v1, 2, v1
	v_cmp_eq_u32_e32 vcc, 0, v2
	v_and_b32_e32 v1, 0xfc, v1
	v_and_or_b32 v0, v0, 3, v1
	s_and_b64 s[20:21], vcc, s[20:21]
	v_cndmask_b32_e64 v0, v0, 0, s[20:21]
	v_or_b32_e32 v23, v0, v4
.LBB4_513:                              ;   in Loop: Header=BB4_127 Depth=2
	s_or_b64 exec, exec, s[90:91]
                                        ; implicit-def: $vgpr4
.LBB4_514:                              ;   in Loop: Header=BB4_127 Depth=2
	s_andn2_saveexec_b64 s[20:21], s[88:89]
; %bb.515:                              ;   in Loop: Header=BB4_127 Depth=2
	v_or_b32_e32 v23, 0x7b, v4
; %bb.516:                              ;   in Loop: Header=BB4_127 Depth=2
	s_or_b64 exec, exec, s[20:21]
                                        ; implicit-def: $vgpr0
.LBB4_517:                              ;   in Loop: Header=BB4_127 Depth=2
	s_andn2_saveexec_b64 s[20:21], s[78:79]
	s_cbranch_execz .LBB4_523
; %bb.518:                              ;   in Loop: Header=BB4_127 Depth=2
	v_cmp_ne_u64_e32 vcc, 0, v[34:35]
                                        ; implicit-def: $vgpr23
	s_and_saveexec_b64 s[78:79], vcc
	s_xor_b64 s[78:79], exec, s[78:79]
; %bb.519:                              ;   in Loop: Header=BB4_127 Depth=2
	v_or_b32_sdwa v23, v0, s65 dst_sel:DWORD dst_unused:UNUSED_PAD src0_sel:BYTE_3 src1_sel:DWORD
                                        ; implicit-def: $vgpr0
; %bb.520:                              ;   in Loop: Header=BB4_127 Depth=2
	s_andn2_saveexec_b64 s[78:79], s[78:79]
; %bb.521:                              ;   in Loop: Header=BB4_127 Depth=2
	v_cmp_lt_i32_e32 vcc, -1, v0
	v_bfrev_b32_e32 v0, 0.5
	v_mov_b32_e32 v1, 0x7c
	v_cndmask_b32_e32 v23, v0, v1, vcc
; %bb.522:                              ;   in Loop: Header=BB4_127 Depth=2
	s_or_b64 exec, exec, s[78:79]
.LBB4_523:                              ;   in Loop: Header=BB4_127 Depth=2
	s_or_b64 exec, exec, s[20:21]
	v_cmp_lt_u32_e32 vcc, s59, v24
	v_mov_b32_e32 v1, 0
	v_mov_b32_e32 v2, 0
	s_and_saveexec_b64 s[20:21], vcc
	s_cbranch_execz .LBB4_531
; %bb.524:                              ;   in Loop: Header=BB4_127 Depth=2
	v_lshrrev_b32_e32 v0, 24, v24
	v_cmp_ne_u32_e32 vcc, s55, v0
	v_bfrev_b32_e32 v2, 1
	s_and_saveexec_b64 s[78:79], vcc
	s_cbranch_execz .LBB4_530
; %bb.525:                              ;   in Loop: Header=BB4_127 Depth=2
	v_and_b32_e32 v2, 0x7c000000, v24
	v_bfe_u32 v4, v24, 24, 2
	v_cmp_ne_u32_e32 vcc, s67, v2
                                        ; implicit-def: $vgpr2
	s_and_saveexec_b64 s[88:89], vcc
	s_xor_b64 s[88:89], exec, s[88:89]
	s_cbranch_execz .LBB4_527
; %bb.526:                              ;   in Loop: Header=BB4_127 Depth=2
	v_ffbh_u32_e32 v26, v4
	v_min_u32_e32 v26, 32, v26
	v_subrev_u32_e32 v27, 29, v26
	v_lshlrev_b64 v[49:50], v27, v[0:1]
	v_bfe_u32 v2, v24, 26, 5
	v_sub_u32_e32 v0, 30, v26
	v_and_b32_e32 v26, 3, v49
	v_cmp_eq_u32_e32 vcc, 0, v2
	v_cndmask_b32_e32 v0, v2, v0, vcc
	v_cndmask_b32_e32 v2, v4, v26, vcc
	v_and_b32_e32 v4, 0x80000000, v24
	v_lshl_add_u32 v0, v0, 23, v4
	v_lshl_or_b32 v0, v2, 21, v0
	v_add_u32_e32 v2, 0x38000000, v0
                                        ; implicit-def: $vgpr4
.LBB4_527:                              ;   in Loop: Header=BB4_127 Depth=2
	s_andn2_saveexec_b64 s[88:89], s[88:89]
; %bb.528:                              ;   in Loop: Header=BB4_127 Depth=2
	v_cmp_lt_i32_e32 vcc, -1, v24
	v_cndmask_b32_e32 v0, v5, v36, vcc
	v_cmp_eq_u32_e32 vcc, 0, v4
	v_cndmask_b32_e32 v2, v37, v0, vcc
; %bb.529:                              ;   in Loop: Header=BB4_127 Depth=2
	s_or_b64 exec, exec, s[88:89]
.LBB4_530:                              ;   in Loop: Header=BB4_127 Depth=2
	s_or_b64 exec, exec, s[78:79]
.LBB4_531:                              ;   in Loop: Header=BB4_127 Depth=2
	s_or_b64 exec, exec, s[20:21]
	v_cmp_lt_u32_e32 vcc, s59, v20
	s_and_saveexec_b64 s[20:21], vcc
	s_cbranch_execz .LBB4_539
; %bb.532:                              ;   in Loop: Header=BB4_127 Depth=2
	v_lshrrev_b32_e32 v0, 24, v20
	v_cmp_ne_u32_e32 vcc, s55, v0
	v_bfrev_b32_e32 v1, 1
	s_and_saveexec_b64 s[78:79], vcc
	s_cbranch_execz .LBB4_538
; %bb.533:                              ;   in Loop: Header=BB4_127 Depth=2
	v_and_b32_e32 v1, 0x7c000000, v20
	v_bfe_u32 v4, v20, 24, 2
	v_cmp_ne_u32_e32 vcc, s67, v1
                                        ; implicit-def: $vgpr1
	s_and_saveexec_b64 s[88:89], vcc
	s_xor_b64 s[88:89], exec, s[88:89]
	s_cbranch_execz .LBB4_535
; %bb.534:                              ;   in Loop: Header=BB4_127 Depth=2
	v_ffbh_u32_e32 v1, v4
	v_min_u32_e32 v27, 32, v1
	v_subrev_u32_e32 v1, 29, v27
	v_lshlrev_b64 v[0:1], v1, v[0:1]
	v_bfe_u32 v26, v20, 26, 5
	v_sub_u32_e32 v1, 30, v27
	v_and_b32_e32 v0, 3, v0
	v_cmp_eq_u32_e32 vcc, 0, v26
	v_cndmask_b32_e32 v1, v26, v1, vcc
	v_cndmask_b32_e32 v0, v4, v0, vcc
	v_and_b32_e32 v4, 0x80000000, v20
	v_lshl_add_u32 v1, v1, 23, v4
	v_lshl_or_b32 v0, v0, 21, v1
	v_add_u32_e32 v1, 0x38000000, v0
                                        ; implicit-def: $vgpr4
.LBB4_535:                              ;   in Loop: Header=BB4_127 Depth=2
	s_andn2_saveexec_b64 s[88:89], s[88:89]
; %bb.536:                              ;   in Loop: Header=BB4_127 Depth=2
	v_cmp_lt_i32_e32 vcc, -1, v20
	v_cndmask_b32_e32 v0, v5, v36, vcc
	v_cmp_eq_u32_e32 vcc, 0, v4
	v_cndmask_b32_e32 v1, v37, v0, vcc
; %bb.537:                              ;   in Loop: Header=BB4_127 Depth=2
	s_or_b64 exec, exec, s[88:89]
.LBB4_538:                              ;   in Loop: Header=BB4_127 Depth=2
	s_or_b64 exec, exec, s[78:79]
.LBB4_539:                              ;   in Loop: Header=BB4_127 Depth=2
	s_or_b64 exec, exec, s[20:21]
	v_mul_f32_e32 v0, v2, v1
	v_and_b32_e32 v1, 0x7f800000, v0
	v_mov_b32_e32 v2, v35
	v_cmp_ne_u64_e32 vcc, s[60:61], v[1:2]
	v_and_b32_e32 v34, 0x7fffff, v0
                                        ; implicit-def: $vgpr49
	s_and_saveexec_b64 s[20:21], vcc
	s_xor_b64 s[78:79], exec, s[20:21]
	s_cbranch_execz .LBB4_553
; %bb.540:                              ;   in Loop: Header=BB4_127 Depth=2
	v_and_b32_e32 v1, 0x7fffffff, v0
	v_mov_b32_e32 v2, v35
	v_cmp_gt_u64_e32 vcc, s[62:63], v[1:2]
	v_and_b32_sdwa v4, v0, s55 dst_sel:DWORD dst_unused:UNUSED_PAD src0_sel:BYTE_3 src1_sel:DWORD
                                        ; implicit-def: $vgpr49
	s_and_saveexec_b64 s[20:21], vcc
	s_xor_b64 s[88:89], exec, s[20:21]
	s_cbranch_execz .LBB4_550
; %bb.541:                              ;   in Loop: Header=BB4_127 Depth=2
	v_mov_b32_e32 v49, 0
	v_cmp_ne_u32_e32 vcc, 0, v0
	s_and_saveexec_b64 s[90:91], vcc
	s_cbranch_execz .LBB4_549
; %bb.542:                              ;   in Loop: Header=BB4_127 Depth=2
	v_bfe_u32 v49, v0, 23, 8
	v_cmp_gt_u32_e64 s[20:21], s64, v49
	v_sub_u32_e32 v0, 0x71, v49
	v_cmp_eq_u32_e32 vcc, 0, v49
	v_cndmask_b32_e64 v0, 0, v0, s[20:21]
	v_mov_b32_e32 v2, 0x70
	v_cndmask_b32_e32 v50, v0, v2, vcc
	v_or_b32_e32 v1, 0x800000, v34
	v_add_u32_e32 v0, 21, v50
	v_cndmask_b32_e32 v34, v1, v34, vcc
	v_lshlrev_b64 v[0:1], v0, -1
	v_add_u32_e32 v2, 20, v50
	v_lshlrev_b64 v[51:52], v2, 1
	v_bfi_b32 v1, v1, 0, 0
	v_bfi_b32 v0, v0, 0, v34
	v_cmp_eq_u64_e64 s[20:21], v[0:1], v[51:52]
	v_lshrrev_b64 v[0:1], v50, v[34:35]
	v_mov_b32_e32 v2, v1
	v_mov_b32_e32 v1, v0
	s_and_saveexec_b64 s[92:93], s[20:21]
; %bb.543:                              ;   in Loop: Header=BB4_127 Depth=2
	v_bfe_u32 v1, v0, 21, 1
	v_add_co_u32_e64 v1, s[20:21], v0, v1
	v_add_co_u32_e64 v1, s[20:21], -1, v1
; %bb.544:                              ;   in Loop: Header=BB4_127 Depth=2
	s_or_b64 exec, exec, s[92:93]
	v_add_u32_e32 v2, 0xffffff81, v49
	v_mov_b32_e32 v26, 0xffffff82
	v_cndmask_b32_e32 v2, v2, v26, vcc
	v_lshrrev_b32_e32 v26, 23, v0
	v_add3_u32 v50, v50, v2, v26
	v_add_u32_e32 v49, 14, v50
	v_and_b32_e32 v1, 0x1fffff, v1
	v_add_u32_e32 v34, v1, v0
	v_cmp_ne_u32_e32 vcc, 0, v49
                                        ; implicit-def: $vgpr0_vgpr1
                                        ; implicit-def: $vgpr2
	s_and_saveexec_b64 s[20:21], vcc
	s_xor_b64 s[20:21], exec, s[20:21]
; %bb.545:                              ;   in Loop: Header=BB4_127 Depth=2
	v_cmp_lt_u64_e32 vcc, s[72:73], v[34:35]
	v_add_u32_e32 v0, 15, v50
	v_cndmask_b32_e32 v2, v49, v0, vcc
	v_cndmask_b32_e64 v0, 0, 1, vcc
	v_lshrrev_b64 v[0:1], v0, v[34:35]
; %bb.546:                              ;   in Loop: Header=BB4_127 Depth=2
	s_andn2_saveexec_b64 s[20:21], s[20:21]
; %bb.547:                              ;   in Loop: Header=BB4_127 Depth=2
	v_mov_b32_e32 v0, v34
	v_bfe_u32 v2, v34, 23, 1
	v_mov_b32_e32 v1, v35
; %bb.548:                              ;   in Loop: Header=BB4_127 Depth=2
	s_or_b64 exec, exec, s[20:21]
	v_lshrrev_b64 v[0:1], 21, v[0:1]
	v_cmp_gt_i32_e32 vcc, 32, v2
	v_cndmask_b32_e32 v1, 0, v1, vcc
	v_cndmask_b32_e32 v0, 3, v0, vcc
	v_cmp_eq_u64_e64 s[20:21], 0, v[0:1]
	v_min_i32_e32 v1, 31, v2
	v_lshlrev_b32_e32 v1, 2, v1
	v_cmp_eq_u32_e32 vcc, 0, v2
	v_and_b32_e32 v1, 0xfc, v1
	v_and_or_b32 v0, v0, 3, v1
	s_and_b64 s[20:21], vcc, s[20:21]
	v_cndmask_b32_e64 v0, v0, 0, s[20:21]
	v_or_b32_e32 v49, v0, v4
.LBB4_549:                              ;   in Loop: Header=BB4_127 Depth=2
	s_or_b64 exec, exec, s[90:91]
                                        ; implicit-def: $vgpr4
.LBB4_550:                              ;   in Loop: Header=BB4_127 Depth=2
	s_andn2_saveexec_b64 s[20:21], s[88:89]
; %bb.551:                              ;   in Loop: Header=BB4_127 Depth=2
	v_or_b32_e32 v49, 0x7b, v4
; %bb.552:                              ;   in Loop: Header=BB4_127 Depth=2
	s_or_b64 exec, exec, s[20:21]
                                        ; implicit-def: $vgpr0
.LBB4_553:                              ;   in Loop: Header=BB4_127 Depth=2
	s_andn2_saveexec_b64 s[20:21], s[78:79]
	s_cbranch_execz .LBB4_559
; %bb.554:                              ;   in Loop: Header=BB4_127 Depth=2
	v_cmp_ne_u64_e32 vcc, 0, v[34:35]
                                        ; implicit-def: $vgpr49
	s_and_saveexec_b64 s[78:79], vcc
	s_xor_b64 s[78:79], exec, s[78:79]
; %bb.555:                              ;   in Loop: Header=BB4_127 Depth=2
	v_or_b32_sdwa v49, v0, s65 dst_sel:DWORD dst_unused:UNUSED_PAD src0_sel:BYTE_3 src1_sel:DWORD
                                        ; implicit-def: $vgpr0
; %bb.556:                              ;   in Loop: Header=BB4_127 Depth=2
	s_andn2_saveexec_b64 s[78:79], s[78:79]
; %bb.557:                              ;   in Loop: Header=BB4_127 Depth=2
	v_cmp_lt_i32_e32 vcc, -1, v0
	v_bfrev_b32_e32 v0, 0.5
	v_mov_b32_e32 v1, 0x7c
	v_cndmask_b32_e32 v49, v0, v1, vcc
; %bb.558:                              ;   in Loop: Header=BB4_127 Depth=2
	s_or_b64 exec, exec, s[78:79]
.LBB4_559:                              ;   in Loop: Header=BB4_127 Depth=2
	s_or_b64 exec, exec, s[20:21]
	v_mov_b32_e32 v34, v25
	v_cmp_ne_u16_sdwa s[78:79], v25, v35 src0_sel:BYTE_0 src1_sel:DWORD
	v_mov_b32_e32 v1, 0
	v_mov_b32_e32 v0, 0
	s_and_saveexec_b64 s[20:21], s[78:79]
	s_cbranch_execz .LBB4_567
; %bb.560:                              ;   in Loop: Header=BB4_127 Depth=2
	v_cmp_ne_u16_sdwa s[88:89], v25, s55 src0_sel:BYTE_0 src1_sel:DWORD
	v_bfrev_b32_e32 v0, 1
	s_and_saveexec_b64 s[78:79], s[88:89]
	s_cbranch_execz .LBB4_566
; %bb.561:                              ;   in Loop: Header=BB4_127 Depth=2
	v_and_b32_e32 v0, 0x7c, v25
	v_and_b32_e32 v2, 3, v25
	v_cmp_ne_u32_e32 vcc, s53, v0
                                        ; implicit-def: $vgpr0
	s_and_saveexec_b64 s[88:89], vcc
	s_xor_b64 s[88:89], exec, s[88:89]
	s_cbranch_execz .LBB4_563
; %bb.562:                              ;   in Loop: Header=BB4_127 Depth=2
	v_ffbh_u32_e32 v4, v2
	v_min_u32_e32 v4, 32, v4
	v_bfe_u32 v0, v25, 2, 5
	v_subrev_u32_e32 v26, 29, v4
	v_lshlrev_b64 v[50:51], v26, v[34:35]
	v_sub_u32_e32 v4, 30, v4
	v_cmp_eq_u32_e32 vcc, 0, v0
	v_cndmask_b32_e32 v0, v0, v4, vcc
	v_lshlrev_b32_e32 v4, 24, v25
	v_and_b32_e32 v26, 3, v50
	v_and_b32_e32 v4, 0x80000000, v4
	v_cndmask_b32_e32 v2, v2, v26, vcc
	v_lshl_add_u32 v0, v0, 23, v4
	v_lshl_or_b32 v0, v2, 21, v0
	v_add_u32_e32 v0, 0x38000000, v0
                                        ; implicit-def: $vgpr2
.LBB4_563:                              ;   in Loop: Header=BB4_127 Depth=2
	s_andn2_saveexec_b64 s[88:89], s[88:89]
; %bb.564:                              ;   in Loop: Header=BB4_127 Depth=2
	v_mov_b32_e32 v0, -1
	v_cmp_gt_i16_sdwa vcc, sext(v25), v0 src0_sel:BYTE_0 src1_sel:DWORD
	v_cndmask_b32_e32 v0, v5, v36, vcc
	v_cmp_eq_u32_e32 vcc, 0, v2
	v_cndmask_b32_e32 v0, v37, v0, vcc
; %bb.565:                              ;   in Loop: Header=BB4_127 Depth=2
	s_or_b64 exec, exec, s[88:89]
.LBB4_566:                              ;   in Loop: Header=BB4_127 Depth=2
	s_or_b64 exec, exec, s[78:79]
.LBB4_567:                              ;   in Loop: Header=BB4_127 Depth=2
	s_or_b64 exec, exec, s[20:21]
	v_cmp_ne_u16_sdwa s[78:79], v21, v35 src0_sel:BYTE_0 src1_sel:DWORD
	s_and_saveexec_b64 s[20:21], s[78:79]
	s_cbranch_execz .LBB4_575
; %bb.568:                              ;   in Loop: Header=BB4_127 Depth=2
	v_cmp_ne_u16_sdwa s[88:89], v21, s55 src0_sel:BYTE_0 src1_sel:DWORD
	v_bfrev_b32_e32 v1, 1
	s_and_saveexec_b64 s[78:79], s[88:89]
	s_cbranch_execz .LBB4_574
; %bb.569:                              ;   in Loop: Header=BB4_127 Depth=2
	v_and_b32_e32 v1, 0x7c, v21
	v_and_b32_e32 v2, 3, v21
	v_cmp_ne_u32_e32 vcc, s53, v1
                                        ; implicit-def: $vgpr1
	s_and_saveexec_b64 s[88:89], vcc
	s_xor_b64 s[88:89], exec, s[88:89]
	s_cbranch_execz .LBB4_571
; %bb.570:                              ;   in Loop: Header=BB4_127 Depth=2
	v_ffbh_u32_e32 v4, v2
	v_min_u32_e32 v4, 32, v4
	v_mov_b32_e32 v50, v21
	v_mov_b32_e32 v51, v35
	v_bfe_u32 v1, v21, 2, 5
	v_subrev_u32_e32 v26, 29, v4
	v_lshlrev_b64 v[50:51], v26, v[50:51]
	v_sub_u32_e32 v4, 30, v4
	v_cmp_eq_u32_e32 vcc, 0, v1
	v_cndmask_b32_e32 v1, v1, v4, vcc
	v_lshlrev_b32_e32 v4, 24, v21
	v_and_b32_e32 v26, 3, v50
	v_and_b32_e32 v4, 0x80000000, v4
	v_cndmask_b32_e32 v2, v2, v26, vcc
	v_lshl_add_u32 v1, v1, 23, v4
	v_lshl_or_b32 v1, v2, 21, v1
	v_add_u32_e32 v1, 0x38000000, v1
                                        ; implicit-def: $vgpr2
.LBB4_571:                              ;   in Loop: Header=BB4_127 Depth=2
	s_andn2_saveexec_b64 s[88:89], s[88:89]
; %bb.572:                              ;   in Loop: Header=BB4_127 Depth=2
	v_mov_b32_e32 v1, -1
	v_cmp_gt_i16_sdwa vcc, sext(v21), v1 src0_sel:BYTE_0 src1_sel:DWORD
	v_cndmask_b32_e32 v1, v5, v36, vcc
	v_cmp_eq_u32_e32 vcc, 0, v2
	v_cndmask_b32_e32 v1, v37, v1, vcc
; %bb.573:                              ;   in Loop: Header=BB4_127 Depth=2
	s_or_b64 exec, exec, s[88:89]
.LBB4_574:                              ;   in Loop: Header=BB4_127 Depth=2
	s_or_b64 exec, exec, s[78:79]
.LBB4_575:                              ;   in Loop: Header=BB4_127 Depth=2
	s_or_b64 exec, exec, s[20:21]
	v_mul_f32_e32 v2, v0, v1
	v_and_b32_e32 v50, 0x7f800000, v2
	v_mov_b32_e32 v51, v35
	v_cmp_ne_u64_e32 vcc, s[60:61], v[50:51]
	v_and_b32_e32 v0, 0x7fffff, v2
	v_mov_b32_e32 v1, v35
                                        ; implicit-def: $vgpr50
	s_and_saveexec_b64 s[20:21], vcc
	s_xor_b64 s[78:79], exec, s[20:21]
	s_cbranch_execz .LBB4_589
; %bb.576:                              ;   in Loop: Header=BB4_127 Depth=2
	v_and_b32_e32 v50, 0x7fffffff, v2
	v_mov_b32_e32 v51, v35
	v_cmp_gt_u64_e32 vcc, s[62:63], v[50:51]
	v_and_b32_sdwa v4, v2, s55 dst_sel:DWORD dst_unused:UNUSED_PAD src0_sel:BYTE_3 src1_sel:DWORD
                                        ; implicit-def: $vgpr50
	s_and_saveexec_b64 s[20:21], vcc
	s_xor_b64 s[88:89], exec, s[20:21]
	s_cbranch_execz .LBB4_586
; %bb.577:                              ;   in Loop: Header=BB4_127 Depth=2
	v_mov_b32_e32 v50, 0
	v_cmp_ne_u32_e32 vcc, 0, v2
	s_and_saveexec_b64 s[90:91], vcc
	s_cbranch_execz .LBB4_585
; %bb.578:                              ;   in Loop: Header=BB4_127 Depth=2
	v_bfe_u32 v50, v2, 23, 8
	v_cmp_gt_u32_e64 s[20:21], s64, v50
	v_sub_u32_e32 v2, 0x71, v50
	v_cmp_eq_u32_e32 vcc, 0, v50
	v_cndmask_b32_e64 v2, 0, v2, s[20:21]
	v_mov_b32_e32 v27, 0x70
	v_cndmask_b32_e32 v51, v2, v27, vcc
	v_add_u32_e32 v2, 21, v51
	v_or_b32_e32 v26, 0x800000, v0
	v_lshlrev_b64 v[52:53], v2, -1
	v_cndmask_b32_e32 v0, v26, v0, vcc
	v_add_u32_e32 v2, 20, v51
	v_bfi_b32 v52, v52, 0, v0
	v_lshlrev_b64 v[40:41], v2, 1
	v_lshrrev_b64 v[0:1], v51, v[0:1]
	v_bfi_b32 v53, v53, 0, 0
	v_cmp_eq_u64_e64 s[20:21], v[52:53], v[40:41]
	v_mov_b32_e32 v2, v1
	v_mov_b32_e32 v1, v0
	s_and_saveexec_b64 s[92:93], s[20:21]
; %bb.579:                              ;   in Loop: Header=BB4_127 Depth=2
	v_bfe_u32 v1, v0, 21, 1
	v_add_co_u32_e64 v1, s[20:21], v0, v1
	v_add_co_u32_e64 v1, s[20:21], -1, v1
; %bb.580:                              ;   in Loop: Header=BB4_127 Depth=2
	s_or_b64 exec, exec, s[92:93]
	v_add_u32_e32 v2, 0xffffff81, v50
	v_mov_b32_e32 v26, 0xffffff82
	v_cndmask_b32_e32 v2, v2, v26, vcc
	v_lshrrev_b32_e32 v26, 23, v0
	v_add3_u32 v51, v51, v2, v26
	v_add_u32_e32 v50, 14, v51
	v_and_b32_e32 v1, 0x1fffff, v1
	v_add_u32_e32 v0, v1, v0
	v_mov_b32_e32 v1, v35
	v_cmp_ne_u32_e32 vcc, 0, v50
                                        ; implicit-def: $vgpr2
	s_and_saveexec_b64 s[20:21], vcc
	s_xor_b64 s[20:21], exec, s[20:21]
; %bb.581:                              ;   in Loop: Header=BB4_127 Depth=2
	v_cmp_lt_u64_e32 vcc, s[72:73], v[0:1]
	v_add_u32_e32 v2, 15, v51
	v_cndmask_b32_e64 v26, 0, 1, vcc
	v_cndmask_b32_e32 v2, v50, v2, vcc
	v_lshrrev_b64 v[0:1], v26, v[0:1]
; %bb.582:                              ;   in Loop: Header=BB4_127 Depth=2
	s_andn2_saveexec_b64 s[20:21], s[20:21]
; %bb.583:                              ;   in Loop: Header=BB4_127 Depth=2
	v_bfe_u32 v2, v0, 23, 1
; %bb.584:                              ;   in Loop: Header=BB4_127 Depth=2
	s_or_b64 exec, exec, s[20:21]
	v_lshrrev_b64 v[0:1], 21, v[0:1]
	v_cmp_gt_i32_e32 vcc, 32, v2
	v_cndmask_b32_e32 v1, 0, v1, vcc
	v_cndmask_b32_e32 v0, 3, v0, vcc
	v_cmp_eq_u64_e64 s[20:21], 0, v[0:1]
	v_min_i32_e32 v1, 31, v2
	v_lshlrev_b32_e32 v1, 2, v1
	v_cmp_eq_u32_e32 vcc, 0, v2
	v_and_b32_e32 v1, 0xfc, v1
	v_and_or_b32 v0, v0, 3, v1
	s_and_b64 s[20:21], vcc, s[20:21]
	v_cndmask_b32_e64 v0, v0, 0, s[20:21]
	v_or_b32_e32 v50, v0, v4
.LBB4_585:                              ;   in Loop: Header=BB4_127 Depth=2
	s_or_b64 exec, exec, s[90:91]
                                        ; implicit-def: $vgpr4
.LBB4_586:                              ;   in Loop: Header=BB4_127 Depth=2
	s_andn2_saveexec_b64 s[20:21], s[88:89]
; %bb.587:                              ;   in Loop: Header=BB4_127 Depth=2
	v_or_b32_e32 v50, 0x7b, v4
; %bb.588:                              ;   in Loop: Header=BB4_127 Depth=2
	s_or_b64 exec, exec, s[20:21]
                                        ; implicit-def: $vgpr2
                                        ; implicit-def: $vgpr0_vgpr1
.LBB4_589:                              ;   in Loop: Header=BB4_127 Depth=2
	s_andn2_saveexec_b64 s[20:21], s[78:79]
	s_cbranch_execz .LBB4_595
; %bb.590:                              ;   in Loop: Header=BB4_127 Depth=2
	v_cmp_ne_u64_e32 vcc, 0, v[0:1]
                                        ; implicit-def: $vgpr50
	s_and_saveexec_b64 s[78:79], vcc
	s_xor_b64 s[78:79], exec, s[78:79]
; %bb.591:                              ;   in Loop: Header=BB4_127 Depth=2
	v_or_b32_sdwa v50, v2, s65 dst_sel:DWORD dst_unused:UNUSED_PAD src0_sel:BYTE_3 src1_sel:DWORD
                                        ; implicit-def: $vgpr2
; %bb.592:                              ;   in Loop: Header=BB4_127 Depth=2
	s_andn2_saveexec_b64 s[78:79], s[78:79]
; %bb.593:                              ;   in Loop: Header=BB4_127 Depth=2
	v_cmp_lt_i32_e32 vcc, -1, v2
	v_bfrev_b32_e32 v0, 0.5
	v_mov_b32_e32 v1, 0x7c
	v_cndmask_b32_e32 v50, v0, v1, vcc
; %bb.594:                              ;   in Loop: Header=BB4_127 Depth=2
	s_or_b64 exec, exec, s[78:79]
.LBB4_595:                              ;   in Loop: Header=BB4_127 Depth=2
	s_or_b64 exec, exec, s[20:21]
	v_lshrrev_b16_e32 v0, 8, v34
	v_cmp_ne_u16_e32 vcc, 0, v0
	v_mov_b32_e32 v2, 0
	v_mov_b32_e32 v1, 0
	s_and_saveexec_b64 s[20:21], vcc
	s_cbranch_execz .LBB4_603
; %bb.596:                              ;   in Loop: Header=BB4_127 Depth=2
	v_cmp_ne_u16_e32 vcc, s55, v0
	v_bfrev_b32_e32 v1, 1
	s_and_saveexec_b64 s[78:79], vcc
	s_cbranch_execz .LBB4_602
; %bb.597:                              ;   in Loop: Header=BB4_127 Depth=2
	v_and_b32_e32 v1, 0x7c, v0
	v_and_b32_e32 v4, 3, v0
	v_cmp_ne_u32_e32 vcc, s53, v1
                                        ; implicit-def: $vgpr1
	s_and_saveexec_b64 s[88:89], vcc
	s_xor_b64 s[88:89], exec, s[88:89]
	s_cbranch_execz .LBB4_599
; %bb.598:                              ;   in Loop: Header=BB4_127 Depth=2
	v_ffbh_u32_e32 v27, v4
	v_min_u32_e32 v27, 32, v27
	v_mov_b32_e32 v1, v35
	v_subrev_u32_e32 v51, 29, v27
	v_bfe_u32 v26, v0, 2, 5
	v_lshlrev_b64 v[0:1], v51, v[0:1]
	v_cmp_eq_u32_e32 vcc, 0, v26
	v_and_b32_e32 v0, 3, v0
	v_sub_u32_e32 v1, 30, v27
	v_cndmask_b32_e32 v0, v4, v0, vcc
	v_lshlrev_b32_e32 v4, 16, v34
	v_cndmask_b32_e32 v1, v26, v1, vcc
	v_and_b32_e32 v4, 0x80000000, v4
	v_lshl_add_u32 v1, v1, 23, v4
	v_lshl_or_b32 v0, v0, 21, v1
	v_add_u32_e32 v1, 0x38000000, v0
                                        ; implicit-def: $vgpr4
.LBB4_599:                              ;   in Loop: Header=BB4_127 Depth=2
	s_andn2_saveexec_b64 s[88:89], s[88:89]
; %bb.600:                              ;   in Loop: Header=BB4_127 Depth=2
	v_cmp_lt_i16_e32 vcc, -1, v34
	v_cndmask_b32_e32 v0, v5, v36, vcc
	v_cmp_eq_u32_e32 vcc, 0, v4
	v_cndmask_b32_e32 v1, v37, v0, vcc
; %bb.601:                              ;   in Loop: Header=BB4_127 Depth=2
	s_or_b64 exec, exec, s[88:89]
.LBB4_602:                              ;   in Loop: Header=BB4_127 Depth=2
	s_or_b64 exec, exec, s[78:79]
.LBB4_603:                              ;   in Loop: Header=BB4_127 Depth=2
	s_or_b64 exec, exec, s[20:21]
	v_lshrrev_b16_e32 v34, 8, v21
	v_cmp_ne_u16_e32 vcc, 0, v34
	s_and_saveexec_b64 s[20:21], vcc
	s_cbranch_execz .LBB4_611
; %bb.604:                              ;   in Loop: Header=BB4_127 Depth=2
	v_cmp_ne_u16_e32 vcc, s55, v34
	v_bfrev_b32_e32 v2, 1
	s_and_saveexec_b64 s[78:79], vcc
	s_cbranch_execz .LBB4_610
; %bb.605:                              ;   in Loop: Header=BB4_127 Depth=2
	v_and_b32_e32 v2, 0x7c, v34
	v_and_b32_e32 v0, 3, v34
	v_cmp_ne_u32_e32 vcc, s53, v2
                                        ; implicit-def: $vgpr2
	s_and_saveexec_b64 s[88:89], vcc
	s_xor_b64 s[88:89], exec, s[88:89]
	s_cbranch_execz .LBB4_607
; %bb.606:                              ;   in Loop: Header=BB4_127 Depth=2
	v_ffbh_u32_e32 v4, v0
	v_min_u32_e32 v4, 32, v4
	v_bfe_u32 v2, v34, 2, 5
	v_subrev_u32_e32 v26, 29, v4
	v_lshlrev_b64 v[51:52], v26, v[34:35]
	v_sub_u32_e32 v4, 30, v4
	v_cmp_eq_u32_e32 vcc, 0, v2
	v_cndmask_b32_e32 v2, v2, v4, vcc
	v_lshlrev_b32_e32 v4, 16, v21
	v_and_b32_e32 v26, 3, v51
	v_and_b32_e32 v4, 0x80000000, v4
	v_cndmask_b32_e32 v0, v0, v26, vcc
	v_lshl_add_u32 v2, v2, 23, v4
	v_lshl_or_b32 v0, v0, 21, v2
	v_add_u32_e32 v2, 0x38000000, v0
                                        ; implicit-def: $vgpr0
.LBB4_607:                              ;   in Loop: Header=BB4_127 Depth=2
	s_andn2_saveexec_b64 s[88:89], s[88:89]
; %bb.608:                              ;   in Loop: Header=BB4_127 Depth=2
	v_cmp_lt_i16_e32 vcc, -1, v21
	v_cndmask_b32_e32 v2, v5, v36, vcc
	v_cmp_eq_u32_e32 vcc, 0, v0
	v_cndmask_b32_e32 v2, v37, v2, vcc
; %bb.609:                              ;   in Loop: Header=BB4_127 Depth=2
	s_or_b64 exec, exec, s[88:89]
.LBB4_610:                              ;   in Loop: Header=BB4_127 Depth=2
	s_or_b64 exec, exec, s[78:79]
.LBB4_611:                              ;   in Loop: Header=BB4_127 Depth=2
	s_or_b64 exec, exec, s[20:21]
	v_mul_f32_e32 v0, v1, v2
	v_and_b32_e32 v1, 0x7f800000, v0
	v_mov_b32_e32 v2, v35
	v_cmp_ne_u64_e32 vcc, s[60:61], v[1:2]
	v_and_b32_e32 v34, 0x7fffff, v0
                                        ; implicit-def: $vgpr51
	s_and_saveexec_b64 s[20:21], vcc
	s_xor_b64 s[78:79], exec, s[20:21]
	s_cbranch_execz .LBB4_625
; %bb.612:                              ;   in Loop: Header=BB4_127 Depth=2
	v_and_b32_e32 v1, 0x7fffffff, v0
	v_mov_b32_e32 v2, v35
	v_cmp_gt_u64_e32 vcc, s[62:63], v[1:2]
	v_and_b32_sdwa v4, v0, s55 dst_sel:DWORD dst_unused:UNUSED_PAD src0_sel:BYTE_3 src1_sel:DWORD
                                        ; implicit-def: $vgpr51
	s_and_saveexec_b64 s[20:21], vcc
	s_xor_b64 s[88:89], exec, s[20:21]
	s_cbranch_execz .LBB4_622
; %bb.613:                              ;   in Loop: Header=BB4_127 Depth=2
	v_mov_b32_e32 v51, 0
	v_cmp_ne_u32_e32 vcc, 0, v0
	s_and_saveexec_b64 s[90:91], vcc
	s_cbranch_execz .LBB4_621
; %bb.614:                              ;   in Loop: Header=BB4_127 Depth=2
	v_bfe_u32 v51, v0, 23, 8
	v_cmp_gt_u32_e64 s[20:21], s64, v51
	v_sub_u32_e32 v0, 0x71, v51
	v_cmp_eq_u32_e32 vcc, 0, v51
	v_cndmask_b32_e64 v0, 0, v0, s[20:21]
	v_mov_b32_e32 v2, 0x70
	v_cndmask_b32_e32 v52, v0, v2, vcc
	v_or_b32_e32 v1, 0x800000, v34
	v_add_u32_e32 v0, 21, v52
	v_cndmask_b32_e32 v34, v1, v34, vcc
	v_lshlrev_b64 v[0:1], v0, -1
	v_add_u32_e32 v2, 20, v52
	v_lshlrev_b64 v[40:41], v2, 1
	v_bfi_b32 v1, v1, 0, 0
	v_bfi_b32 v0, v0, 0, v34
	v_cmp_eq_u64_e64 s[20:21], v[0:1], v[40:41]
	v_lshrrev_b64 v[0:1], v52, v[34:35]
	v_mov_b32_e32 v2, v1
	v_mov_b32_e32 v1, v0
	s_and_saveexec_b64 s[92:93], s[20:21]
; %bb.615:                              ;   in Loop: Header=BB4_127 Depth=2
	v_bfe_u32 v1, v0, 21, 1
	v_add_co_u32_e64 v1, s[20:21], v0, v1
	v_add_co_u32_e64 v1, s[20:21], -1, v1
; %bb.616:                              ;   in Loop: Header=BB4_127 Depth=2
	s_or_b64 exec, exec, s[92:93]
	v_add_u32_e32 v2, 0xffffff81, v51
	v_mov_b32_e32 v26, 0xffffff82
	v_cndmask_b32_e32 v2, v2, v26, vcc
	v_lshrrev_b32_e32 v26, 23, v0
	v_add3_u32 v52, v52, v2, v26
	v_add_u32_e32 v51, 14, v52
	v_and_b32_e32 v1, 0x1fffff, v1
	v_add_u32_e32 v34, v1, v0
	v_cmp_ne_u32_e32 vcc, 0, v51
                                        ; implicit-def: $vgpr0_vgpr1
                                        ; implicit-def: $vgpr2
	s_and_saveexec_b64 s[20:21], vcc
	s_xor_b64 s[20:21], exec, s[20:21]
; %bb.617:                              ;   in Loop: Header=BB4_127 Depth=2
	v_cmp_lt_u64_e32 vcc, s[72:73], v[34:35]
	v_add_u32_e32 v0, 15, v52
	v_cndmask_b32_e32 v2, v51, v0, vcc
	v_cndmask_b32_e64 v0, 0, 1, vcc
	v_lshrrev_b64 v[0:1], v0, v[34:35]
; %bb.618:                              ;   in Loop: Header=BB4_127 Depth=2
	s_andn2_saveexec_b64 s[20:21], s[20:21]
; %bb.619:                              ;   in Loop: Header=BB4_127 Depth=2
	v_mov_b32_e32 v0, v34
	v_bfe_u32 v2, v34, 23, 1
	v_mov_b32_e32 v1, v35
; %bb.620:                              ;   in Loop: Header=BB4_127 Depth=2
	s_or_b64 exec, exec, s[20:21]
	v_lshrrev_b64 v[0:1], 21, v[0:1]
	v_cmp_gt_i32_e32 vcc, 32, v2
	v_cndmask_b32_e32 v1, 0, v1, vcc
	v_cndmask_b32_e32 v0, 3, v0, vcc
	v_cmp_eq_u64_e64 s[20:21], 0, v[0:1]
	v_min_i32_e32 v1, 31, v2
	v_lshlrev_b32_e32 v1, 2, v1
	v_cmp_eq_u32_e32 vcc, 0, v2
	v_and_b32_e32 v1, 0xfc, v1
	v_and_or_b32 v0, v0, 3, v1
	s_and_b64 s[20:21], vcc, s[20:21]
	v_cndmask_b32_e64 v0, v0, 0, s[20:21]
	v_or_b32_e32 v51, v0, v4
.LBB4_621:                              ;   in Loop: Header=BB4_127 Depth=2
	s_or_b64 exec, exec, s[90:91]
                                        ; implicit-def: $vgpr4
.LBB4_622:                              ;   in Loop: Header=BB4_127 Depth=2
	s_andn2_saveexec_b64 s[20:21], s[88:89]
; %bb.623:                              ;   in Loop: Header=BB4_127 Depth=2
	v_or_b32_e32 v51, 0x7b, v4
; %bb.624:                              ;   in Loop: Header=BB4_127 Depth=2
	s_or_b64 exec, exec, s[20:21]
                                        ; implicit-def: $vgpr0
.LBB4_625:                              ;   in Loop: Header=BB4_127 Depth=2
	s_andn2_saveexec_b64 s[20:21], s[78:79]
	s_cbranch_execz .LBB4_631
; %bb.626:                              ;   in Loop: Header=BB4_127 Depth=2
	v_cmp_ne_u64_e32 vcc, 0, v[34:35]
                                        ; implicit-def: $vgpr51
	s_and_saveexec_b64 s[78:79], vcc
	s_xor_b64 s[78:79], exec, s[78:79]
; %bb.627:                              ;   in Loop: Header=BB4_127 Depth=2
	v_or_b32_sdwa v51, v0, s65 dst_sel:DWORD dst_unused:UNUSED_PAD src0_sel:BYTE_3 src1_sel:DWORD
                                        ; implicit-def: $vgpr0
; %bb.628:                              ;   in Loop: Header=BB4_127 Depth=2
	s_andn2_saveexec_b64 s[78:79], s[78:79]
; %bb.629:                              ;   in Loop: Header=BB4_127 Depth=2
	v_cmp_lt_i32_e32 vcc, -1, v0
	v_bfrev_b32_e32 v0, 0.5
	v_mov_b32_e32 v1, 0x7c
	v_cndmask_b32_e32 v51, v0, v1, vcc
; %bb.630:                              ;   in Loop: Header=BB4_127 Depth=2
	s_or_b64 exec, exec, s[78:79]
.LBB4_631:                              ;   in Loop: Header=BB4_127 Depth=2
	s_or_b64 exec, exec, s[20:21]
	v_lshrrev_b32_e32 v0, 16, v25
	v_cmp_ne_u16_sdwa s[78:79], v0, v35 src0_sel:BYTE_0 src1_sel:DWORD
	v_mov_b32_e32 v1, 0
	v_mov_b32_e32 v2, 0
	s_and_saveexec_b64 s[20:21], s[78:79]
	s_cbranch_execz .LBB4_639
; %bb.632:                              ;   in Loop: Header=BB4_127 Depth=2
	v_cmp_ne_u16_sdwa s[88:89], v0, s55 src0_sel:BYTE_0 src1_sel:DWORD
	v_bfrev_b32_e32 v2, 1
	s_and_saveexec_b64 s[78:79], s[88:89]
	s_cbranch_execz .LBB4_638
; %bb.633:                              ;   in Loop: Header=BB4_127 Depth=2
	v_and_b32_e32 v2, 0x7c0000, v25
	v_bfe_u32 v4, v25, 16, 2
	v_cmp_ne_u32_e32 vcc, s66, v2
                                        ; implicit-def: $vgpr2
	s_and_saveexec_b64 s[88:89], vcc
	s_xor_b64 s[88:89], exec, s[88:89]
	s_cbranch_execz .LBB4_635
; %bb.634:                              ;   in Loop: Header=BB4_127 Depth=2
	v_ffbh_u32_e32 v26, v4
	v_min_u32_e32 v26, 32, v26
	v_subrev_u32_e32 v27, 29, v26
	v_lshlrev_b64 v[52:53], v27, v[0:1]
	v_bfe_u32 v2, v25, 18, 5
	v_sub_u32_e32 v0, 30, v26
	v_and_b32_e32 v26, 3, v52
	v_cmp_eq_u32_e32 vcc, 0, v2
	v_cndmask_b32_e32 v0, v2, v0, vcc
	v_cndmask_b32_e32 v2, v4, v26, vcc
	v_lshlrev_b32_e32 v4, 8, v25
	v_and_b32_e32 v4, 0x80000000, v4
	v_lshl_add_u32 v0, v0, 23, v4
	v_lshl_or_b32 v0, v2, 21, v0
	v_add_u32_e32 v2, 0x38000000, v0
                                        ; implicit-def: $vgpr4
                                        ; implicit-def: $vgpr0
.LBB4_635:                              ;   in Loop: Header=BB4_127 Depth=2
	s_andn2_saveexec_b64 s[88:89], s[88:89]
; %bb.636:                              ;   in Loop: Header=BB4_127 Depth=2
	v_mov_b32_e32 v2, -1
	v_cmp_gt_i16_sdwa vcc, sext(v0), v2 src0_sel:BYTE_0 src1_sel:DWORD
	v_cndmask_b32_e32 v0, v5, v36, vcc
	v_cmp_eq_u32_e32 vcc, 0, v4
	v_cndmask_b32_e32 v2, v37, v0, vcc
; %bb.637:                              ;   in Loop: Header=BB4_127 Depth=2
	s_or_b64 exec, exec, s[88:89]
.LBB4_638:                              ;   in Loop: Header=BB4_127 Depth=2
	s_or_b64 exec, exec, s[78:79]
.LBB4_639:                              ;   in Loop: Header=BB4_127 Depth=2
	s_or_b64 exec, exec, s[20:21]
	v_lshrrev_b32_e32 v0, 16, v21
	v_cmp_ne_u16_sdwa s[78:79], v0, v35 src0_sel:BYTE_0 src1_sel:DWORD
	s_and_saveexec_b64 s[20:21], s[78:79]
	s_cbranch_execz .LBB4_647
; %bb.640:                              ;   in Loop: Header=BB4_127 Depth=2
	v_cmp_ne_u16_sdwa s[88:89], v0, s55 src0_sel:BYTE_0 src1_sel:DWORD
	v_bfrev_b32_e32 v1, 1
	s_and_saveexec_b64 s[78:79], s[88:89]
	s_cbranch_execz .LBB4_646
; %bb.641:                              ;   in Loop: Header=BB4_127 Depth=2
	v_and_b32_e32 v1, 0x7c0000, v21
	v_bfe_u32 v4, v21, 16, 2
	v_cmp_ne_u32_e32 vcc, s66, v1
                                        ; implicit-def: $vgpr1
	s_and_saveexec_b64 s[88:89], vcc
	s_xor_b64 s[88:89], exec, s[88:89]
	s_cbranch_execz .LBB4_643
; %bb.642:                              ;   in Loop: Header=BB4_127 Depth=2
	v_ffbh_u32_e32 v1, v4
	v_min_u32_e32 v27, 32, v1
	v_subrev_u32_e32 v1, 29, v27
	v_lshlrev_b64 v[0:1], v1, v[0:1]
	v_bfe_u32 v26, v21, 18, 5
	v_and_b32_e32 v0, 3, v0
	v_cmp_eq_u32_e32 vcc, 0, v26
	v_sub_u32_e32 v1, 30, v27
	v_cndmask_b32_e32 v0, v4, v0, vcc
	v_lshlrev_b32_e32 v4, 8, v21
	v_cndmask_b32_e32 v1, v26, v1, vcc
	v_and_b32_e32 v4, 0x80000000, v4
	v_lshl_add_u32 v1, v1, 23, v4
	v_lshl_or_b32 v0, v0, 21, v1
	v_add_u32_e32 v1, 0x38000000, v0
                                        ; implicit-def: $vgpr4
                                        ; implicit-def: $vgpr0
.LBB4_643:                              ;   in Loop: Header=BB4_127 Depth=2
	s_andn2_saveexec_b64 s[88:89], s[88:89]
; %bb.644:                              ;   in Loop: Header=BB4_127 Depth=2
	v_mov_b32_e32 v1, -1
	v_cmp_gt_i16_sdwa vcc, sext(v0), v1 src0_sel:BYTE_0 src1_sel:DWORD
	v_cndmask_b32_e32 v0, v5, v36, vcc
	v_cmp_eq_u32_e32 vcc, 0, v4
	v_cndmask_b32_e32 v1, v37, v0, vcc
; %bb.645:                              ;   in Loop: Header=BB4_127 Depth=2
	s_or_b64 exec, exec, s[88:89]
.LBB4_646:                              ;   in Loop: Header=BB4_127 Depth=2
	s_or_b64 exec, exec, s[78:79]
.LBB4_647:                              ;   in Loop: Header=BB4_127 Depth=2
	s_or_b64 exec, exec, s[20:21]
	v_mul_f32_e32 v0, v2, v1
	v_and_b32_e32 v1, 0x7f800000, v0
	v_mov_b32_e32 v2, v35
	v_cmp_ne_u64_e32 vcc, s[60:61], v[1:2]
	v_and_b32_e32 v34, 0x7fffff, v0
                                        ; implicit-def: $vgpr4
	s_and_saveexec_b64 s[20:21], vcc
	s_xor_b64 s[78:79], exec, s[20:21]
	s_cbranch_execz .LBB4_661
; %bb.648:                              ;   in Loop: Header=BB4_127 Depth=2
	v_and_b32_e32 v1, 0x7fffffff, v0
	v_mov_b32_e32 v2, v35
	v_cmp_gt_u64_e32 vcc, s[62:63], v[1:2]
	v_and_b32_sdwa v52, v0, s55 dst_sel:DWORD dst_unused:UNUSED_PAD src0_sel:BYTE_3 src1_sel:DWORD
                                        ; implicit-def: $vgpr4
	s_and_saveexec_b64 s[20:21], vcc
	s_xor_b64 s[88:89], exec, s[20:21]
	s_cbranch_execz .LBB4_658
; %bb.649:                              ;   in Loop: Header=BB4_127 Depth=2
	v_mov_b32_e32 v4, 0
	v_cmp_ne_u32_e32 vcc, 0, v0
	s_and_saveexec_b64 s[90:91], vcc
	s_cbranch_execz .LBB4_657
; %bb.650:                              ;   in Loop: Header=BB4_127 Depth=2
	v_bfe_u32 v4, v0, 23, 8
	v_cmp_gt_u32_e64 s[20:21], s64, v4
	v_sub_u32_e32 v0, 0x71, v4
	v_cmp_eq_u32_e32 vcc, 0, v4
	v_cndmask_b32_e64 v0, 0, v0, s[20:21]
	v_mov_b32_e32 v2, 0x70
	v_cndmask_b32_e32 v53, v0, v2, vcc
	v_or_b32_e32 v1, 0x800000, v34
	v_add_u32_e32 v0, 21, v53
	v_cndmask_b32_e32 v34, v1, v34, vcc
	v_lshlrev_b64 v[0:1], v0, -1
	v_add_u32_e32 v2, 20, v53
	v_lshlrev_b64 v[40:41], v2, 1
	v_bfi_b32 v1, v1, 0, 0
	v_bfi_b32 v0, v0, 0, v34
	v_cmp_eq_u64_e64 s[20:21], v[0:1], v[40:41]
	v_lshrrev_b64 v[0:1], v53, v[34:35]
	v_mov_b32_e32 v2, v1
	v_mov_b32_e32 v1, v0
	s_and_saveexec_b64 s[92:93], s[20:21]
; %bb.651:                              ;   in Loop: Header=BB4_127 Depth=2
	v_bfe_u32 v1, v0, 21, 1
	v_add_co_u32_e64 v1, s[20:21], v0, v1
	v_add_co_u32_e64 v1, s[20:21], -1, v1
; %bb.652:                              ;   in Loop: Header=BB4_127 Depth=2
	s_or_b64 exec, exec, s[92:93]
	v_add_u32_e32 v2, 0xffffff81, v4
	v_mov_b32_e32 v4, 0xffffff82
	v_cndmask_b32_e32 v2, v2, v4, vcc
	v_lshrrev_b32_e32 v4, 23, v0
	v_add3_u32 v53, v53, v2, v4
	v_add_u32_e32 v4, 14, v53
	v_and_b32_e32 v1, 0x1fffff, v1
	v_add_u32_e32 v34, v1, v0
	v_cmp_ne_u32_e32 vcc, 0, v4
                                        ; implicit-def: $vgpr0_vgpr1
                                        ; implicit-def: $vgpr2
	s_and_saveexec_b64 s[20:21], vcc
	s_xor_b64 s[20:21], exec, s[20:21]
; %bb.653:                              ;   in Loop: Header=BB4_127 Depth=2
	v_cmp_lt_u64_e32 vcc, s[72:73], v[34:35]
	v_add_u32_e32 v0, 15, v53
	v_cndmask_b32_e32 v2, v4, v0, vcc
	v_cndmask_b32_e64 v0, 0, 1, vcc
	v_lshrrev_b64 v[0:1], v0, v[34:35]
; %bb.654:                              ;   in Loop: Header=BB4_127 Depth=2
	s_andn2_saveexec_b64 s[20:21], s[20:21]
; %bb.655:                              ;   in Loop: Header=BB4_127 Depth=2
	v_mov_b32_e32 v0, v34
	v_bfe_u32 v2, v34, 23, 1
	v_mov_b32_e32 v1, v35
; %bb.656:                              ;   in Loop: Header=BB4_127 Depth=2
	s_or_b64 exec, exec, s[20:21]
	v_lshrrev_b64 v[0:1], 21, v[0:1]
	v_cmp_gt_i32_e32 vcc, 32, v2
	v_cndmask_b32_e32 v1, 0, v1, vcc
	v_cndmask_b32_e32 v0, 3, v0, vcc
	v_cmp_eq_u64_e64 s[20:21], 0, v[0:1]
	v_min_i32_e32 v1, 31, v2
	v_lshlrev_b32_e32 v1, 2, v1
	v_cmp_eq_u32_e32 vcc, 0, v2
	v_and_b32_e32 v1, 0xfc, v1
	v_and_or_b32 v0, v0, 3, v1
	s_and_b64 s[20:21], vcc, s[20:21]
	v_cndmask_b32_e64 v0, v0, 0, s[20:21]
	v_or_b32_e32 v4, v0, v52
.LBB4_657:                              ;   in Loop: Header=BB4_127 Depth=2
	s_or_b64 exec, exec, s[90:91]
                                        ; implicit-def: $vgpr52
.LBB4_658:                              ;   in Loop: Header=BB4_127 Depth=2
	s_andn2_saveexec_b64 s[20:21], s[88:89]
; %bb.659:                              ;   in Loop: Header=BB4_127 Depth=2
	v_or_b32_e32 v4, 0x7b, v52
; %bb.660:                              ;   in Loop: Header=BB4_127 Depth=2
	s_or_b64 exec, exec, s[20:21]
                                        ; implicit-def: $vgpr0
.LBB4_661:                              ;   in Loop: Header=BB4_127 Depth=2
	s_andn2_saveexec_b64 s[20:21], s[78:79]
	s_cbranch_execz .LBB4_667
; %bb.662:                              ;   in Loop: Header=BB4_127 Depth=2
	v_cmp_ne_u64_e32 vcc, 0, v[34:35]
                                        ; implicit-def: $vgpr4
	s_and_saveexec_b64 s[78:79], vcc
	s_xor_b64 s[78:79], exec, s[78:79]
; %bb.663:                              ;   in Loop: Header=BB4_127 Depth=2
	v_or_b32_sdwa v4, v0, s65 dst_sel:DWORD dst_unused:UNUSED_PAD src0_sel:BYTE_3 src1_sel:DWORD
                                        ; implicit-def: $vgpr0
; %bb.664:                              ;   in Loop: Header=BB4_127 Depth=2
	s_andn2_saveexec_b64 s[78:79], s[78:79]
; %bb.665:                              ;   in Loop: Header=BB4_127 Depth=2
	v_cmp_lt_i32_e32 vcc, -1, v0
	v_bfrev_b32_e32 v0, 0.5
	v_mov_b32_e32 v1, 0x7c
	v_cndmask_b32_e32 v4, v0, v1, vcc
; %bb.666:                              ;   in Loop: Header=BB4_127 Depth=2
	s_or_b64 exec, exec, s[78:79]
.LBB4_667:                              ;   in Loop: Header=BB4_127 Depth=2
	s_or_b64 exec, exec, s[20:21]
	v_cmp_lt_u64_e32 vcc, s[58:59], v[24:25]
	v_mov_b32_e32 v1, 0
	v_mov_b32_e32 v2, 0
	s_and_saveexec_b64 s[20:21], vcc
	s_cbranch_execz .LBB4_675
; %bb.668:                              ;   in Loop: Header=BB4_127 Depth=2
	v_lshrrev_b32_e32 v0, 24, v25
	v_cmp_ne_u32_e32 vcc, s55, v0
	v_bfrev_b32_e32 v2, 1
	s_and_saveexec_b64 s[78:79], vcc
	s_cbranch_execz .LBB4_674
; %bb.669:                              ;   in Loop: Header=BB4_127 Depth=2
	v_and_b32_e32 v2, 0x7c000000, v25
	v_bfe_u32 v34, v25, 24, 2
	v_cmp_ne_u32_e32 vcc, s67, v2
                                        ; implicit-def: $vgpr2
	s_and_saveexec_b64 s[88:89], vcc
	s_xor_b64 s[88:89], exec, s[88:89]
	s_cbranch_execz .LBB4_671
; %bb.670:                              ;   in Loop: Header=BB4_127 Depth=2
	v_ffbh_u32_e32 v24, v34
	v_min_u32_e32 v24, 32, v24
	v_subrev_u32_e32 v26, 29, v24
	v_lshlrev_b64 v[52:53], v26, v[0:1]
	v_bfe_u32 v2, v25, 26, 5
	v_sub_u32_e32 v0, 30, v24
	v_and_b32_e32 v24, 3, v52
	v_cmp_eq_u32_e32 vcc, 0, v2
	v_cndmask_b32_e32 v0, v2, v0, vcc
	v_cndmask_b32_e32 v2, v34, v24, vcc
	v_and_b32_e32 v24, 0x80000000, v25
	v_lshl_add_u32 v0, v0, 23, v24
	v_lshl_or_b32 v0, v2, 21, v0
	v_add_u32_e32 v2, 0x38000000, v0
                                        ; implicit-def: $vgpr34
                                        ; implicit-def: $vgpr24_vgpr25
.LBB4_671:                              ;   in Loop: Header=BB4_127 Depth=2
	s_andn2_saveexec_b64 s[88:89], s[88:89]
; %bb.672:                              ;   in Loop: Header=BB4_127 Depth=2
	v_cmp_lt_i64_e32 vcc, -1, v[24:25]
	v_cndmask_b32_e32 v0, v5, v36, vcc
	v_cmp_eq_u32_e32 vcc, 0, v34
	v_cndmask_b32_e32 v2, v37, v0, vcc
; %bb.673:                              ;   in Loop: Header=BB4_127 Depth=2
	s_or_b64 exec, exec, s[88:89]
.LBB4_674:                              ;   in Loop: Header=BB4_127 Depth=2
	s_or_b64 exec, exec, s[78:79]
.LBB4_675:                              ;   in Loop: Header=BB4_127 Depth=2
	s_or_b64 exec, exec, s[20:21]
	v_cmp_lt_u64_e32 vcc, s[58:59], v[20:21]
	s_and_saveexec_b64 s[20:21], vcc
	s_cbranch_execz .LBB4_683
; %bb.676:                              ;   in Loop: Header=BB4_127 Depth=2
	v_lshrrev_b32_e32 v0, 24, v21
	v_cmp_ne_u32_e32 vcc, s55, v0
	v_bfrev_b32_e32 v1, 1
	s_and_saveexec_b64 s[78:79], vcc
	s_cbranch_execz .LBB4_682
; %bb.677:                              ;   in Loop: Header=BB4_127 Depth=2
	v_and_b32_e32 v1, 0x7c000000, v21
	v_bfe_u32 v24, v21, 24, 2
	v_cmp_ne_u32_e32 vcc, s67, v1
                                        ; implicit-def: $vgpr1
	s_and_saveexec_b64 s[88:89], vcc
	s_xor_b64 s[88:89], exec, s[88:89]
	s_cbranch_execz .LBB4_679
; %bb.678:                              ;   in Loop: Header=BB4_127 Depth=2
	v_ffbh_u32_e32 v1, v24
	v_min_u32_e32 v25, 32, v1
	v_subrev_u32_e32 v1, 29, v25
	v_bfe_u32 v20, v21, 26, 5
	v_lshlrev_b64 v[0:1], v1, v[0:1]
	v_sub_u32_e32 v1, 30, v25
	v_cmp_eq_u32_e32 vcc, 0, v20
	v_and_b32_e32 v0, 3, v0
	v_cndmask_b32_e32 v1, v20, v1, vcc
	v_and_b32_e32 v20, 0x80000000, v21
	v_cndmask_b32_e32 v0, v24, v0, vcc
	v_lshl_add_u32 v1, v1, 23, v20
	v_lshl_or_b32 v0, v0, 21, v1
	v_add_u32_e32 v1, 0x38000000, v0
                                        ; implicit-def: $vgpr24
                                        ; implicit-def: $vgpr20_vgpr21
.LBB4_679:                              ;   in Loop: Header=BB4_127 Depth=2
	s_andn2_saveexec_b64 s[88:89], s[88:89]
; %bb.680:                              ;   in Loop: Header=BB4_127 Depth=2
	v_cmp_lt_i64_e32 vcc, -1, v[20:21]
	v_cndmask_b32_e32 v0, v5, v36, vcc
	v_cmp_eq_u32_e32 vcc, 0, v24
	v_cndmask_b32_e32 v1, v37, v0, vcc
; %bb.681:                              ;   in Loop: Header=BB4_127 Depth=2
	s_or_b64 exec, exec, s[88:89]
.LBB4_682:                              ;   in Loop: Header=BB4_127 Depth=2
	s_or_b64 exec, exec, s[78:79]
.LBB4_683:                              ;   in Loop: Header=BB4_127 Depth=2
	s_or_b64 exec, exec, s[20:21]
	v_mul_f32_e32 v0, v2, v1
	v_and_b32_e32 v1, 0x7f800000, v0
	v_mov_b32_e32 v2, v35
	v_cmp_ne_u64_e32 vcc, s[60:61], v[1:2]
	v_and_b32_e32 v34, 0x7fffff, v0
                                        ; implicit-def: $vgpr20
	s_and_saveexec_b64 s[20:21], vcc
	s_xor_b64 s[78:79], exec, s[20:21]
	s_cbranch_execz .LBB4_697
; %bb.684:                              ;   in Loop: Header=BB4_127 Depth=2
	v_and_b32_e32 v1, 0x7fffffff, v0
	v_mov_b32_e32 v2, v35
	v_cmp_gt_u64_e32 vcc, s[62:63], v[1:2]
	v_and_b32_sdwa v21, v0, s55 dst_sel:DWORD dst_unused:UNUSED_PAD src0_sel:BYTE_3 src1_sel:DWORD
                                        ; implicit-def: $vgpr20
	s_and_saveexec_b64 s[20:21], vcc
	s_xor_b64 s[88:89], exec, s[20:21]
	s_cbranch_execz .LBB4_694
; %bb.685:                              ;   in Loop: Header=BB4_127 Depth=2
	v_mov_b32_e32 v20, 0
	v_cmp_ne_u32_e32 vcc, 0, v0
	s_and_saveexec_b64 s[90:91], vcc
	s_cbranch_execz .LBB4_693
; %bb.686:                              ;   in Loop: Header=BB4_127 Depth=2
	v_bfe_u32 v20, v0, 23, 8
	v_cmp_gt_u32_e64 s[20:21], s64, v20
	v_sub_u32_e32 v0, 0x71, v20
	v_cmp_eq_u32_e32 vcc, 0, v20
	v_cndmask_b32_e64 v0, 0, v0, s[20:21]
	v_mov_b32_e32 v2, 0x70
	v_cndmask_b32_e32 v24, v0, v2, vcc
	v_or_b32_e32 v1, 0x800000, v34
	v_add_u32_e32 v0, 21, v24
	v_cndmask_b32_e32 v34, v1, v34, vcc
	v_lshlrev_b64 v[0:1], v0, -1
	v_add_u32_e32 v2, 20, v24
	v_lshlrev_b64 v[52:53], v2, 1
	v_bfi_b32 v1, v1, 0, 0
	v_bfi_b32 v0, v0, 0, v34
	v_cmp_eq_u64_e64 s[20:21], v[0:1], v[52:53]
	v_lshrrev_b64 v[0:1], v24, v[34:35]
	v_mov_b32_e32 v2, v1
	v_mov_b32_e32 v1, v0
	s_and_saveexec_b64 s[92:93], s[20:21]
; %bb.687:                              ;   in Loop: Header=BB4_127 Depth=2
	v_bfe_u32 v1, v0, 21, 1
	v_add_co_u32_e64 v1, s[20:21], v0, v1
	v_add_co_u32_e64 v1, s[20:21], -1, v1
; %bb.688:                              ;   in Loop: Header=BB4_127 Depth=2
	s_or_b64 exec, exec, s[92:93]
	v_add_u32_e32 v2, 0xffffff81, v20
	v_mov_b32_e32 v20, 0xffffff82
	v_cndmask_b32_e32 v2, v2, v20, vcc
	v_lshrrev_b32_e32 v20, 23, v0
	v_add3_u32 v24, v24, v2, v20
	v_add_u32_e32 v20, 14, v24
	v_and_b32_e32 v1, 0x1fffff, v1
	v_add_u32_e32 v34, v1, v0
	v_cmp_ne_u32_e32 vcc, 0, v20
                                        ; implicit-def: $vgpr0_vgpr1
                                        ; implicit-def: $vgpr2
	s_and_saveexec_b64 s[20:21], vcc
	s_xor_b64 s[20:21], exec, s[20:21]
; %bb.689:                              ;   in Loop: Header=BB4_127 Depth=2
	v_cmp_lt_u64_e32 vcc, s[72:73], v[34:35]
	v_add_u32_e32 v0, 15, v24
	v_cndmask_b32_e32 v2, v20, v0, vcc
	v_cndmask_b32_e64 v0, 0, 1, vcc
	v_lshrrev_b64 v[0:1], v0, v[34:35]
; %bb.690:                              ;   in Loop: Header=BB4_127 Depth=2
	s_andn2_saveexec_b64 s[20:21], s[20:21]
; %bb.691:                              ;   in Loop: Header=BB4_127 Depth=2
	v_mov_b32_e32 v0, v34
	v_bfe_u32 v2, v34, 23, 1
	v_mov_b32_e32 v1, v35
; %bb.692:                              ;   in Loop: Header=BB4_127 Depth=2
	s_or_b64 exec, exec, s[20:21]
	v_lshrrev_b64 v[0:1], 21, v[0:1]
	v_cmp_gt_i32_e32 vcc, 32, v2
	v_cndmask_b32_e32 v1, 0, v1, vcc
	v_cndmask_b32_e32 v0, 3, v0, vcc
	v_cmp_eq_u64_e64 s[20:21], 0, v[0:1]
	v_min_i32_e32 v1, 31, v2
	v_lshlrev_b32_e32 v1, 2, v1
	v_cmp_eq_u32_e32 vcc, 0, v2
	v_and_b32_e32 v1, 0xfc, v1
	v_and_or_b32 v0, v0, 3, v1
	s_and_b64 s[20:21], vcc, s[20:21]
	v_cndmask_b32_e64 v0, v0, 0, s[20:21]
	v_or_b32_e32 v20, v0, v21
.LBB4_693:                              ;   in Loop: Header=BB4_127 Depth=2
	s_or_b64 exec, exec, s[90:91]
                                        ; implicit-def: $vgpr21
.LBB4_694:                              ;   in Loop: Header=BB4_127 Depth=2
	s_andn2_saveexec_b64 s[20:21], s[88:89]
; %bb.695:                              ;   in Loop: Header=BB4_127 Depth=2
	v_or_b32_e32 v20, 0x7b, v21
; %bb.696:                              ;   in Loop: Header=BB4_127 Depth=2
	s_or_b64 exec, exec, s[20:21]
                                        ; implicit-def: $vgpr0
.LBB4_697:                              ;   in Loop: Header=BB4_127 Depth=2
	s_andn2_saveexec_b64 s[20:21], s[78:79]
	s_cbranch_execz .LBB4_703
; %bb.698:                              ;   in Loop: Header=BB4_127 Depth=2
	v_cmp_ne_u64_e32 vcc, 0, v[34:35]
                                        ; implicit-def: $vgpr20
	s_and_saveexec_b64 s[78:79], vcc
	s_xor_b64 s[78:79], exec, s[78:79]
; %bb.699:                              ;   in Loop: Header=BB4_127 Depth=2
	v_or_b32_sdwa v20, v0, s65 dst_sel:DWORD dst_unused:UNUSED_PAD src0_sel:BYTE_3 src1_sel:DWORD
                                        ; implicit-def: $vgpr0
; %bb.700:                              ;   in Loop: Header=BB4_127 Depth=2
	s_andn2_saveexec_b64 s[78:79], s[78:79]
; %bb.701:                              ;   in Loop: Header=BB4_127 Depth=2
	v_cmp_lt_i32_e32 vcc, -1, v0
	v_bfrev_b32_e32 v0, 0.5
	v_mov_b32_e32 v1, 0x7c
	v_cndmask_b32_e32 v20, v0, v1, vcc
; %bb.702:                              ;   in Loop: Header=BB4_127 Depth=2
	s_or_b64 exec, exec, s[78:79]
.LBB4_703:                              ;   in Loop: Header=BB4_127 Depth=2
	s_or_b64 exec, exec, s[20:21]
	v_cmp_ne_u16_sdwa s[78:79], v14, v35 src0_sel:BYTE_0 src1_sel:DWORD
	v_mov_b32_e32 v0, 0
	v_mov_b32_e32 v1, 0
	s_and_saveexec_b64 s[20:21], s[78:79]
	s_cbranch_execz .LBB4_711
; %bb.704:                              ;   in Loop: Header=BB4_127 Depth=2
	v_cmp_ne_u16_sdwa s[88:89], sext(v14), s52 src0_sel:BYTE_0 src1_sel:DWORD
	v_bfrev_b32_e32 v1, 1
	s_and_saveexec_b64 s[78:79], s[88:89]
	s_cbranch_execz .LBB4_710
; %bb.705:                              ;   in Loop: Header=BB4_127 Depth=2
	v_and_b32_e32 v1, 0x7c, v14
	v_and_b32_e32 v2, 3, v14
	v_cmp_ne_u32_e32 vcc, s53, v1
                                        ; implicit-def: $vgpr1
	s_and_saveexec_b64 s[88:89], vcc
	s_xor_b64 s[88:89], exec, s[88:89]
	s_cbranch_execz .LBB4_707
; %bb.706:                              ;   in Loop: Header=BB4_127 Depth=2
	v_ffbh_u32_e32 v21, v2
	v_min_u32_e32 v21, 32, v21
	v_bfe_u32 v1, v14, 2, 5
	v_subrev_u32_e32 v24, 29, v21
	v_lshlrev_b64 v[24:25], v24, v[14:15]
	v_sub_u32_e32 v21, 30, v21
	v_cmp_eq_u32_e32 vcc, 0, v1
	v_cndmask_b32_e32 v1, v1, v21, vcc
	v_lshlrev_b32_e32 v21, 24, v14
	v_and_b32_e32 v24, 3, v24
	v_and_b32_e32 v21, 0x80000000, v21
	v_cndmask_b32_e32 v2, v2, v24, vcc
	v_lshl_add_u32 v1, v1, 23, v21
	v_lshl_or_b32 v1, v2, 21, v1
	v_add_u32_e32 v1, 0x38000000, v1
                                        ; implicit-def: $vgpr2
.LBB4_707:                              ;   in Loop: Header=BB4_127 Depth=2
	s_andn2_saveexec_b64 s[88:89], s[88:89]
; %bb.708:                              ;   in Loop: Header=BB4_127 Depth=2
	v_mov_b32_e32 v1, -1
	v_cmp_gt_i16_sdwa vcc, sext(v14), v1 src0_sel:BYTE_0 src1_sel:DWORD
	v_cndmask_b32_e32 v1, v5, v36, vcc
	v_cmp_eq_u32_e32 vcc, 0, v2
	v_cndmask_b32_e32 v1, v37, v1, vcc
; %bb.709:                              ;   in Loop: Header=BB4_127 Depth=2
	s_or_b64 exec, exec, s[88:89]
.LBB4_710:                              ;   in Loop: Header=BB4_127 Depth=2
	s_or_b64 exec, exec, s[78:79]
.LBB4_711:                              ;   in Loop: Header=BB4_127 Depth=2
	s_or_b64 exec, exec, s[20:21]
	s_waitcnt vmcnt(0)
	v_cmp_ne_u16_sdwa s[78:79], v10, v35 src0_sel:BYTE_0 src1_sel:DWORD
	s_and_saveexec_b64 s[20:21], s[78:79]
	s_cbranch_execz .LBB4_719
; %bb.712:                              ;   in Loop: Header=BB4_127 Depth=2
	v_cmp_ne_u16_sdwa s[88:89], sext(v10), s52 src0_sel:BYTE_0 src1_sel:DWORD
	v_bfrev_b32_e32 v0, 1
	s_and_saveexec_b64 s[78:79], s[88:89]
	s_cbranch_execz .LBB4_718
; %bb.713:                              ;   in Loop: Header=BB4_127 Depth=2
	v_and_b32_e32 v0, 0x7c, v10
	v_and_b32_e32 v2, 3, v10
	v_cmp_ne_u32_e32 vcc, s53, v0
                                        ; implicit-def: $vgpr0
	s_and_saveexec_b64 s[88:89], vcc
	s_xor_b64 s[88:89], exec, s[88:89]
	s_cbranch_execz .LBB4_715
; %bb.714:                              ;   in Loop: Header=BB4_127 Depth=2
	v_ffbh_u32_e32 v21, v2
	v_min_u32_e32 v21, 32, v21
	v_bfe_u32 v0, v10, 2, 5
	v_subrev_u32_e32 v24, 29, v21
	v_lshlrev_b64 v[24:25], v24, v[10:11]
	v_sub_u32_e32 v21, 30, v21
	v_cmp_eq_u32_e32 vcc, 0, v0
	v_cndmask_b32_e32 v0, v0, v21, vcc
	v_lshlrev_b32_e32 v21, 24, v10
	v_and_b32_e32 v24, 3, v24
	v_and_b32_e32 v21, 0x80000000, v21
	v_cndmask_b32_e32 v2, v2, v24, vcc
	v_lshl_add_u32 v0, v0, 23, v21
	v_lshl_or_b32 v0, v2, 21, v0
	v_add_u32_e32 v0, 0x38000000, v0
                                        ; implicit-def: $vgpr2
.LBB4_715:                              ;   in Loop: Header=BB4_127 Depth=2
	s_andn2_saveexec_b64 s[88:89], s[88:89]
; %bb.716:                              ;   in Loop: Header=BB4_127 Depth=2
	v_mov_b32_e32 v0, -1
	v_cmp_gt_i16_sdwa vcc, sext(v10), v0 src0_sel:BYTE_0 src1_sel:DWORD
	v_cndmask_b32_e32 v0, v5, v36, vcc
	v_cmp_eq_u32_e32 vcc, 0, v2
	v_cndmask_b32_e32 v0, v37, v0, vcc
; %bb.717:                              ;   in Loop: Header=BB4_127 Depth=2
	s_or_b64 exec, exec, s[88:89]
.LBB4_718:                              ;   in Loop: Header=BB4_127 Depth=2
	s_or_b64 exec, exec, s[78:79]
.LBB4_719:                              ;   in Loop: Header=BB4_127 Depth=2
	s_or_b64 exec, exec, s[20:21]
	v_mul_f32_e32 v0, v1, v0
	v_and_b32_e32 v1, 0x7f800000, v0
	v_mov_b32_e32 v2, v35
	v_cmp_ne_u64_e32 vcc, s[60:61], v[1:2]
	v_and_b32_e32 v34, 0x7fffff, v0
                                        ; implicit-def: $vgpr21
	s_and_saveexec_b64 s[20:21], vcc
	s_xor_b64 s[78:79], exec, s[20:21]
	s_cbranch_execz .LBB4_733
; %bb.720:                              ;   in Loop: Header=BB4_127 Depth=2
	v_and_b32_e32 v1, 0x7fffffff, v0
	v_mov_b32_e32 v2, v35
	v_cmp_gt_u64_e32 vcc, s[62:63], v[1:2]
	v_and_b32_sdwa v24, v0, s55 dst_sel:DWORD dst_unused:UNUSED_PAD src0_sel:BYTE_3 src1_sel:DWORD
                                        ; implicit-def: $vgpr21
	s_and_saveexec_b64 s[20:21], vcc
	s_xor_b64 s[88:89], exec, s[20:21]
	s_cbranch_execz .LBB4_730
; %bb.721:                              ;   in Loop: Header=BB4_127 Depth=2
	v_mov_b32_e32 v21, 0
	v_cmp_ne_u32_e32 vcc, 0, v0
	s_and_saveexec_b64 s[90:91], vcc
	s_cbranch_execz .LBB4_729
; %bb.722:                              ;   in Loop: Header=BB4_127 Depth=2
	v_bfe_u32 v21, v0, 23, 8
	v_cmp_gt_u32_e64 s[20:21], s64, v21
	v_sub_u32_e32 v0, 0x71, v21
	v_cmp_eq_u32_e32 vcc, 0, v21
	v_cndmask_b32_e64 v0, 0, v0, s[20:21]
	v_mov_b32_e32 v2, 0x70
	v_cndmask_b32_e32 v25, v0, v2, vcc
	v_or_b32_e32 v1, 0x800000, v34
	v_add_u32_e32 v0, 21, v25
	v_cndmask_b32_e32 v34, v1, v34, vcc
	v_lshlrev_b64 v[0:1], v0, -1
	v_add_u32_e32 v2, 20, v25
	v_lshlrev_b64 v[52:53], v2, 1
	v_bfi_b32 v1, v1, 0, 0
	v_bfi_b32 v0, v0, 0, v34
	v_cmp_eq_u64_e64 s[20:21], v[0:1], v[52:53]
	v_lshrrev_b64 v[0:1], v25, v[34:35]
	v_mov_b32_e32 v2, v1
	v_mov_b32_e32 v1, v0
	s_and_saveexec_b64 s[92:93], s[20:21]
; %bb.723:                              ;   in Loop: Header=BB4_127 Depth=2
	v_bfe_u32 v1, v0, 21, 1
	v_add_co_u32_e64 v1, s[20:21], v0, v1
	v_add_co_u32_e64 v1, s[20:21], -1, v1
; %bb.724:                              ;   in Loop: Header=BB4_127 Depth=2
	s_or_b64 exec, exec, s[92:93]
	v_add_u32_e32 v2, 0xffffff81, v21
	v_mov_b32_e32 v21, 0xffffff82
	v_cndmask_b32_e32 v2, v2, v21, vcc
	v_lshrrev_b32_e32 v21, 23, v0
	v_add3_u32 v25, v25, v2, v21
	v_add_u32_e32 v21, 14, v25
	v_and_b32_e32 v1, 0x1fffff, v1
	v_add_u32_e32 v34, v1, v0
	v_cmp_ne_u32_e32 vcc, 0, v21
                                        ; implicit-def: $vgpr0_vgpr1
                                        ; implicit-def: $vgpr2
	s_and_saveexec_b64 s[20:21], vcc
	s_xor_b64 s[20:21], exec, s[20:21]
; %bb.725:                              ;   in Loop: Header=BB4_127 Depth=2
	v_cmp_lt_u64_e32 vcc, s[72:73], v[34:35]
	v_add_u32_e32 v0, 15, v25
	v_cndmask_b32_e32 v2, v21, v0, vcc
	v_cndmask_b32_e64 v0, 0, 1, vcc
	v_lshrrev_b64 v[0:1], v0, v[34:35]
; %bb.726:                              ;   in Loop: Header=BB4_127 Depth=2
	s_andn2_saveexec_b64 s[20:21], s[20:21]
; %bb.727:                              ;   in Loop: Header=BB4_127 Depth=2
	v_mov_b32_e32 v0, v34
	v_bfe_u32 v2, v34, 23, 1
	v_mov_b32_e32 v1, v35
; %bb.728:                              ;   in Loop: Header=BB4_127 Depth=2
	s_or_b64 exec, exec, s[20:21]
	v_lshrrev_b64 v[0:1], 21, v[0:1]
	v_cmp_gt_i32_e32 vcc, 32, v2
	v_cndmask_b32_e32 v1, 0, v1, vcc
	v_cndmask_b32_e32 v0, 3, v0, vcc
	v_cmp_eq_u64_e64 s[20:21], 0, v[0:1]
	v_min_i32_e32 v1, 31, v2
	v_lshlrev_b32_e32 v1, 2, v1
	v_cmp_eq_u32_e32 vcc, 0, v2
	v_and_b32_e32 v1, 0xfc, v1
	v_and_or_b32 v0, v0, 3, v1
	s_and_b64 s[20:21], vcc, s[20:21]
	v_cndmask_b32_e64 v0, v0, 0, s[20:21]
	v_or_b32_e32 v21, v0, v24
.LBB4_729:                              ;   in Loop: Header=BB4_127 Depth=2
	s_or_b64 exec, exec, s[90:91]
                                        ; implicit-def: $vgpr24
.LBB4_730:                              ;   in Loop: Header=BB4_127 Depth=2
	s_andn2_saveexec_b64 s[20:21], s[88:89]
; %bb.731:                              ;   in Loop: Header=BB4_127 Depth=2
	v_or_b32_e32 v21, 0x7b, v24
; %bb.732:                              ;   in Loop: Header=BB4_127 Depth=2
	s_or_b64 exec, exec, s[20:21]
                                        ; implicit-def: $vgpr0
.LBB4_733:                              ;   in Loop: Header=BB4_127 Depth=2
	s_andn2_saveexec_b64 s[20:21], s[78:79]
	s_cbranch_execz .LBB4_739
; %bb.734:                              ;   in Loop: Header=BB4_127 Depth=2
	v_cmp_ne_u64_e32 vcc, 0, v[34:35]
                                        ; implicit-def: $vgpr21
	s_and_saveexec_b64 s[78:79], vcc
	s_xor_b64 s[78:79], exec, s[78:79]
; %bb.735:                              ;   in Loop: Header=BB4_127 Depth=2
	v_or_b32_sdwa v21, v0, s65 dst_sel:DWORD dst_unused:UNUSED_PAD src0_sel:BYTE_3 src1_sel:DWORD
                                        ; implicit-def: $vgpr0
; %bb.736:                              ;   in Loop: Header=BB4_127 Depth=2
	s_andn2_saveexec_b64 s[78:79], s[78:79]
; %bb.737:                              ;   in Loop: Header=BB4_127 Depth=2
	v_cmp_lt_i32_e32 vcc, -1, v0
	v_bfrev_b32_e32 v0, 0.5
	v_mov_b32_e32 v1, 0x7c
	v_cndmask_b32_e32 v21, v0, v1, vcc
; %bb.738:                              ;   in Loop: Header=BB4_127 Depth=2
	s_or_b64 exec, exec, s[78:79]
.LBB4_739:                              ;   in Loop: Header=BB4_127 Depth=2
	s_or_b64 exec, exec, s[20:21]
	v_lshrrev_b16_e32 v34, 8, v14
	v_cmp_ne_u16_e32 vcc, 0, v34
	v_mov_b32_e32 v0, 0
	v_mov_b32_e32 v1, 0
	s_and_saveexec_b64 s[20:21], vcc
	s_cbranch_execz .LBB4_747
; %bb.740:                              ;   in Loop: Header=BB4_127 Depth=2
	v_cmp_ne_u16_e32 vcc, s55, v34
	v_bfrev_b32_e32 v1, 1
	s_and_saveexec_b64 s[78:79], vcc
	s_cbranch_execz .LBB4_746
; %bb.741:                              ;   in Loop: Header=BB4_127 Depth=2
	v_and_b32_e32 v1, 0x7c, v34
	v_and_b32_e32 v2, 3, v34
	v_cmp_ne_u32_e32 vcc, s53, v1
                                        ; implicit-def: $vgpr1
	s_and_saveexec_b64 s[88:89], vcc
	s_xor_b64 s[88:89], exec, s[88:89]
	s_cbranch_execz .LBB4_743
; %bb.742:                              ;   in Loop: Header=BB4_127 Depth=2
	v_ffbh_u32_e32 v24, v2
	v_min_u32_e32 v26, 32, v24
	v_subrev_u32_e32 v24, 29, v26
	v_lshlrev_b64 v[24:25], v24, v[34:35]
	v_bfe_u32 v1, v34, 2, 5
	v_and_b32_e32 v24, 3, v24
	v_cmp_eq_u32_e32 vcc, 0, v1
	v_sub_u32_e32 v25, 30, v26
	v_cndmask_b32_e32 v2, v2, v24, vcc
	v_lshlrev_b32_e32 v24, 16, v14
	v_cndmask_b32_e32 v1, v1, v25, vcc
	v_and_b32_e32 v24, 0x80000000, v24
	v_lshl_add_u32 v1, v1, 23, v24
	v_lshl_or_b32 v1, v2, 21, v1
	v_add_u32_e32 v1, 0x38000000, v1
                                        ; implicit-def: $vgpr2
.LBB4_743:                              ;   in Loop: Header=BB4_127 Depth=2
	s_andn2_saveexec_b64 s[88:89], s[88:89]
; %bb.744:                              ;   in Loop: Header=BB4_127 Depth=2
	v_cmp_lt_i16_e32 vcc, -1, v14
	v_cndmask_b32_e32 v1, v5, v36, vcc
	v_cmp_eq_u32_e32 vcc, 0, v2
	v_cndmask_b32_e32 v1, v37, v1, vcc
; %bb.745:                              ;   in Loop: Header=BB4_127 Depth=2
	s_or_b64 exec, exec, s[88:89]
.LBB4_746:                              ;   in Loop: Header=BB4_127 Depth=2
	s_or_b64 exec, exec, s[78:79]
.LBB4_747:                              ;   in Loop: Header=BB4_127 Depth=2
	s_or_b64 exec, exec, s[20:21]
	v_lshrrev_b16_e32 v34, 8, v10
	v_cmp_ne_u16_e32 vcc, 0, v34
	s_and_saveexec_b64 s[20:21], vcc
	s_cbranch_execz .LBB4_755
; %bb.748:                              ;   in Loop: Header=BB4_127 Depth=2
	v_cmp_ne_u16_e32 vcc, s55, v34
	v_bfrev_b32_e32 v0, 1
	s_and_saveexec_b64 s[78:79], vcc
	s_cbranch_execz .LBB4_754
; %bb.749:                              ;   in Loop: Header=BB4_127 Depth=2
	v_and_b32_e32 v0, 0x7c, v34
	v_and_b32_e32 v2, 3, v34
	v_cmp_ne_u32_e32 vcc, s53, v0
                                        ; implicit-def: $vgpr0
	s_and_saveexec_b64 s[88:89], vcc
	s_xor_b64 s[88:89], exec, s[88:89]
	s_cbranch_execz .LBB4_751
; %bb.750:                              ;   in Loop: Header=BB4_127 Depth=2
	v_ffbh_u32_e32 v24, v2
	v_min_u32_e32 v26, 32, v24
	v_subrev_u32_e32 v24, 29, v26
	v_lshlrev_b64 v[24:25], v24, v[34:35]
	v_bfe_u32 v0, v34, 2, 5
	v_and_b32_e32 v24, 3, v24
	v_cmp_eq_u32_e32 vcc, 0, v0
	v_sub_u32_e32 v25, 30, v26
	v_cndmask_b32_e32 v2, v2, v24, vcc
	v_lshlrev_b32_e32 v24, 16, v10
	v_cndmask_b32_e32 v0, v0, v25, vcc
	v_and_b32_e32 v24, 0x80000000, v24
	v_lshl_add_u32 v0, v0, 23, v24
	v_lshl_or_b32 v0, v2, 21, v0
	v_add_u32_e32 v0, 0x38000000, v0
                                        ; implicit-def: $vgpr2
.LBB4_751:                              ;   in Loop: Header=BB4_127 Depth=2
	s_andn2_saveexec_b64 s[88:89], s[88:89]
; %bb.752:                              ;   in Loop: Header=BB4_127 Depth=2
	v_cmp_lt_i16_e32 vcc, -1, v10
	v_cndmask_b32_e32 v0, v5, v36, vcc
	v_cmp_eq_u32_e32 vcc, 0, v2
	v_cndmask_b32_e32 v0, v37, v0, vcc
; %bb.753:                              ;   in Loop: Header=BB4_127 Depth=2
	s_or_b64 exec, exec, s[88:89]
.LBB4_754:                              ;   in Loop: Header=BB4_127 Depth=2
	s_or_b64 exec, exec, s[78:79]
.LBB4_755:                              ;   in Loop: Header=BB4_127 Depth=2
	s_or_b64 exec, exec, s[20:21]
	v_mul_f32_e32 v0, v1, v0
	v_and_b32_e32 v1, 0x7f800000, v0
	v_mov_b32_e32 v2, v35
	v_cmp_ne_u64_e32 vcc, s[60:61], v[1:2]
	v_and_b32_e32 v34, 0x7fffff, v0
                                        ; implicit-def: $vgpr24
	s_and_saveexec_b64 s[20:21], vcc
	s_xor_b64 s[78:79], exec, s[20:21]
	s_cbranch_execz .LBB4_769
; %bb.756:                              ;   in Loop: Header=BB4_127 Depth=2
	v_and_b32_e32 v1, 0x7fffffff, v0
	v_mov_b32_e32 v2, v35
	v_cmp_gt_u64_e32 vcc, s[62:63], v[1:2]
	v_and_b32_sdwa v25, v0, s55 dst_sel:DWORD dst_unused:UNUSED_PAD src0_sel:BYTE_3 src1_sel:DWORD
                                        ; implicit-def: $vgpr24
	s_and_saveexec_b64 s[20:21], vcc
	s_xor_b64 s[88:89], exec, s[20:21]
	s_cbranch_execz .LBB4_766
; %bb.757:                              ;   in Loop: Header=BB4_127 Depth=2
	v_mov_b32_e32 v24, 0
	v_cmp_ne_u32_e32 vcc, 0, v0
	s_and_saveexec_b64 s[90:91], vcc
	s_cbranch_execz .LBB4_765
; %bb.758:                              ;   in Loop: Header=BB4_127 Depth=2
	v_bfe_u32 v24, v0, 23, 8
	v_cmp_gt_u32_e64 s[20:21], s64, v24
	v_sub_u32_e32 v0, 0x71, v24
	v_cmp_eq_u32_e32 vcc, 0, v24
	v_cndmask_b32_e64 v0, 0, v0, s[20:21]
	v_mov_b32_e32 v2, 0x70
	v_cndmask_b32_e32 v52, v0, v2, vcc
	v_or_b32_e32 v1, 0x800000, v34
	v_add_u32_e32 v0, 21, v52
	v_cndmask_b32_e32 v34, v1, v34, vcc
	v_lshlrev_b64 v[0:1], v0, -1
	v_add_u32_e32 v2, 20, v52
	v_lshlrev_b64 v[40:41], v2, 1
	v_bfi_b32 v1, v1, 0, 0
	v_bfi_b32 v0, v0, 0, v34
	v_cmp_eq_u64_e64 s[20:21], v[0:1], v[40:41]
	v_lshrrev_b64 v[0:1], v52, v[34:35]
	v_mov_b32_e32 v2, v1
	v_mov_b32_e32 v1, v0
	s_and_saveexec_b64 s[92:93], s[20:21]
; %bb.759:                              ;   in Loop: Header=BB4_127 Depth=2
	v_bfe_u32 v1, v0, 21, 1
	v_add_co_u32_e64 v1, s[20:21], v0, v1
	v_add_co_u32_e64 v1, s[20:21], -1, v1
; %bb.760:                              ;   in Loop: Header=BB4_127 Depth=2
	s_or_b64 exec, exec, s[92:93]
	v_add_u32_e32 v2, 0xffffff81, v24
	v_mov_b32_e32 v24, 0xffffff82
	v_cndmask_b32_e32 v2, v2, v24, vcc
	v_lshrrev_b32_e32 v24, 23, v0
	v_add3_u32 v52, v52, v2, v24
	v_add_u32_e32 v24, 14, v52
	v_and_b32_e32 v1, 0x1fffff, v1
	v_add_u32_e32 v34, v1, v0
	v_cmp_ne_u32_e32 vcc, 0, v24
                                        ; implicit-def: $vgpr0_vgpr1
                                        ; implicit-def: $vgpr2
	s_and_saveexec_b64 s[20:21], vcc
	s_xor_b64 s[20:21], exec, s[20:21]
; %bb.761:                              ;   in Loop: Header=BB4_127 Depth=2
	v_cmp_lt_u64_e32 vcc, s[72:73], v[34:35]
	v_add_u32_e32 v0, 15, v52
	v_cndmask_b32_e32 v2, v24, v0, vcc
	v_cndmask_b32_e64 v0, 0, 1, vcc
	v_lshrrev_b64 v[0:1], v0, v[34:35]
; %bb.762:                              ;   in Loop: Header=BB4_127 Depth=2
	s_andn2_saveexec_b64 s[20:21], s[20:21]
; %bb.763:                              ;   in Loop: Header=BB4_127 Depth=2
	v_mov_b32_e32 v0, v34
	v_bfe_u32 v2, v34, 23, 1
	v_mov_b32_e32 v1, v35
; %bb.764:                              ;   in Loop: Header=BB4_127 Depth=2
	s_or_b64 exec, exec, s[20:21]
	v_lshrrev_b64 v[0:1], 21, v[0:1]
	v_cmp_gt_i32_e32 vcc, 32, v2
	v_cndmask_b32_e32 v1, 0, v1, vcc
	v_cndmask_b32_e32 v0, 3, v0, vcc
	v_cmp_eq_u64_e64 s[20:21], 0, v[0:1]
	v_min_i32_e32 v1, 31, v2
	v_lshlrev_b32_e32 v1, 2, v1
	v_cmp_eq_u32_e32 vcc, 0, v2
	v_and_b32_e32 v1, 0xfc, v1
	v_and_or_b32 v0, v0, 3, v1
	s_and_b64 s[20:21], vcc, s[20:21]
	v_cndmask_b32_e64 v0, v0, 0, s[20:21]
	v_or_b32_e32 v24, v0, v25
.LBB4_765:                              ;   in Loop: Header=BB4_127 Depth=2
	s_or_b64 exec, exec, s[90:91]
                                        ; implicit-def: $vgpr25
.LBB4_766:                              ;   in Loop: Header=BB4_127 Depth=2
	s_andn2_saveexec_b64 s[20:21], s[88:89]
; %bb.767:                              ;   in Loop: Header=BB4_127 Depth=2
	v_or_b32_e32 v24, 0x7b, v25
; %bb.768:                              ;   in Loop: Header=BB4_127 Depth=2
	s_or_b64 exec, exec, s[20:21]
                                        ; implicit-def: $vgpr0
.LBB4_769:                              ;   in Loop: Header=BB4_127 Depth=2
	s_andn2_saveexec_b64 s[20:21], s[78:79]
	s_cbranch_execz .LBB4_775
; %bb.770:                              ;   in Loop: Header=BB4_127 Depth=2
	v_cmp_ne_u64_e32 vcc, 0, v[34:35]
                                        ; implicit-def: $vgpr24
	s_and_saveexec_b64 s[78:79], vcc
	s_xor_b64 s[78:79], exec, s[78:79]
; %bb.771:                              ;   in Loop: Header=BB4_127 Depth=2
	v_or_b32_sdwa v24, v0, s65 dst_sel:DWORD dst_unused:UNUSED_PAD src0_sel:BYTE_3 src1_sel:DWORD
                                        ; implicit-def: $vgpr0
; %bb.772:                              ;   in Loop: Header=BB4_127 Depth=2
	s_andn2_saveexec_b64 s[78:79], s[78:79]
; %bb.773:                              ;   in Loop: Header=BB4_127 Depth=2
	v_cmp_lt_i32_e32 vcc, -1, v0
	v_bfrev_b32_e32 v0, 0.5
	v_mov_b32_e32 v1, 0x7c
	v_cndmask_b32_e32 v24, v0, v1, vcc
; %bb.774:                              ;   in Loop: Header=BB4_127 Depth=2
	s_or_b64 exec, exec, s[78:79]
.LBB4_775:                              ;   in Loop: Header=BB4_127 Depth=2
	s_or_b64 exec, exec, s[20:21]
	v_lshrrev_b32_e32 v0, 16, v14
	v_cmp_ne_u16_sdwa s[78:79], v0, v35 src0_sel:BYTE_0 src1_sel:DWORD
	v_mov_b32_e32 v1, 0
	v_mov_b32_e32 v2, 0
	s_and_saveexec_b64 s[20:21], s[78:79]
	s_cbranch_execz .LBB4_783
; %bb.776:                              ;   in Loop: Header=BB4_127 Depth=2
	v_cmp_ne_u16_sdwa s[88:89], v0, s55 src0_sel:BYTE_0 src1_sel:DWORD
	v_bfrev_b32_e32 v2, 1
	s_and_saveexec_b64 s[78:79], s[88:89]
	s_cbranch_execz .LBB4_782
; %bb.777:                              ;   in Loop: Header=BB4_127 Depth=2
	v_and_b32_e32 v2, 0x7c0000, v14
	v_bfe_u32 v25, v14, 16, 2
	v_cmp_ne_u32_e32 vcc, s66, v2
                                        ; implicit-def: $vgpr2
	s_and_saveexec_b64 s[88:89], vcc
	s_xor_b64 s[88:89], exec, s[88:89]
	s_cbranch_execz .LBB4_779
; %bb.778:                              ;   in Loop: Header=BB4_127 Depth=2
	v_ffbh_u32_e32 v26, v25
	v_min_u32_e32 v26, 32, v26
	v_subrev_u32_e32 v27, 29, v26
	v_lshlrev_b64 v[52:53], v27, v[0:1]
	v_bfe_u32 v2, v14, 18, 5
	v_sub_u32_e32 v0, 30, v26
	v_and_b32_e32 v26, 3, v52
	v_cmp_eq_u32_e32 vcc, 0, v2
	v_cndmask_b32_e32 v0, v2, v0, vcc
	v_cndmask_b32_e32 v2, v25, v26, vcc
	v_lshlrev_b32_e32 v25, 8, v14
	v_and_b32_e32 v25, 0x80000000, v25
	v_lshl_add_u32 v0, v0, 23, v25
	v_lshl_or_b32 v0, v2, 21, v0
	v_add_u32_e32 v2, 0x38000000, v0
                                        ; implicit-def: $vgpr25
                                        ; implicit-def: $vgpr0
.LBB4_779:                              ;   in Loop: Header=BB4_127 Depth=2
	s_andn2_saveexec_b64 s[88:89], s[88:89]
; %bb.780:                              ;   in Loop: Header=BB4_127 Depth=2
	v_mov_b32_e32 v2, -1
	v_cmp_gt_i16_sdwa vcc, sext(v0), v2 src0_sel:BYTE_0 src1_sel:DWORD
	v_cndmask_b32_e32 v0, v5, v36, vcc
	v_cmp_eq_u32_e32 vcc, 0, v25
	v_cndmask_b32_e32 v2, v37, v0, vcc
; %bb.781:                              ;   in Loop: Header=BB4_127 Depth=2
	s_or_b64 exec, exec, s[88:89]
.LBB4_782:                              ;   in Loop: Header=BB4_127 Depth=2
	s_or_b64 exec, exec, s[78:79]
.LBB4_783:                              ;   in Loop: Header=BB4_127 Depth=2
	s_or_b64 exec, exec, s[20:21]
	v_lshrrev_b32_e32 v0, 16, v10
	v_cmp_ne_u16_sdwa s[78:79], v0, v35 src0_sel:BYTE_0 src1_sel:DWORD
	s_and_saveexec_b64 s[20:21], s[78:79]
	s_cbranch_execz .LBB4_791
; %bb.784:                              ;   in Loop: Header=BB4_127 Depth=2
	v_cmp_ne_u16_sdwa s[88:89], v0, s55 src0_sel:BYTE_0 src1_sel:DWORD
	v_bfrev_b32_e32 v1, 1
	s_and_saveexec_b64 s[78:79], s[88:89]
	s_cbranch_execz .LBB4_790
; %bb.785:                              ;   in Loop: Header=BB4_127 Depth=2
	v_and_b32_e32 v1, 0x7c0000, v10
	v_bfe_u32 v25, v10, 16, 2
	v_cmp_ne_u32_e32 vcc, s66, v1
                                        ; implicit-def: $vgpr1
	s_and_saveexec_b64 s[88:89], vcc
	s_xor_b64 s[88:89], exec, s[88:89]
	s_cbranch_execz .LBB4_787
; %bb.786:                              ;   in Loop: Header=BB4_127 Depth=2
	v_ffbh_u32_e32 v1, v25
	v_min_u32_e32 v27, 32, v1
	v_subrev_u32_e32 v1, 29, v27
	v_lshlrev_b64 v[0:1], v1, v[0:1]
	v_bfe_u32 v26, v10, 18, 5
	v_and_b32_e32 v0, 3, v0
	v_cmp_eq_u32_e32 vcc, 0, v26
	v_sub_u32_e32 v1, 30, v27
	v_cndmask_b32_e32 v0, v25, v0, vcc
	v_lshlrev_b32_e32 v25, 8, v10
	v_cndmask_b32_e32 v1, v26, v1, vcc
	v_and_b32_e32 v25, 0x80000000, v25
	v_lshl_add_u32 v1, v1, 23, v25
	v_lshl_or_b32 v0, v0, 21, v1
	v_add_u32_e32 v1, 0x38000000, v0
                                        ; implicit-def: $vgpr25
                                        ; implicit-def: $vgpr0
.LBB4_787:                              ;   in Loop: Header=BB4_127 Depth=2
	s_andn2_saveexec_b64 s[88:89], s[88:89]
; %bb.788:                              ;   in Loop: Header=BB4_127 Depth=2
	v_mov_b32_e32 v1, -1
	v_cmp_gt_i16_sdwa vcc, sext(v0), v1 src0_sel:BYTE_0 src1_sel:DWORD
	v_cndmask_b32_e32 v0, v5, v36, vcc
	v_cmp_eq_u32_e32 vcc, 0, v25
	v_cndmask_b32_e32 v1, v37, v0, vcc
; %bb.789:                              ;   in Loop: Header=BB4_127 Depth=2
	s_or_b64 exec, exec, s[88:89]
.LBB4_790:                              ;   in Loop: Header=BB4_127 Depth=2
	s_or_b64 exec, exec, s[78:79]
.LBB4_791:                              ;   in Loop: Header=BB4_127 Depth=2
	s_or_b64 exec, exec, s[20:21]
	v_mul_f32_e32 v0, v2, v1
	v_and_b32_e32 v1, 0x7f800000, v0
	v_mov_b32_e32 v2, v35
	v_cmp_ne_u64_e32 vcc, s[60:61], v[1:2]
	v_and_b32_e32 v34, 0x7fffff, v0
                                        ; implicit-def: $vgpr25
	s_and_saveexec_b64 s[20:21], vcc
	s_xor_b64 s[78:79], exec, s[20:21]
	s_cbranch_execz .LBB4_805
; %bb.792:                              ;   in Loop: Header=BB4_127 Depth=2
	v_and_b32_e32 v1, 0x7fffffff, v0
	v_mov_b32_e32 v2, v35
	v_cmp_gt_u64_e32 vcc, s[62:63], v[1:2]
	v_and_b32_sdwa v52, v0, s55 dst_sel:DWORD dst_unused:UNUSED_PAD src0_sel:BYTE_3 src1_sel:DWORD
                                        ; implicit-def: $vgpr25
	s_and_saveexec_b64 s[20:21], vcc
	s_xor_b64 s[88:89], exec, s[20:21]
	s_cbranch_execz .LBB4_802
; %bb.793:                              ;   in Loop: Header=BB4_127 Depth=2
	v_mov_b32_e32 v25, 0
	v_cmp_ne_u32_e32 vcc, 0, v0
	s_and_saveexec_b64 s[90:91], vcc
	s_cbranch_execz .LBB4_801
; %bb.794:                              ;   in Loop: Header=BB4_127 Depth=2
	v_bfe_u32 v25, v0, 23, 8
	v_cmp_gt_u32_e64 s[20:21], s64, v25
	v_sub_u32_e32 v0, 0x71, v25
	v_cmp_eq_u32_e32 vcc, 0, v25
	v_cndmask_b32_e64 v0, 0, v0, s[20:21]
	v_mov_b32_e32 v2, 0x70
	v_cndmask_b32_e32 v53, v0, v2, vcc
	v_or_b32_e32 v1, 0x800000, v34
	v_add_u32_e32 v0, 21, v53
	v_cndmask_b32_e32 v34, v1, v34, vcc
	v_lshlrev_b64 v[0:1], v0, -1
	v_add_u32_e32 v2, 20, v53
	v_lshlrev_b64 v[40:41], v2, 1
	v_bfi_b32 v1, v1, 0, 0
	v_bfi_b32 v0, v0, 0, v34
	v_cmp_eq_u64_e64 s[20:21], v[0:1], v[40:41]
	v_lshrrev_b64 v[0:1], v53, v[34:35]
	v_mov_b32_e32 v2, v1
	v_mov_b32_e32 v1, v0
	s_and_saveexec_b64 s[92:93], s[20:21]
; %bb.795:                              ;   in Loop: Header=BB4_127 Depth=2
	v_bfe_u32 v1, v0, 21, 1
	v_add_co_u32_e64 v1, s[20:21], v0, v1
	v_add_co_u32_e64 v1, s[20:21], -1, v1
; %bb.796:                              ;   in Loop: Header=BB4_127 Depth=2
	s_or_b64 exec, exec, s[92:93]
	v_add_u32_e32 v2, 0xffffff81, v25
	v_mov_b32_e32 v25, 0xffffff82
	v_cndmask_b32_e32 v2, v2, v25, vcc
	v_lshrrev_b32_e32 v25, 23, v0
	v_add3_u32 v53, v53, v2, v25
	v_add_u32_e32 v25, 14, v53
	v_and_b32_e32 v1, 0x1fffff, v1
	v_add_u32_e32 v34, v1, v0
	v_cmp_ne_u32_e32 vcc, 0, v25
                                        ; implicit-def: $vgpr0_vgpr1
                                        ; implicit-def: $vgpr2
	s_and_saveexec_b64 s[20:21], vcc
	s_xor_b64 s[20:21], exec, s[20:21]
; %bb.797:                              ;   in Loop: Header=BB4_127 Depth=2
	v_cmp_lt_u64_e32 vcc, s[72:73], v[34:35]
	v_add_u32_e32 v0, 15, v53
	v_cndmask_b32_e32 v2, v25, v0, vcc
	v_cndmask_b32_e64 v0, 0, 1, vcc
	v_lshrrev_b64 v[0:1], v0, v[34:35]
; %bb.798:                              ;   in Loop: Header=BB4_127 Depth=2
	s_andn2_saveexec_b64 s[20:21], s[20:21]
; %bb.799:                              ;   in Loop: Header=BB4_127 Depth=2
	v_mov_b32_e32 v0, v34
	v_bfe_u32 v2, v34, 23, 1
	v_mov_b32_e32 v1, v35
; %bb.800:                              ;   in Loop: Header=BB4_127 Depth=2
	s_or_b64 exec, exec, s[20:21]
	v_lshrrev_b64 v[0:1], 21, v[0:1]
	v_cmp_gt_i32_e32 vcc, 32, v2
	v_cndmask_b32_e32 v1, 0, v1, vcc
	v_cndmask_b32_e32 v0, 3, v0, vcc
	v_cmp_eq_u64_e64 s[20:21], 0, v[0:1]
	v_min_i32_e32 v1, 31, v2
	v_lshlrev_b32_e32 v1, 2, v1
	v_cmp_eq_u32_e32 vcc, 0, v2
	v_and_b32_e32 v1, 0xfc, v1
	v_and_or_b32 v0, v0, 3, v1
	s_and_b64 s[20:21], vcc, s[20:21]
	v_cndmask_b32_e64 v0, v0, 0, s[20:21]
	v_or_b32_e32 v25, v0, v52
.LBB4_801:                              ;   in Loop: Header=BB4_127 Depth=2
	s_or_b64 exec, exec, s[90:91]
                                        ; implicit-def: $vgpr52
.LBB4_802:                              ;   in Loop: Header=BB4_127 Depth=2
	s_andn2_saveexec_b64 s[20:21], s[88:89]
; %bb.803:                              ;   in Loop: Header=BB4_127 Depth=2
	v_or_b32_e32 v25, 0x7b, v52
; %bb.804:                              ;   in Loop: Header=BB4_127 Depth=2
	s_or_b64 exec, exec, s[20:21]
                                        ; implicit-def: $vgpr0
.LBB4_805:                              ;   in Loop: Header=BB4_127 Depth=2
	s_andn2_saveexec_b64 s[20:21], s[78:79]
	s_cbranch_execz .LBB4_811
; %bb.806:                              ;   in Loop: Header=BB4_127 Depth=2
	v_cmp_ne_u64_e32 vcc, 0, v[34:35]
                                        ; implicit-def: $vgpr25
	s_and_saveexec_b64 s[78:79], vcc
	s_xor_b64 s[78:79], exec, s[78:79]
; %bb.807:                              ;   in Loop: Header=BB4_127 Depth=2
	v_or_b32_sdwa v25, v0, s65 dst_sel:DWORD dst_unused:UNUSED_PAD src0_sel:BYTE_3 src1_sel:DWORD
                                        ; implicit-def: $vgpr0
; %bb.808:                              ;   in Loop: Header=BB4_127 Depth=2
	s_andn2_saveexec_b64 s[78:79], s[78:79]
; %bb.809:                              ;   in Loop: Header=BB4_127 Depth=2
	v_cmp_lt_i32_e32 vcc, -1, v0
	v_bfrev_b32_e32 v0, 0.5
	v_mov_b32_e32 v1, 0x7c
	v_cndmask_b32_e32 v25, v0, v1, vcc
; %bb.810:                              ;   in Loop: Header=BB4_127 Depth=2
	s_or_b64 exec, exec, s[78:79]
.LBB4_811:                              ;   in Loop: Header=BB4_127 Depth=2
	s_or_b64 exec, exec, s[20:21]
	v_cmp_lt_u32_e32 vcc, s59, v14
	v_mov_b32_e32 v1, 0
	v_mov_b32_e32 v2, 0
	s_and_saveexec_b64 s[20:21], vcc
	s_cbranch_execz .LBB4_819
; %bb.812:                              ;   in Loop: Header=BB4_127 Depth=2
	v_lshrrev_b32_e32 v0, 24, v14
	v_cmp_ne_u32_e32 vcc, s55, v0
	v_bfrev_b32_e32 v2, 1
	s_and_saveexec_b64 s[78:79], vcc
	s_cbranch_execz .LBB4_818
; %bb.813:                              ;   in Loop: Header=BB4_127 Depth=2
	v_and_b32_e32 v2, 0x7c000000, v14
	v_bfe_u32 v34, v14, 24, 2
	v_cmp_ne_u32_e32 vcc, s67, v2
                                        ; implicit-def: $vgpr2
	s_and_saveexec_b64 s[88:89], vcc
	s_xor_b64 s[88:89], exec, s[88:89]
	s_cbranch_execz .LBB4_815
; %bb.814:                              ;   in Loop: Header=BB4_127 Depth=2
	v_ffbh_u32_e32 v26, v34
	v_min_u32_e32 v26, 32, v26
	v_subrev_u32_e32 v27, 29, v26
	v_lshlrev_b64 v[52:53], v27, v[0:1]
	v_bfe_u32 v2, v14, 26, 5
	v_sub_u32_e32 v0, 30, v26
	v_and_b32_e32 v26, 3, v52
	v_cmp_eq_u32_e32 vcc, 0, v2
	v_cndmask_b32_e32 v0, v2, v0, vcc
	v_cndmask_b32_e32 v2, v34, v26, vcc
	v_and_b32_e32 v26, 0x80000000, v14
	v_lshl_add_u32 v0, v0, 23, v26
	v_lshl_or_b32 v0, v2, 21, v0
	v_add_u32_e32 v2, 0x38000000, v0
                                        ; implicit-def: $vgpr34
.LBB4_815:                              ;   in Loop: Header=BB4_127 Depth=2
	s_andn2_saveexec_b64 s[88:89], s[88:89]
; %bb.816:                              ;   in Loop: Header=BB4_127 Depth=2
	v_cmp_lt_i32_e32 vcc, -1, v14
	v_cndmask_b32_e32 v0, v5, v36, vcc
	v_cmp_eq_u32_e32 vcc, 0, v34
	v_cndmask_b32_e32 v2, v37, v0, vcc
; %bb.817:                              ;   in Loop: Header=BB4_127 Depth=2
	s_or_b64 exec, exec, s[88:89]
.LBB4_818:                              ;   in Loop: Header=BB4_127 Depth=2
	s_or_b64 exec, exec, s[78:79]
.LBB4_819:                              ;   in Loop: Header=BB4_127 Depth=2
	s_or_b64 exec, exec, s[20:21]
	v_cmp_lt_u32_e32 vcc, s59, v10
	s_and_saveexec_b64 s[20:21], vcc
	s_cbranch_execz .LBB4_827
; %bb.820:                              ;   in Loop: Header=BB4_127 Depth=2
	v_lshrrev_b32_e32 v0, 24, v10
	v_cmp_ne_u32_e32 vcc, s55, v0
	v_bfrev_b32_e32 v1, 1
	s_and_saveexec_b64 s[78:79], vcc
	s_cbranch_execz .LBB4_826
; %bb.821:                              ;   in Loop: Header=BB4_127 Depth=2
	v_and_b32_e32 v1, 0x7c000000, v10
	v_bfe_u32 v34, v10, 24, 2
	v_cmp_ne_u32_e32 vcc, s67, v1
                                        ; implicit-def: $vgpr1
	s_and_saveexec_b64 s[88:89], vcc
	s_xor_b64 s[88:89], exec, s[88:89]
	s_cbranch_execz .LBB4_823
; %bb.822:                              ;   in Loop: Header=BB4_127 Depth=2
	v_ffbh_u32_e32 v1, v34
	v_min_u32_e32 v27, 32, v1
	v_subrev_u32_e32 v1, 29, v27
	v_bfe_u32 v26, v10, 26, 5
	v_lshlrev_b64 v[0:1], v1, v[0:1]
	v_sub_u32_e32 v1, 30, v27
	v_cmp_eq_u32_e32 vcc, 0, v26
	v_and_b32_e32 v0, 3, v0
	v_cndmask_b32_e32 v1, v26, v1, vcc
	v_and_b32_e32 v26, 0x80000000, v10
	v_cndmask_b32_e32 v0, v34, v0, vcc
	v_lshl_add_u32 v1, v1, 23, v26
	v_lshl_or_b32 v0, v0, 21, v1
	v_add_u32_e32 v1, 0x38000000, v0
                                        ; implicit-def: $vgpr34
.LBB4_823:                              ;   in Loop: Header=BB4_127 Depth=2
	s_andn2_saveexec_b64 s[88:89], s[88:89]
; %bb.824:                              ;   in Loop: Header=BB4_127 Depth=2
	v_cmp_lt_i32_e32 vcc, -1, v10
	v_cndmask_b32_e32 v0, v5, v36, vcc
	v_cmp_eq_u32_e32 vcc, 0, v34
	v_cndmask_b32_e32 v1, v37, v0, vcc
; %bb.825:                              ;   in Loop: Header=BB4_127 Depth=2
	s_or_b64 exec, exec, s[88:89]
.LBB4_826:                              ;   in Loop: Header=BB4_127 Depth=2
	s_or_b64 exec, exec, s[78:79]
.LBB4_827:                              ;   in Loop: Header=BB4_127 Depth=2
	s_or_b64 exec, exec, s[20:21]
	v_mul_f32_e32 v0, v2, v1
	v_and_b32_e32 v1, 0x7f800000, v0
	v_mov_b32_e32 v2, v35
	v_cmp_ne_u64_e32 vcc, s[60:61], v[1:2]
	v_and_b32_e32 v34, 0x7fffff, v0
                                        ; implicit-def: $vgpr52
	s_and_saveexec_b64 s[20:21], vcc
	s_xor_b64 s[78:79], exec, s[20:21]
	s_cbranch_execz .LBB4_841
; %bb.828:                              ;   in Loop: Header=BB4_127 Depth=2
	v_and_b32_e32 v1, 0x7fffffff, v0
	v_mov_b32_e32 v2, v35
	v_cmp_gt_u64_e32 vcc, s[62:63], v[1:2]
	v_and_b32_sdwa v53, v0, s55 dst_sel:DWORD dst_unused:UNUSED_PAD src0_sel:BYTE_3 src1_sel:DWORD
                                        ; implicit-def: $vgpr52
	s_and_saveexec_b64 s[20:21], vcc
	s_xor_b64 s[88:89], exec, s[20:21]
	s_cbranch_execz .LBB4_838
; %bb.829:                              ;   in Loop: Header=BB4_127 Depth=2
	v_mov_b32_e32 v52, 0
	v_cmp_ne_u32_e32 vcc, 0, v0
	s_and_saveexec_b64 s[90:91], vcc
	s_cbranch_execz .LBB4_837
; %bb.830:                              ;   in Loop: Header=BB4_127 Depth=2
	v_bfe_u32 v52, v0, 23, 8
	v_cmp_gt_u32_e64 s[20:21], s64, v52
	v_sub_u32_e32 v0, 0x71, v52
	v_cmp_eq_u32_e32 vcc, 0, v52
	v_cndmask_b32_e64 v0, 0, v0, s[20:21]
	v_mov_b32_e32 v2, 0x70
	v_cndmask_b32_e32 v40, v0, v2, vcc
	v_or_b32_e32 v1, 0x800000, v34
	v_add_u32_e32 v0, 21, v40
	v_cndmask_b32_e32 v34, v1, v34, vcc
	v_lshlrev_b64 v[0:1], v0, -1
	v_add_u32_e32 v2, 20, v40
	v_lshlrev_b64 v[41:42], v2, 1
	v_bfi_b32 v1, v1, 0, 0
	v_bfi_b32 v0, v0, 0, v34
	v_cmp_eq_u64_e64 s[20:21], v[0:1], v[41:42]
	v_lshrrev_b64 v[0:1], v40, v[34:35]
	v_mov_b32_e32 v2, v1
	v_mov_b32_e32 v1, v0
	s_and_saveexec_b64 s[92:93], s[20:21]
; %bb.831:                              ;   in Loop: Header=BB4_127 Depth=2
	v_bfe_u32 v1, v0, 21, 1
	v_add_co_u32_e64 v1, s[20:21], v0, v1
	v_add_co_u32_e64 v1, s[20:21], -1, v1
; %bb.832:                              ;   in Loop: Header=BB4_127 Depth=2
	s_or_b64 exec, exec, s[92:93]
	v_add_u32_e32 v2, 0xffffff81, v52
	v_mov_b32_e32 v26, 0xffffff82
	v_cndmask_b32_e32 v2, v2, v26, vcc
	v_lshrrev_b32_e32 v26, 23, v0
	v_add3_u32 v40, v40, v2, v26
	v_add_u32_e32 v52, 14, v40
	v_and_b32_e32 v1, 0x1fffff, v1
	v_add_u32_e32 v34, v1, v0
	v_cmp_ne_u32_e32 vcc, 0, v52
                                        ; implicit-def: $vgpr0_vgpr1
                                        ; implicit-def: $vgpr2
	s_and_saveexec_b64 s[20:21], vcc
	s_xor_b64 s[20:21], exec, s[20:21]
; %bb.833:                              ;   in Loop: Header=BB4_127 Depth=2
	v_cmp_lt_u64_e32 vcc, s[72:73], v[34:35]
	v_add_u32_e32 v0, 15, v40
	v_cndmask_b32_e32 v2, v52, v0, vcc
	v_cndmask_b32_e64 v0, 0, 1, vcc
	v_lshrrev_b64 v[0:1], v0, v[34:35]
; %bb.834:                              ;   in Loop: Header=BB4_127 Depth=2
	s_andn2_saveexec_b64 s[20:21], s[20:21]
; %bb.835:                              ;   in Loop: Header=BB4_127 Depth=2
	v_mov_b32_e32 v0, v34
	v_bfe_u32 v2, v34, 23, 1
	v_mov_b32_e32 v1, v35
; %bb.836:                              ;   in Loop: Header=BB4_127 Depth=2
	s_or_b64 exec, exec, s[20:21]
	v_lshrrev_b64 v[0:1], 21, v[0:1]
	v_cmp_gt_i32_e32 vcc, 32, v2
	v_cndmask_b32_e32 v1, 0, v1, vcc
	v_cndmask_b32_e32 v0, 3, v0, vcc
	v_cmp_eq_u64_e64 s[20:21], 0, v[0:1]
	v_min_i32_e32 v1, 31, v2
	v_lshlrev_b32_e32 v1, 2, v1
	v_cmp_eq_u32_e32 vcc, 0, v2
	v_and_b32_e32 v1, 0xfc, v1
	v_and_or_b32 v0, v0, 3, v1
	s_and_b64 s[20:21], vcc, s[20:21]
	v_cndmask_b32_e64 v0, v0, 0, s[20:21]
	v_or_b32_e32 v52, v0, v53
.LBB4_837:                              ;   in Loop: Header=BB4_127 Depth=2
	s_or_b64 exec, exec, s[90:91]
                                        ; implicit-def: $vgpr53
.LBB4_838:                              ;   in Loop: Header=BB4_127 Depth=2
	s_andn2_saveexec_b64 s[20:21], s[88:89]
; %bb.839:                              ;   in Loop: Header=BB4_127 Depth=2
	v_or_b32_e32 v52, 0x7b, v53
; %bb.840:                              ;   in Loop: Header=BB4_127 Depth=2
	s_or_b64 exec, exec, s[20:21]
                                        ; implicit-def: $vgpr0
.LBB4_841:                              ;   in Loop: Header=BB4_127 Depth=2
	s_andn2_saveexec_b64 s[20:21], s[78:79]
	s_cbranch_execz .LBB4_847
; %bb.842:                              ;   in Loop: Header=BB4_127 Depth=2
	v_cmp_ne_u64_e32 vcc, 0, v[34:35]
                                        ; implicit-def: $vgpr52
	s_and_saveexec_b64 s[78:79], vcc
	s_xor_b64 s[78:79], exec, s[78:79]
; %bb.843:                              ;   in Loop: Header=BB4_127 Depth=2
	v_or_b32_sdwa v52, v0, s65 dst_sel:DWORD dst_unused:UNUSED_PAD src0_sel:BYTE_3 src1_sel:DWORD
                                        ; implicit-def: $vgpr0
; %bb.844:                              ;   in Loop: Header=BB4_127 Depth=2
	s_andn2_saveexec_b64 s[78:79], s[78:79]
; %bb.845:                              ;   in Loop: Header=BB4_127 Depth=2
	v_cmp_lt_i32_e32 vcc, -1, v0
	v_bfrev_b32_e32 v0, 0.5
	v_mov_b32_e32 v1, 0x7c
	v_cndmask_b32_e32 v52, v0, v1, vcc
; %bb.846:                              ;   in Loop: Header=BB4_127 Depth=2
	s_or_b64 exec, exec, s[78:79]
.LBB4_847:                              ;   in Loop: Header=BB4_127 Depth=2
	s_or_b64 exec, exec, s[20:21]
	v_mov_b32_e32 v34, v15
	v_cmp_ne_u16_sdwa s[78:79], v15, v35 src0_sel:BYTE_0 src1_sel:DWORD
	v_mov_b32_e32 v1, 0
	v_mov_b32_e32 v0, 0
	s_and_saveexec_b64 s[20:21], s[78:79]
	s_cbranch_execz .LBB4_855
; %bb.848:                              ;   in Loop: Header=BB4_127 Depth=2
	v_cmp_ne_u16_sdwa s[88:89], v15, s55 src0_sel:BYTE_0 src1_sel:DWORD
	v_bfrev_b32_e32 v0, 1
	s_and_saveexec_b64 s[78:79], s[88:89]
	s_cbranch_execz .LBB4_854
; %bb.849:                              ;   in Loop: Header=BB4_127 Depth=2
	v_and_b32_e32 v0, 0x7c, v15
	v_and_b32_e32 v2, 3, v15
	v_cmp_ne_u32_e32 vcc, s53, v0
                                        ; implicit-def: $vgpr0
	s_and_saveexec_b64 s[88:89], vcc
	s_xor_b64 s[88:89], exec, s[88:89]
	s_cbranch_execz .LBB4_851
; %bb.850:                              ;   in Loop: Header=BB4_127 Depth=2
	v_ffbh_u32_e32 v26, v2
	v_min_u32_e32 v26, 32, v26
	v_bfe_u32 v0, v15, 2, 5
	v_subrev_u32_e32 v27, 29, v26
	v_lshlrev_b64 v[40:41], v27, v[34:35]
	v_sub_u32_e32 v26, 30, v26
	v_cmp_eq_u32_e32 vcc, 0, v0
	v_cndmask_b32_e32 v0, v0, v26, vcc
	v_lshlrev_b32_e32 v26, 24, v15
	v_and_b32_e32 v27, 3, v40
	v_and_b32_e32 v26, 0x80000000, v26
	v_cndmask_b32_e32 v2, v2, v27, vcc
	v_lshl_add_u32 v0, v0, 23, v26
	v_lshl_or_b32 v0, v2, 21, v0
	v_add_u32_e32 v0, 0x38000000, v0
                                        ; implicit-def: $vgpr2
.LBB4_851:                              ;   in Loop: Header=BB4_127 Depth=2
	s_andn2_saveexec_b64 s[88:89], s[88:89]
; %bb.852:                              ;   in Loop: Header=BB4_127 Depth=2
	v_mov_b32_e32 v0, -1
	v_cmp_gt_i16_sdwa vcc, sext(v15), v0 src0_sel:BYTE_0 src1_sel:DWORD
	v_cndmask_b32_e32 v0, v5, v36, vcc
	v_cmp_eq_u32_e32 vcc, 0, v2
	v_cndmask_b32_e32 v0, v37, v0, vcc
; %bb.853:                              ;   in Loop: Header=BB4_127 Depth=2
	s_or_b64 exec, exec, s[88:89]
.LBB4_854:                              ;   in Loop: Header=BB4_127 Depth=2
	s_or_b64 exec, exec, s[78:79]
.LBB4_855:                              ;   in Loop: Header=BB4_127 Depth=2
	s_or_b64 exec, exec, s[20:21]
	v_cmp_ne_u16_sdwa s[78:79], v11, v35 src0_sel:BYTE_0 src1_sel:DWORD
	s_and_saveexec_b64 s[20:21], s[78:79]
	s_cbranch_execz .LBB4_863
; %bb.856:                              ;   in Loop: Header=BB4_127 Depth=2
	v_cmp_ne_u16_sdwa s[88:89], v11, s55 src0_sel:BYTE_0 src1_sel:DWORD
	v_bfrev_b32_e32 v1, 1
	s_and_saveexec_b64 s[78:79], s[88:89]
	s_cbranch_execz .LBB4_862
; %bb.857:                              ;   in Loop: Header=BB4_127 Depth=2
	v_and_b32_e32 v1, 0x7c, v11
	v_and_b32_e32 v2, 3, v11
	v_cmp_ne_u32_e32 vcc, s53, v1
                                        ; implicit-def: $vgpr1
	s_and_saveexec_b64 s[88:89], vcc
	s_xor_b64 s[88:89], exec, s[88:89]
	s_cbranch_execz .LBB4_859
; %bb.858:                              ;   in Loop: Header=BB4_127 Depth=2
	v_ffbh_u32_e32 v26, v2
	v_min_u32_e32 v26, 32, v26
	v_mov_b32_e32 v40, v11
	v_mov_b32_e32 v41, v35
	v_bfe_u32 v1, v11, 2, 5
	v_subrev_u32_e32 v27, 29, v26
	v_lshlrev_b64 v[40:41], v27, v[40:41]
	v_sub_u32_e32 v26, 30, v26
	v_cmp_eq_u32_e32 vcc, 0, v1
	v_cndmask_b32_e32 v1, v1, v26, vcc
	v_lshlrev_b32_e32 v26, 24, v11
	v_and_b32_e32 v27, 3, v40
	v_and_b32_e32 v26, 0x80000000, v26
	v_cndmask_b32_e32 v2, v2, v27, vcc
	v_lshl_add_u32 v1, v1, 23, v26
	v_lshl_or_b32 v1, v2, 21, v1
	v_add_u32_e32 v1, 0x38000000, v1
                                        ; implicit-def: $vgpr2
.LBB4_859:                              ;   in Loop: Header=BB4_127 Depth=2
	s_andn2_saveexec_b64 s[88:89], s[88:89]
; %bb.860:                              ;   in Loop: Header=BB4_127 Depth=2
	v_mov_b32_e32 v1, -1
	v_cmp_gt_i16_sdwa vcc, sext(v11), v1 src0_sel:BYTE_0 src1_sel:DWORD
	v_cndmask_b32_e32 v1, v5, v36, vcc
	v_cmp_eq_u32_e32 vcc, 0, v2
	v_cndmask_b32_e32 v1, v37, v1, vcc
; %bb.861:                              ;   in Loop: Header=BB4_127 Depth=2
	s_or_b64 exec, exec, s[88:89]
.LBB4_862:                              ;   in Loop: Header=BB4_127 Depth=2
	s_or_b64 exec, exec, s[78:79]
.LBB4_863:                              ;   in Loop: Header=BB4_127 Depth=2
	s_or_b64 exec, exec, s[20:21]
	v_mul_f32_e32 v2, v0, v1
	v_and_b32_e32 v40, 0x7f800000, v2
	v_mov_b32_e32 v41, v35
	v_cmp_ne_u64_e32 vcc, s[60:61], v[40:41]
	v_and_b32_e32 v0, 0x7fffff, v2
	v_mov_b32_e32 v1, v35
                                        ; implicit-def: $vgpr53
	s_and_saveexec_b64 s[20:21], vcc
	s_xor_b64 s[78:79], exec, s[20:21]
	s_cbranch_execz .LBB4_877
; %bb.864:                              ;   in Loop: Header=BB4_127 Depth=2
	v_and_b32_e32 v40, 0x7fffffff, v2
	v_mov_b32_e32 v41, v35
	v_cmp_gt_u64_e32 vcc, s[62:63], v[40:41]
	v_and_b32_sdwa v40, v2, s55 dst_sel:DWORD dst_unused:UNUSED_PAD src0_sel:BYTE_3 src1_sel:DWORD
                                        ; implicit-def: $vgpr53
	s_and_saveexec_b64 s[20:21], vcc
	s_xor_b64 s[88:89], exec, s[20:21]
	s_cbranch_execz .LBB4_874
; %bb.865:                              ;   in Loop: Header=BB4_127 Depth=2
	v_mov_b32_e32 v53, 0
	v_cmp_ne_u32_e32 vcc, 0, v2
	s_and_saveexec_b64 s[90:91], vcc
	s_cbranch_execz .LBB4_873
; %bb.866:                              ;   in Loop: Header=BB4_127 Depth=2
	v_bfe_u32 v53, v2, 23, 8
	v_cmp_gt_u32_e64 s[20:21], s64, v53
	v_sub_u32_e32 v2, 0x71, v53
	v_cmp_eq_u32_e32 vcc, 0, v53
	v_cndmask_b32_e64 v2, 0, v2, s[20:21]
	v_mov_b32_e32 v27, 0x70
	v_cndmask_b32_e32 v41, v2, v27, vcc
	v_add_u32_e32 v2, 21, v41
	v_or_b32_e32 v26, 0x800000, v0
	v_lshlrev_b64 v[42:43], v2, -1
	v_cndmask_b32_e32 v0, v26, v0, vcc
	v_add_u32_e32 v2, 20, v41
	v_mov_b32_e32 v60, v45
	v_bfi_b32 v42, v42, 0, v0
	v_lshlrev_b64 v[44:45], v2, 1
	v_lshrrev_b64 v[0:1], v41, v[0:1]
	v_bfi_b32 v43, v43, 0, 0
	v_cmp_eq_u64_e64 s[20:21], v[42:43], v[44:45]
	v_mov_b32_e32 v2, v1
	v_mov_b32_e32 v1, v0
	s_and_saveexec_b64 s[92:93], s[20:21]
; %bb.867:                              ;   in Loop: Header=BB4_127 Depth=2
	v_bfe_u32 v1, v0, 21, 1
	v_add_co_u32_e64 v1, s[20:21], v0, v1
	v_add_co_u32_e64 v1, s[20:21], -1, v1
; %bb.868:                              ;   in Loop: Header=BB4_127 Depth=2
	s_or_b64 exec, exec, s[92:93]
	v_add_u32_e32 v2, 0xffffff81, v53
	v_mov_b32_e32 v26, 0xffffff82
	v_cndmask_b32_e32 v2, v2, v26, vcc
	v_lshrrev_b32_e32 v26, 23, v0
	v_add3_u32 v41, v41, v2, v26
	v_add_u32_e32 v53, 14, v41
	v_and_b32_e32 v1, 0x1fffff, v1
	v_add_u32_e32 v0, v1, v0
	v_mov_b32_e32 v1, v35
	v_cmp_ne_u32_e32 vcc, 0, v53
                                        ; implicit-def: $vgpr2
	s_and_saveexec_b64 s[20:21], vcc
	s_xor_b64 s[20:21], exec, s[20:21]
; %bb.869:                              ;   in Loop: Header=BB4_127 Depth=2
	v_cmp_lt_u64_e32 vcc, s[72:73], v[0:1]
	v_add_u32_e32 v2, 15, v41
	v_cndmask_b32_e64 v26, 0, 1, vcc
	v_lshrrev_b64 v[0:1], v26, v[0:1]
	v_cndmask_b32_e32 v2, v53, v2, vcc
; %bb.870:                              ;   in Loop: Header=BB4_127 Depth=2
	s_or_saveexec_b64 s[20:21], s[20:21]
	v_mov_b32_e32 v45, v60
	s_xor_b64 exec, exec, s[20:21]
; %bb.871:                              ;   in Loop: Header=BB4_127 Depth=2
	v_bfe_u32 v2, v0, 23, 1
; %bb.872:                              ;   in Loop: Header=BB4_127 Depth=2
	s_or_b64 exec, exec, s[20:21]
	v_lshrrev_b64 v[0:1], 21, v[0:1]
	v_cmp_gt_i32_e32 vcc, 32, v2
	v_cndmask_b32_e32 v1, 0, v1, vcc
	v_cndmask_b32_e32 v0, 3, v0, vcc
	v_cmp_eq_u64_e64 s[20:21], 0, v[0:1]
	v_min_i32_e32 v1, 31, v2
	v_lshlrev_b32_e32 v1, 2, v1
	v_cmp_eq_u32_e32 vcc, 0, v2
	v_and_b32_e32 v1, 0xfc, v1
	v_and_or_b32 v0, v0, 3, v1
	s_and_b64 s[20:21], vcc, s[20:21]
	v_cndmask_b32_e64 v0, v0, 0, s[20:21]
	v_or_b32_e32 v53, v0, v40
.LBB4_873:                              ;   in Loop: Header=BB4_127 Depth=2
	s_or_b64 exec, exec, s[90:91]
                                        ; implicit-def: $vgpr40
.LBB4_874:                              ;   in Loop: Header=BB4_127 Depth=2
	s_andn2_saveexec_b64 s[20:21], s[88:89]
; %bb.875:                              ;   in Loop: Header=BB4_127 Depth=2
	v_or_b32_e32 v53, 0x7b, v40
; %bb.876:                              ;   in Loop: Header=BB4_127 Depth=2
	s_or_b64 exec, exec, s[20:21]
                                        ; implicit-def: $vgpr2
                                        ; implicit-def: $vgpr0_vgpr1
.LBB4_877:                              ;   in Loop: Header=BB4_127 Depth=2
	s_andn2_saveexec_b64 s[20:21], s[78:79]
	s_cbranch_execz .LBB4_883
; %bb.878:                              ;   in Loop: Header=BB4_127 Depth=2
	v_cmp_ne_u64_e32 vcc, 0, v[0:1]
                                        ; implicit-def: $vgpr53
	s_and_saveexec_b64 s[78:79], vcc
	s_xor_b64 s[78:79], exec, s[78:79]
; %bb.879:                              ;   in Loop: Header=BB4_127 Depth=2
	v_or_b32_sdwa v53, v2, s65 dst_sel:DWORD dst_unused:UNUSED_PAD src0_sel:BYTE_3 src1_sel:DWORD
                                        ; implicit-def: $vgpr2
; %bb.880:                              ;   in Loop: Header=BB4_127 Depth=2
	s_andn2_saveexec_b64 s[78:79], s[78:79]
; %bb.881:                              ;   in Loop: Header=BB4_127 Depth=2
	v_cmp_lt_i32_e32 vcc, -1, v2
	v_bfrev_b32_e32 v0, 0.5
	v_mov_b32_e32 v1, 0x7c
	v_cndmask_b32_e32 v53, v0, v1, vcc
; %bb.882:                              ;   in Loop: Header=BB4_127 Depth=2
	s_or_b64 exec, exec, s[78:79]
.LBB4_883:                              ;   in Loop: Header=BB4_127 Depth=2
	s_or_b64 exec, exec, s[20:21]
	v_lshrrev_b16_e32 v0, 8, v34
	v_cmp_ne_u16_e32 vcc, 0, v0
	v_mov_b32_e32 v2, 0
	v_mov_b32_e32 v1, 0
	s_and_saveexec_b64 s[20:21], vcc
	s_cbranch_execz .LBB4_891
; %bb.884:                              ;   in Loop: Header=BB4_127 Depth=2
	v_cmp_ne_u16_e32 vcc, s55, v0
	v_bfrev_b32_e32 v1, 1
	s_and_saveexec_b64 s[78:79], vcc
	s_cbranch_execz .LBB4_890
; %bb.885:                              ;   in Loop: Header=BB4_127 Depth=2
	v_and_b32_e32 v1, 0x7c, v0
	v_and_b32_e32 v40, 3, v0
	v_cmp_ne_u32_e32 vcc, s53, v1
                                        ; implicit-def: $vgpr1
	s_and_saveexec_b64 s[88:89], vcc
	s_xor_b64 s[88:89], exec, s[88:89]
	s_cbranch_execz .LBB4_887
; %bb.886:                              ;   in Loop: Header=BB4_127 Depth=2
	v_ffbh_u32_e32 v27, v40
	v_min_u32_e32 v27, 32, v27
	v_mov_b32_e32 v1, v35
	v_subrev_u32_e32 v41, 29, v27
	v_bfe_u32 v26, v0, 2, 5
	v_lshlrev_b64 v[0:1], v41, v[0:1]
	v_sub_u32_e32 v1, 30, v27
	v_cmp_eq_u32_e32 vcc, 0, v26
	v_cndmask_b32_e32 v1, v26, v1, vcc
	v_lshlrev_b32_e32 v26, 16, v34
	v_and_b32_e32 v0, 3, v0
	v_and_b32_e32 v26, 0x80000000, v26
	v_cndmask_b32_e32 v0, v40, v0, vcc
	v_lshl_add_u32 v1, v1, 23, v26
	v_lshl_or_b32 v0, v0, 21, v1
	v_add_u32_e32 v1, 0x38000000, v0
                                        ; implicit-def: $vgpr40
.LBB4_887:                              ;   in Loop: Header=BB4_127 Depth=2
	s_andn2_saveexec_b64 s[88:89], s[88:89]
; %bb.888:                              ;   in Loop: Header=BB4_127 Depth=2
	v_cmp_lt_i16_e32 vcc, -1, v34
	v_cndmask_b32_e32 v0, v5, v36, vcc
	v_cmp_eq_u32_e32 vcc, 0, v40
	v_cndmask_b32_e32 v1, v37, v0, vcc
; %bb.889:                              ;   in Loop: Header=BB4_127 Depth=2
	s_or_b64 exec, exec, s[88:89]
.LBB4_890:                              ;   in Loop: Header=BB4_127 Depth=2
	s_or_b64 exec, exec, s[78:79]
.LBB4_891:                              ;   in Loop: Header=BB4_127 Depth=2
	s_or_b64 exec, exec, s[20:21]
	v_lshrrev_b16_e32 v34, 8, v11
	v_cmp_ne_u16_e32 vcc, 0, v34
	s_and_saveexec_b64 s[20:21], vcc
	s_cbranch_execz .LBB4_899
; %bb.892:                              ;   in Loop: Header=BB4_127 Depth=2
	v_cmp_ne_u16_e32 vcc, s55, v34
	v_bfrev_b32_e32 v2, 1
	s_and_saveexec_b64 s[78:79], vcc
	s_cbranch_execz .LBB4_898
; %bb.893:                              ;   in Loop: Header=BB4_127 Depth=2
	v_and_b32_e32 v2, 0x7c, v34
	v_and_b32_e32 v0, 3, v34
	v_cmp_ne_u32_e32 vcc, s53, v2
                                        ; implicit-def: $vgpr2
	s_and_saveexec_b64 s[88:89], vcc
	s_xor_b64 s[88:89], exec, s[88:89]
	s_cbranch_execz .LBB4_895
; %bb.894:                              ;   in Loop: Header=BB4_127 Depth=2
	v_ffbh_u32_e32 v26, v0
	v_min_u32_e32 v26, 32, v26
	v_bfe_u32 v2, v34, 2, 5
	v_subrev_u32_e32 v27, 29, v26
	v_lshlrev_b64 v[40:41], v27, v[34:35]
	v_sub_u32_e32 v26, 30, v26
	v_cmp_eq_u32_e32 vcc, 0, v2
	v_cndmask_b32_e32 v2, v2, v26, vcc
	v_lshlrev_b32_e32 v26, 16, v11
	v_and_b32_e32 v27, 3, v40
	v_and_b32_e32 v26, 0x80000000, v26
	v_cndmask_b32_e32 v0, v0, v27, vcc
	v_lshl_add_u32 v2, v2, 23, v26
	v_lshl_or_b32 v0, v0, 21, v2
	v_add_u32_e32 v2, 0x38000000, v0
                                        ; implicit-def: $vgpr0
.LBB4_895:                              ;   in Loop: Header=BB4_127 Depth=2
	s_andn2_saveexec_b64 s[88:89], s[88:89]
; %bb.896:                              ;   in Loop: Header=BB4_127 Depth=2
	v_cmp_lt_i16_e32 vcc, -1, v11
	v_cndmask_b32_e32 v2, v5, v36, vcc
	v_cmp_eq_u32_e32 vcc, 0, v0
	v_cndmask_b32_e32 v2, v37, v2, vcc
; %bb.897:                              ;   in Loop: Header=BB4_127 Depth=2
	s_or_b64 exec, exec, s[88:89]
.LBB4_898:                              ;   in Loop: Header=BB4_127 Depth=2
	s_or_b64 exec, exec, s[78:79]
.LBB4_899:                              ;   in Loop: Header=BB4_127 Depth=2
	s_or_b64 exec, exec, s[20:21]
	v_mul_f32_e32 v0, v1, v2
	v_and_b32_e32 v1, 0x7f800000, v0
	v_mov_b32_e32 v2, v35
	v_cmp_ne_u64_e32 vcc, s[60:61], v[1:2]
	v_and_b32_e32 v34, 0x7fffff, v0
                                        ; implicit-def: $vgpr40
	s_and_saveexec_b64 s[20:21], vcc
	s_xor_b64 s[78:79], exec, s[20:21]
	s_cbranch_execz .LBB4_913
; %bb.900:                              ;   in Loop: Header=BB4_127 Depth=2
	v_and_b32_e32 v1, 0x7fffffff, v0
	v_mov_b32_e32 v2, v35
	v_cmp_gt_u64_e32 vcc, s[62:63], v[1:2]
	v_and_b32_sdwa v41, v0, s55 dst_sel:DWORD dst_unused:UNUSED_PAD src0_sel:BYTE_3 src1_sel:DWORD
                                        ; implicit-def: $vgpr40
	s_and_saveexec_b64 s[20:21], vcc
	s_xor_b64 s[88:89], exec, s[20:21]
	s_cbranch_execz .LBB4_910
; %bb.901:                              ;   in Loop: Header=BB4_127 Depth=2
	v_mov_b32_e32 v40, 0
	v_cmp_ne_u32_e32 vcc, 0, v0
	s_and_saveexec_b64 s[90:91], vcc
	s_cbranch_execz .LBB4_909
; %bb.902:                              ;   in Loop: Header=BB4_127 Depth=2
	v_bfe_u32 v40, v0, 23, 8
	v_cmp_gt_u32_e64 s[20:21], s64, v40
	v_sub_u32_e32 v0, 0x71, v40
	v_cmp_eq_u32_e32 vcc, 0, v40
	v_cndmask_b32_e64 v0, 0, v0, s[20:21]
	v_mov_b32_e32 v2, 0x70
	v_cndmask_b32_e32 v42, v0, v2, vcc
	v_or_b32_e32 v1, 0x800000, v34
	v_add_u32_e32 v0, 21, v42
	v_cndmask_b32_e32 v34, v1, v34, vcc
	v_lshlrev_b64 v[0:1], v0, -1
	v_add_u32_e32 v2, 20, v42
	v_lshlrev_b64 v[43:44], v2, 1
	v_bfi_b32 v1, v1, 0, 0
	v_bfi_b32 v0, v0, 0, v34
	v_cmp_eq_u64_e64 s[20:21], v[0:1], v[43:44]
	v_lshrrev_b64 v[0:1], v42, v[34:35]
	v_mov_b32_e32 v2, v1
	v_mov_b32_e32 v1, v0
	s_and_saveexec_b64 s[92:93], s[20:21]
; %bb.903:                              ;   in Loop: Header=BB4_127 Depth=2
	v_bfe_u32 v1, v0, 21, 1
	v_add_co_u32_e64 v1, s[20:21], v0, v1
	v_add_co_u32_e64 v1, s[20:21], -1, v1
; %bb.904:                              ;   in Loop: Header=BB4_127 Depth=2
	s_or_b64 exec, exec, s[92:93]
	v_add_u32_e32 v2, 0xffffff81, v40
	v_mov_b32_e32 v26, 0xffffff82
	v_cndmask_b32_e32 v2, v2, v26, vcc
	v_lshrrev_b32_e32 v26, 23, v0
	v_add3_u32 v42, v42, v2, v26
	v_add_u32_e32 v40, 14, v42
	v_and_b32_e32 v1, 0x1fffff, v1
	v_add_u32_e32 v34, v1, v0
	v_cmp_ne_u32_e32 vcc, 0, v40
                                        ; implicit-def: $vgpr0_vgpr1
                                        ; implicit-def: $vgpr2
	s_and_saveexec_b64 s[20:21], vcc
	s_xor_b64 s[20:21], exec, s[20:21]
; %bb.905:                              ;   in Loop: Header=BB4_127 Depth=2
	v_cmp_lt_u64_e32 vcc, s[72:73], v[34:35]
	v_add_u32_e32 v0, 15, v42
	v_cndmask_b32_e32 v2, v40, v0, vcc
	v_cndmask_b32_e64 v0, 0, 1, vcc
	v_lshrrev_b64 v[0:1], v0, v[34:35]
; %bb.906:                              ;   in Loop: Header=BB4_127 Depth=2
	s_andn2_saveexec_b64 s[20:21], s[20:21]
; %bb.907:                              ;   in Loop: Header=BB4_127 Depth=2
	v_mov_b32_e32 v0, v34
	v_bfe_u32 v2, v34, 23, 1
	v_mov_b32_e32 v1, v35
; %bb.908:                              ;   in Loop: Header=BB4_127 Depth=2
	s_or_b64 exec, exec, s[20:21]
	v_lshrrev_b64 v[0:1], 21, v[0:1]
	v_cmp_gt_i32_e32 vcc, 32, v2
	v_cndmask_b32_e32 v1, 0, v1, vcc
	v_cndmask_b32_e32 v0, 3, v0, vcc
	v_cmp_eq_u64_e64 s[20:21], 0, v[0:1]
	v_min_i32_e32 v1, 31, v2
	v_lshlrev_b32_e32 v1, 2, v1
	v_cmp_eq_u32_e32 vcc, 0, v2
	v_and_b32_e32 v1, 0xfc, v1
	v_and_or_b32 v0, v0, 3, v1
	s_and_b64 s[20:21], vcc, s[20:21]
	v_cndmask_b32_e64 v0, v0, 0, s[20:21]
	v_or_b32_e32 v40, v0, v41
.LBB4_909:                              ;   in Loop: Header=BB4_127 Depth=2
	s_or_b64 exec, exec, s[90:91]
                                        ; implicit-def: $vgpr41
.LBB4_910:                              ;   in Loop: Header=BB4_127 Depth=2
	s_andn2_saveexec_b64 s[20:21], s[88:89]
; %bb.911:                              ;   in Loop: Header=BB4_127 Depth=2
	v_or_b32_e32 v40, 0x7b, v41
; %bb.912:                              ;   in Loop: Header=BB4_127 Depth=2
	s_or_b64 exec, exec, s[20:21]
                                        ; implicit-def: $vgpr0
.LBB4_913:                              ;   in Loop: Header=BB4_127 Depth=2
	s_andn2_saveexec_b64 s[20:21], s[78:79]
	s_cbranch_execz .LBB4_919
; %bb.914:                              ;   in Loop: Header=BB4_127 Depth=2
	v_cmp_ne_u64_e32 vcc, 0, v[34:35]
                                        ; implicit-def: $vgpr40
	s_and_saveexec_b64 s[78:79], vcc
	s_xor_b64 s[78:79], exec, s[78:79]
; %bb.915:                              ;   in Loop: Header=BB4_127 Depth=2
	v_or_b32_sdwa v40, v0, s65 dst_sel:DWORD dst_unused:UNUSED_PAD src0_sel:BYTE_3 src1_sel:DWORD
                                        ; implicit-def: $vgpr0
; %bb.916:                              ;   in Loop: Header=BB4_127 Depth=2
	s_andn2_saveexec_b64 s[78:79], s[78:79]
; %bb.917:                              ;   in Loop: Header=BB4_127 Depth=2
	v_cmp_lt_i32_e32 vcc, -1, v0
	v_bfrev_b32_e32 v0, 0.5
	v_mov_b32_e32 v1, 0x7c
	v_cndmask_b32_e32 v40, v0, v1, vcc
; %bb.918:                              ;   in Loop: Header=BB4_127 Depth=2
	s_or_b64 exec, exec, s[78:79]
.LBB4_919:                              ;   in Loop: Header=BB4_127 Depth=2
	s_or_b64 exec, exec, s[20:21]
	v_lshrrev_b32_e32 v0, 16, v15
	v_cmp_ne_u16_sdwa s[78:79], v0, v35 src0_sel:BYTE_0 src1_sel:DWORD
	v_mov_b32_e32 v1, 0
	v_mov_b32_e32 v2, 0
	s_and_saveexec_b64 s[20:21], s[78:79]
	s_cbranch_execz .LBB4_927
; %bb.920:                              ;   in Loop: Header=BB4_127 Depth=2
	v_cmp_ne_u16_sdwa s[88:89], v0, s55 src0_sel:BYTE_0 src1_sel:DWORD
	v_bfrev_b32_e32 v2, 1
	s_and_saveexec_b64 s[78:79], s[88:89]
	s_cbranch_execz .LBB4_926
; %bb.921:                              ;   in Loop: Header=BB4_127 Depth=2
	v_and_b32_e32 v2, 0x7c0000, v15
	v_bfe_u32 v34, v15, 16, 2
	v_cmp_ne_u32_e32 vcc, s66, v2
                                        ; implicit-def: $vgpr2
	s_and_saveexec_b64 s[88:89], vcc
	s_xor_b64 s[88:89], exec, s[88:89]
	s_cbranch_execz .LBB4_923
; %bb.922:                              ;   in Loop: Header=BB4_127 Depth=2
	v_ffbh_u32_e32 v26, v34
	v_min_u32_e32 v26, 32, v26
	v_subrev_u32_e32 v27, 29, v26
	v_lshlrev_b64 v[41:42], v27, v[0:1]
	v_bfe_u32 v2, v15, 18, 5
	v_sub_u32_e32 v0, 30, v26
	v_and_b32_e32 v26, 3, v41
	v_cmp_eq_u32_e32 vcc, 0, v2
	v_cndmask_b32_e32 v0, v2, v0, vcc
	v_cndmask_b32_e32 v2, v34, v26, vcc
	v_lshlrev_b32_e32 v26, 8, v15
	v_and_b32_e32 v26, 0x80000000, v26
	v_lshl_add_u32 v0, v0, 23, v26
	v_lshl_or_b32 v0, v2, 21, v0
	v_add_u32_e32 v2, 0x38000000, v0
                                        ; implicit-def: $vgpr34
                                        ; implicit-def: $vgpr0
.LBB4_923:                              ;   in Loop: Header=BB4_127 Depth=2
	s_andn2_saveexec_b64 s[88:89], s[88:89]
; %bb.924:                              ;   in Loop: Header=BB4_127 Depth=2
	v_mov_b32_e32 v2, -1
	v_cmp_gt_i16_sdwa vcc, sext(v0), v2 src0_sel:BYTE_0 src1_sel:DWORD
	v_cndmask_b32_e32 v0, v5, v36, vcc
	v_cmp_eq_u32_e32 vcc, 0, v34
	v_cndmask_b32_e32 v2, v37, v0, vcc
; %bb.925:                              ;   in Loop: Header=BB4_127 Depth=2
	s_or_b64 exec, exec, s[88:89]
.LBB4_926:                              ;   in Loop: Header=BB4_127 Depth=2
	s_or_b64 exec, exec, s[78:79]
.LBB4_927:                              ;   in Loop: Header=BB4_127 Depth=2
	s_or_b64 exec, exec, s[20:21]
	v_lshrrev_b32_e32 v0, 16, v11
	v_cmp_ne_u16_sdwa s[78:79], v0, v35 src0_sel:BYTE_0 src1_sel:DWORD
	s_and_saveexec_b64 s[20:21], s[78:79]
	s_cbranch_execz .LBB4_935
; %bb.928:                              ;   in Loop: Header=BB4_127 Depth=2
	v_cmp_ne_u16_sdwa s[88:89], v0, s55 src0_sel:BYTE_0 src1_sel:DWORD
	v_bfrev_b32_e32 v1, 1
	s_and_saveexec_b64 s[78:79], s[88:89]
	s_cbranch_execz .LBB4_934
; %bb.929:                              ;   in Loop: Header=BB4_127 Depth=2
	v_and_b32_e32 v1, 0x7c0000, v11
	v_bfe_u32 v34, v11, 16, 2
	v_cmp_ne_u32_e32 vcc, s66, v1
                                        ; implicit-def: $vgpr1
	s_and_saveexec_b64 s[88:89], vcc
	s_xor_b64 s[88:89], exec, s[88:89]
	s_cbranch_execz .LBB4_931
; %bb.930:                              ;   in Loop: Header=BB4_127 Depth=2
	v_ffbh_u32_e32 v1, v34
	v_min_u32_e32 v27, 32, v1
	v_subrev_u32_e32 v1, 29, v27
	v_bfe_u32 v26, v11, 18, 5
	v_lshlrev_b64 v[0:1], v1, v[0:1]
	v_sub_u32_e32 v1, 30, v27
	v_cmp_eq_u32_e32 vcc, 0, v26
	v_cndmask_b32_e32 v1, v26, v1, vcc
	v_lshlrev_b32_e32 v26, 8, v11
	v_and_b32_e32 v0, 3, v0
	v_and_b32_e32 v26, 0x80000000, v26
	v_cndmask_b32_e32 v0, v34, v0, vcc
	v_lshl_add_u32 v1, v1, 23, v26
	v_lshl_or_b32 v0, v0, 21, v1
	v_add_u32_e32 v1, 0x38000000, v0
                                        ; implicit-def: $vgpr34
                                        ; implicit-def: $vgpr0
.LBB4_931:                              ;   in Loop: Header=BB4_127 Depth=2
	s_andn2_saveexec_b64 s[88:89], s[88:89]
; %bb.932:                              ;   in Loop: Header=BB4_127 Depth=2
	v_mov_b32_e32 v1, -1
	v_cmp_gt_i16_sdwa vcc, sext(v0), v1 src0_sel:BYTE_0 src1_sel:DWORD
	v_cndmask_b32_e32 v0, v5, v36, vcc
	v_cmp_eq_u32_e32 vcc, 0, v34
	v_cndmask_b32_e32 v1, v37, v0, vcc
; %bb.933:                              ;   in Loop: Header=BB4_127 Depth=2
	s_or_b64 exec, exec, s[88:89]
.LBB4_934:                              ;   in Loop: Header=BB4_127 Depth=2
	s_or_b64 exec, exec, s[78:79]
.LBB4_935:                              ;   in Loop: Header=BB4_127 Depth=2
	s_or_b64 exec, exec, s[20:21]
	v_mul_f32_e32 v0, v2, v1
	v_and_b32_e32 v1, 0x7f800000, v0
	v_mov_b32_e32 v2, v35
	v_cmp_ne_u64_e32 vcc, s[60:61], v[1:2]
	v_and_b32_e32 v34, 0x7fffff, v0
                                        ; implicit-def: $vgpr41
	s_and_saveexec_b64 s[20:21], vcc
	s_xor_b64 s[78:79], exec, s[20:21]
	s_cbranch_execz .LBB4_949
; %bb.936:                              ;   in Loop: Header=BB4_127 Depth=2
	v_and_b32_e32 v1, 0x7fffffff, v0
	v_mov_b32_e32 v2, v35
	v_cmp_gt_u64_e32 vcc, s[62:63], v[1:2]
	v_and_b32_sdwa v42, v0, s55 dst_sel:DWORD dst_unused:UNUSED_PAD src0_sel:BYTE_3 src1_sel:DWORD
                                        ; implicit-def: $vgpr41
	s_and_saveexec_b64 s[20:21], vcc
	s_xor_b64 s[88:89], exec, s[20:21]
	s_cbranch_execz .LBB4_946
; %bb.937:                              ;   in Loop: Header=BB4_127 Depth=2
	v_mov_b32_e32 v41, 0
	v_cmp_ne_u32_e32 vcc, 0, v0
	s_and_saveexec_b64 s[90:91], vcc
	s_cbranch_execz .LBB4_945
; %bb.938:                              ;   in Loop: Header=BB4_127 Depth=2
	v_bfe_u32 v41, v0, 23, 8
	v_cmp_gt_u32_e64 s[20:21], s64, v41
	v_sub_u32_e32 v0, 0x71, v41
	v_cmp_eq_u32_e32 vcc, 0, v41
	v_cndmask_b32_e64 v0, 0, v0, s[20:21]
	v_mov_b32_e32 v2, 0x70
	v_cndmask_b32_e32 v43, v0, v2, vcc
	v_or_b32_e32 v1, 0x800000, v34
	v_add_u32_e32 v0, 21, v43
	v_cndmask_b32_e32 v34, v1, v34, vcc
	v_lshlrev_b64 v[0:1], v0, -1
	v_add_u32_e32 v2, 20, v43
	v_mov_b32_e32 v27, v45
	v_lshlrev_b64 v[44:45], v2, 1
	v_bfi_b32 v1, v1, 0, 0
	v_bfi_b32 v0, v0, 0, v34
	v_cmp_eq_u64_e64 s[20:21], v[0:1], v[44:45]
	v_lshrrev_b64 v[0:1], v43, v[34:35]
	v_mov_b32_e32 v2, v1
	v_mov_b32_e32 v1, v0
	s_and_saveexec_b64 s[92:93], s[20:21]
; %bb.939:                              ;   in Loop: Header=BB4_127 Depth=2
	v_bfe_u32 v1, v0, 21, 1
	v_add_co_u32_e64 v1, s[20:21], v0, v1
	v_add_co_u32_e64 v1, s[20:21], -1, v1
; %bb.940:                              ;   in Loop: Header=BB4_127 Depth=2
	s_or_b64 exec, exec, s[92:93]
	v_add_u32_e32 v2, 0xffffff81, v41
	v_mov_b32_e32 v26, 0xffffff82
	v_cndmask_b32_e32 v2, v2, v26, vcc
	v_lshrrev_b32_e32 v26, 23, v0
	v_add3_u32 v43, v43, v2, v26
	v_add_u32_e32 v41, 14, v43
	v_and_b32_e32 v1, 0x1fffff, v1
	v_add_u32_e32 v34, v1, v0
	v_cmp_ne_u32_e32 vcc, 0, v41
                                        ; implicit-def: $vgpr0_vgpr1
                                        ; implicit-def: $vgpr2
	s_and_saveexec_b64 s[20:21], vcc
	s_xor_b64 s[20:21], exec, s[20:21]
; %bb.941:                              ;   in Loop: Header=BB4_127 Depth=2
	v_cmp_lt_u64_e32 vcc, s[72:73], v[34:35]
	v_add_u32_e32 v0, 15, v43
	v_cndmask_b32_e32 v2, v41, v0, vcc
	v_cndmask_b32_e64 v0, 0, 1, vcc
	v_lshrrev_b64 v[0:1], v0, v[34:35]
; %bb.942:                              ;   in Loop: Header=BB4_127 Depth=2
	s_or_saveexec_b64 s[20:21], s[20:21]
	v_mov_b32_e32 v45, v27
	s_xor_b64 exec, exec, s[20:21]
; %bb.943:                              ;   in Loop: Header=BB4_127 Depth=2
	v_mov_b32_e32 v0, v34
	v_bfe_u32 v2, v34, 23, 1
	v_mov_b32_e32 v1, v35
; %bb.944:                              ;   in Loop: Header=BB4_127 Depth=2
	s_or_b64 exec, exec, s[20:21]
	v_lshrrev_b64 v[0:1], 21, v[0:1]
	v_cmp_gt_i32_e32 vcc, 32, v2
	v_cndmask_b32_e32 v1, 0, v1, vcc
	v_cndmask_b32_e32 v0, 3, v0, vcc
	v_cmp_eq_u64_e64 s[20:21], 0, v[0:1]
	v_min_i32_e32 v1, 31, v2
	v_lshlrev_b32_e32 v1, 2, v1
	v_cmp_eq_u32_e32 vcc, 0, v2
	v_and_b32_e32 v1, 0xfc, v1
	v_and_or_b32 v0, v0, 3, v1
	s_and_b64 s[20:21], vcc, s[20:21]
	v_cndmask_b32_e64 v0, v0, 0, s[20:21]
	v_or_b32_e32 v41, v0, v42
.LBB4_945:                              ;   in Loop: Header=BB4_127 Depth=2
	s_or_b64 exec, exec, s[90:91]
                                        ; implicit-def: $vgpr42
.LBB4_946:                              ;   in Loop: Header=BB4_127 Depth=2
	s_andn2_saveexec_b64 s[20:21], s[88:89]
; %bb.947:                              ;   in Loop: Header=BB4_127 Depth=2
	v_or_b32_e32 v41, 0x7b, v42
; %bb.948:                              ;   in Loop: Header=BB4_127 Depth=2
	s_or_b64 exec, exec, s[20:21]
                                        ; implicit-def: $vgpr0
.LBB4_949:                              ;   in Loop: Header=BB4_127 Depth=2
	s_andn2_saveexec_b64 s[20:21], s[78:79]
	s_cbranch_execz .LBB4_955
; %bb.950:                              ;   in Loop: Header=BB4_127 Depth=2
	v_cmp_ne_u64_e32 vcc, 0, v[34:35]
                                        ; implicit-def: $vgpr41
	s_and_saveexec_b64 s[78:79], vcc
	s_xor_b64 s[78:79], exec, s[78:79]
; %bb.951:                              ;   in Loop: Header=BB4_127 Depth=2
	v_or_b32_sdwa v41, v0, s65 dst_sel:DWORD dst_unused:UNUSED_PAD src0_sel:BYTE_3 src1_sel:DWORD
                                        ; implicit-def: $vgpr0
; %bb.952:                              ;   in Loop: Header=BB4_127 Depth=2
	s_andn2_saveexec_b64 s[78:79], s[78:79]
; %bb.953:                              ;   in Loop: Header=BB4_127 Depth=2
	v_cmp_lt_i32_e32 vcc, -1, v0
	v_bfrev_b32_e32 v0, 0.5
	v_mov_b32_e32 v1, 0x7c
	v_cndmask_b32_e32 v41, v0, v1, vcc
; %bb.954:                              ;   in Loop: Header=BB4_127 Depth=2
	s_or_b64 exec, exec, s[78:79]
.LBB4_955:                              ;   in Loop: Header=BB4_127 Depth=2
	s_or_b64 exec, exec, s[20:21]
	v_cmp_lt_u64_e32 vcc, s[58:59], v[14:15]
	v_mov_b32_e32 v1, 0
	v_mov_b32_e32 v2, 0
	s_and_saveexec_b64 s[20:21], vcc
	s_cbranch_execz .LBB4_963
; %bb.956:                              ;   in Loop: Header=BB4_127 Depth=2
	v_lshrrev_b32_e32 v0, 24, v15
	v_cmp_ne_u32_e32 vcc, s55, v0
	v_bfrev_b32_e32 v2, 1
	s_and_saveexec_b64 s[78:79], vcc
	s_cbranch_execz .LBB4_962
; %bb.957:                              ;   in Loop: Header=BB4_127 Depth=2
	v_and_b32_e32 v2, 0x7c000000, v15
	v_bfe_u32 v34, v15, 24, 2
	v_cmp_ne_u32_e32 vcc, s67, v2
                                        ; implicit-def: $vgpr2
	s_and_saveexec_b64 s[88:89], vcc
	s_xor_b64 s[88:89], exec, s[88:89]
	s_cbranch_execz .LBB4_959
; %bb.958:                              ;   in Loop: Header=BB4_127 Depth=2
	v_ffbh_u32_e32 v26, v34
	v_min_u32_e32 v26, 32, v26
	v_subrev_u32_e32 v27, 29, v26
	v_lshlrev_b64 v[42:43], v27, v[0:1]
	v_bfe_u32 v2, v15, 26, 5
	v_sub_u32_e32 v0, 30, v26
	v_and_b32_e32 v26, 3, v42
	v_cmp_eq_u32_e32 vcc, 0, v2
	v_cndmask_b32_e32 v0, v2, v0, vcc
	v_cndmask_b32_e32 v2, v34, v26, vcc
	v_and_b32_e32 v26, 0x80000000, v15
	v_lshl_add_u32 v0, v0, 23, v26
	v_lshl_or_b32 v0, v2, 21, v0
	v_add_u32_e32 v2, 0x38000000, v0
                                        ; implicit-def: $vgpr34
.LBB4_959:                              ;   in Loop: Header=BB4_127 Depth=2
	s_andn2_saveexec_b64 s[88:89], s[88:89]
; %bb.960:                              ;   in Loop: Header=BB4_127 Depth=2
	v_cmp_lt_i64_e32 vcc, -1, v[14:15]
	v_cndmask_b32_e32 v0, v5, v36, vcc
	v_cmp_eq_u32_e32 vcc, 0, v34
	v_cndmask_b32_e32 v2, v37, v0, vcc
; %bb.961:                              ;   in Loop: Header=BB4_127 Depth=2
	s_or_b64 exec, exec, s[88:89]
.LBB4_962:                              ;   in Loop: Header=BB4_127 Depth=2
	s_or_b64 exec, exec, s[78:79]
.LBB4_963:                              ;   in Loop: Header=BB4_127 Depth=2
	s_or_b64 exec, exec, s[20:21]
	v_cmp_lt_u64_e32 vcc, s[58:59], v[10:11]
	s_and_saveexec_b64 s[20:21], vcc
	s_cbranch_execz .LBB4_971
; %bb.964:                              ;   in Loop: Header=BB4_127 Depth=2
	v_lshrrev_b32_e32 v0, 24, v11
	v_cmp_ne_u32_e32 vcc, s55, v0
	v_bfrev_b32_e32 v1, 1
	s_and_saveexec_b64 s[78:79], vcc
	s_cbranch_execz .LBB4_970
; %bb.965:                              ;   in Loop: Header=BB4_127 Depth=2
	v_and_b32_e32 v1, 0x7c000000, v11
	v_bfe_u32 v14, v11, 24, 2
	v_cmp_ne_u32_e32 vcc, s67, v1
                                        ; implicit-def: $vgpr1
	s_and_saveexec_b64 s[88:89], vcc
	s_xor_b64 s[88:89], exec, s[88:89]
	s_cbranch_execz .LBB4_967
; %bb.966:                              ;   in Loop: Header=BB4_127 Depth=2
	v_ffbh_u32_e32 v1, v14
	v_min_u32_e32 v26, 32, v1
	v_subrev_u32_e32 v1, 29, v26
	v_lshlrev_b64 v[0:1], v1, v[0:1]
	v_bfe_u32 v15, v11, 26, 5
	v_sub_u32_e32 v1, 30, v26
	v_and_b32_e32 v0, 3, v0
	v_cmp_eq_u32_e32 vcc, 0, v15
	v_cndmask_b32_e32 v1, v15, v1, vcc
	v_cndmask_b32_e32 v0, v14, v0, vcc
	v_and_b32_e32 v14, 0x80000000, v11
	v_lshl_add_u32 v1, v1, 23, v14
	v_lshl_or_b32 v0, v0, 21, v1
	v_add_u32_e32 v1, 0x38000000, v0
                                        ; implicit-def: $vgpr14
.LBB4_967:                              ;   in Loop: Header=BB4_127 Depth=2
	s_andn2_saveexec_b64 s[88:89], s[88:89]
; %bb.968:                              ;   in Loop: Header=BB4_127 Depth=2
	v_cmp_lt_i64_e32 vcc, -1, v[10:11]
	v_cndmask_b32_e32 v0, v5, v36, vcc
	v_cmp_eq_u32_e32 vcc, 0, v14
	v_cndmask_b32_e32 v1, v37, v0, vcc
; %bb.969:                              ;   in Loop: Header=BB4_127 Depth=2
	s_or_b64 exec, exec, s[88:89]
.LBB4_970:                              ;   in Loop: Header=BB4_127 Depth=2
	s_or_b64 exec, exec, s[78:79]
.LBB4_971:                              ;   in Loop: Header=BB4_127 Depth=2
	s_or_b64 exec, exec, s[20:21]
	v_mul_f32_e32 v0, v2, v1
	v_and_b32_e32 v1, 0x7f800000, v0
	v_mov_b32_e32 v2, v35
	v_cmp_ne_u64_e32 vcc, s[60:61], v[1:2]
	v_and_b32_e32 v34, 0x7fffff, v0
                                        ; implicit-def: $vgpr10
	s_and_saveexec_b64 s[20:21], vcc
	s_xor_b64 s[78:79], exec, s[20:21]
	s_cbranch_execz .LBB4_985
; %bb.972:                              ;   in Loop: Header=BB4_127 Depth=2
	v_and_b32_e32 v1, 0x7fffffff, v0
	v_mov_b32_e32 v2, v35
	v_cmp_gt_u64_e32 vcc, s[62:63], v[1:2]
	v_and_b32_sdwa v11, v0, s55 dst_sel:DWORD dst_unused:UNUSED_PAD src0_sel:BYTE_3 src1_sel:DWORD
                                        ; implicit-def: $vgpr10
	s_and_saveexec_b64 s[20:21], vcc
	s_xor_b64 s[88:89], exec, s[20:21]
	s_cbranch_execz .LBB4_982
; %bb.973:                              ;   in Loop: Header=BB4_127 Depth=2
	v_mov_b32_e32 v10, 0
	v_cmp_ne_u32_e32 vcc, 0, v0
	s_and_saveexec_b64 s[90:91], vcc
	s_cbranch_execz .LBB4_981
; %bb.974:                              ;   in Loop: Header=BB4_127 Depth=2
	v_bfe_u32 v10, v0, 23, 8
	v_cmp_gt_u32_e64 s[20:21], s64, v10
	v_sub_u32_e32 v0, 0x71, v10
	v_cmp_eq_u32_e32 vcc, 0, v10
	v_cndmask_b32_e64 v0, 0, v0, s[20:21]
	v_mov_b32_e32 v2, 0x70
	v_cndmask_b32_e32 v14, v0, v2, vcc
	v_or_b32_e32 v1, 0x800000, v34
	v_add_u32_e32 v0, 21, v14
	v_cndmask_b32_e32 v34, v1, v34, vcc
	v_lshlrev_b64 v[0:1], v0, -1
	v_add_u32_e32 v2, 20, v14
	v_lshlrev_b64 v[42:43], v2, 1
	v_bfi_b32 v1, v1, 0, 0
	v_bfi_b32 v0, v0, 0, v34
	v_cmp_eq_u64_e64 s[20:21], v[0:1], v[42:43]
	v_lshrrev_b64 v[0:1], v14, v[34:35]
	v_mov_b32_e32 v2, v1
	v_mov_b32_e32 v1, v0
	s_and_saveexec_b64 s[92:93], s[20:21]
; %bb.975:                              ;   in Loop: Header=BB4_127 Depth=2
	v_bfe_u32 v1, v0, 21, 1
	v_add_co_u32_e64 v1, s[20:21], v0, v1
	v_add_co_u32_e64 v1, s[20:21], -1, v1
; %bb.976:                              ;   in Loop: Header=BB4_127 Depth=2
	s_or_b64 exec, exec, s[92:93]
	v_add_u32_e32 v2, 0xffffff81, v10
	v_mov_b32_e32 v10, 0xffffff82
	v_cndmask_b32_e32 v2, v2, v10, vcc
	v_lshrrev_b32_e32 v10, 23, v0
	v_add3_u32 v14, v14, v2, v10
	v_add_u32_e32 v10, 14, v14
	v_and_b32_e32 v1, 0x1fffff, v1
	v_add_u32_e32 v34, v1, v0
	v_cmp_ne_u32_e32 vcc, 0, v10
                                        ; implicit-def: $vgpr0_vgpr1
                                        ; implicit-def: $vgpr2
	s_and_saveexec_b64 s[20:21], vcc
	s_xor_b64 s[20:21], exec, s[20:21]
; %bb.977:                              ;   in Loop: Header=BB4_127 Depth=2
	v_cmp_lt_u64_e32 vcc, s[72:73], v[34:35]
	v_add_u32_e32 v0, 15, v14
	v_cndmask_b32_e32 v2, v10, v0, vcc
	v_cndmask_b32_e64 v0, 0, 1, vcc
	v_lshrrev_b64 v[0:1], v0, v[34:35]
; %bb.978:                              ;   in Loop: Header=BB4_127 Depth=2
	s_andn2_saveexec_b64 s[20:21], s[20:21]
; %bb.979:                              ;   in Loop: Header=BB4_127 Depth=2
	v_mov_b32_e32 v0, v34
	v_bfe_u32 v2, v34, 23, 1
	v_mov_b32_e32 v1, v35
; %bb.980:                              ;   in Loop: Header=BB4_127 Depth=2
	s_or_b64 exec, exec, s[20:21]
	v_lshrrev_b64 v[0:1], 21, v[0:1]
	v_cmp_gt_i32_e32 vcc, 32, v2
	v_cndmask_b32_e32 v1, 0, v1, vcc
	v_cndmask_b32_e32 v0, 3, v0, vcc
	v_cmp_eq_u64_e64 s[20:21], 0, v[0:1]
	v_min_i32_e32 v1, 31, v2
	v_lshlrev_b32_e32 v1, 2, v1
	v_cmp_eq_u32_e32 vcc, 0, v2
	v_and_b32_e32 v1, 0xfc, v1
	v_and_or_b32 v0, v0, 3, v1
	s_and_b64 s[20:21], vcc, s[20:21]
	v_cndmask_b32_e64 v0, v0, 0, s[20:21]
	v_or_b32_e32 v10, v0, v11
.LBB4_981:                              ;   in Loop: Header=BB4_127 Depth=2
	s_or_b64 exec, exec, s[90:91]
                                        ; implicit-def: $vgpr11
.LBB4_982:                              ;   in Loop: Header=BB4_127 Depth=2
	s_andn2_saveexec_b64 s[20:21], s[88:89]
; %bb.983:                              ;   in Loop: Header=BB4_127 Depth=2
	v_or_b32_e32 v10, 0x7b, v11
; %bb.984:                              ;   in Loop: Header=BB4_127 Depth=2
	s_or_b64 exec, exec, s[20:21]
                                        ; implicit-def: $vgpr0
.LBB4_985:                              ;   in Loop: Header=BB4_127 Depth=2
	s_andn2_saveexec_b64 s[20:21], s[78:79]
	s_cbranch_execz .LBB4_991
; %bb.986:                              ;   in Loop: Header=BB4_127 Depth=2
	v_cmp_ne_u64_e32 vcc, 0, v[34:35]
                                        ; implicit-def: $vgpr10
	s_and_saveexec_b64 s[78:79], vcc
	s_xor_b64 s[78:79], exec, s[78:79]
; %bb.987:                              ;   in Loop: Header=BB4_127 Depth=2
	v_or_b32_sdwa v10, v0, s65 dst_sel:DWORD dst_unused:UNUSED_PAD src0_sel:BYTE_3 src1_sel:DWORD
                                        ; implicit-def: $vgpr0
; %bb.988:                              ;   in Loop: Header=BB4_127 Depth=2
	s_andn2_saveexec_b64 s[78:79], s[78:79]
; %bb.989:                              ;   in Loop: Header=BB4_127 Depth=2
	v_cmp_lt_i32_e32 vcc, -1, v0
	v_bfrev_b32_e32 v0, 0.5
	v_mov_b32_e32 v1, 0x7c
	v_cndmask_b32_e32 v10, v0, v1, vcc
; %bb.990:                              ;   in Loop: Header=BB4_127 Depth=2
	s_or_b64 exec, exec, s[78:79]
.LBB4_991:                              ;   in Loop: Header=BB4_127 Depth=2
	s_or_b64 exec, exec, s[20:21]
	v_cmp_ne_u16_sdwa s[78:79], v16, v35 src0_sel:BYTE_0 src1_sel:DWORD
	v_mov_b32_e32 v0, 0
	v_mov_b32_e32 v1, 0
	s_and_saveexec_b64 s[20:21], s[78:79]
	s_cbranch_execz .LBB4_999
; %bb.992:                              ;   in Loop: Header=BB4_127 Depth=2
	v_cmp_ne_u16_sdwa s[88:89], sext(v16), s52 src0_sel:BYTE_0 src1_sel:DWORD
	v_bfrev_b32_e32 v1, 1
	s_and_saveexec_b64 s[78:79], s[88:89]
	s_cbranch_execz .LBB4_998
; %bb.993:                              ;   in Loop: Header=BB4_127 Depth=2
	v_and_b32_e32 v1, 0x7c, v16
	v_and_b32_e32 v2, 3, v16
	v_cmp_ne_u32_e32 vcc, s53, v1
                                        ; implicit-def: $vgpr1
	s_and_saveexec_b64 s[88:89], vcc
	s_xor_b64 s[88:89], exec, s[88:89]
	s_cbranch_execz .LBB4_995
; %bb.994:                              ;   in Loop: Header=BB4_127 Depth=2
	v_ffbh_u32_e32 v11, v2
	v_min_u32_e32 v11, 32, v11
	v_bfe_u32 v1, v16, 2, 5
	v_subrev_u32_e32 v14, 29, v11
	v_lshlrev_b64 v[14:15], v14, v[16:17]
	v_sub_u32_e32 v11, 30, v11
	v_cmp_eq_u32_e32 vcc, 0, v1
	v_cndmask_b32_e32 v1, v1, v11, vcc
	v_lshlrev_b32_e32 v11, 24, v16
	v_and_b32_e32 v14, 3, v14
	v_and_b32_e32 v11, 0x80000000, v11
	v_cndmask_b32_e32 v2, v2, v14, vcc
	v_lshl_add_u32 v1, v1, 23, v11
	v_lshl_or_b32 v1, v2, 21, v1
	v_add_u32_e32 v1, 0x38000000, v1
                                        ; implicit-def: $vgpr2
.LBB4_995:                              ;   in Loop: Header=BB4_127 Depth=2
	s_andn2_saveexec_b64 s[88:89], s[88:89]
; %bb.996:                              ;   in Loop: Header=BB4_127 Depth=2
	v_mov_b32_e32 v1, -1
	v_cmp_gt_i16_sdwa vcc, sext(v16), v1 src0_sel:BYTE_0 src1_sel:DWORD
	v_cndmask_b32_e32 v1, v5, v36, vcc
	v_cmp_eq_u32_e32 vcc, 0, v2
	v_cndmask_b32_e32 v1, v37, v1, vcc
; %bb.997:                              ;   in Loop: Header=BB4_127 Depth=2
	s_or_b64 exec, exec, s[88:89]
.LBB4_998:                              ;   in Loop: Header=BB4_127 Depth=2
	s_or_b64 exec, exec, s[78:79]
.LBB4_999:                              ;   in Loop: Header=BB4_127 Depth=2
	s_or_b64 exec, exec, s[20:21]
	v_cmp_ne_u16_sdwa s[78:79], v12, v35 src0_sel:BYTE_0 src1_sel:DWORD
	s_and_saveexec_b64 s[20:21], s[78:79]
	s_cbranch_execz .LBB4_1007
; %bb.1000:                             ;   in Loop: Header=BB4_127 Depth=2
	v_cmp_ne_u16_sdwa s[88:89], sext(v12), s52 src0_sel:BYTE_0 src1_sel:DWORD
	v_bfrev_b32_e32 v0, 1
	s_and_saveexec_b64 s[78:79], s[88:89]
	s_cbranch_execz .LBB4_1006
; %bb.1001:                             ;   in Loop: Header=BB4_127 Depth=2
	v_and_b32_e32 v0, 0x7c, v12
	v_and_b32_e32 v2, 3, v12
	v_cmp_ne_u32_e32 vcc, s53, v0
                                        ; implicit-def: $vgpr0
	s_and_saveexec_b64 s[88:89], vcc
	s_xor_b64 s[88:89], exec, s[88:89]
	s_cbranch_execz .LBB4_1003
; %bb.1002:                             ;   in Loop: Header=BB4_127 Depth=2
	v_ffbh_u32_e32 v11, v2
	v_min_u32_e32 v11, 32, v11
	v_bfe_u32 v0, v12, 2, 5
	v_subrev_u32_e32 v14, 29, v11
	v_lshlrev_b64 v[14:15], v14, v[12:13]
	v_sub_u32_e32 v11, 30, v11
	v_cmp_eq_u32_e32 vcc, 0, v0
	v_cndmask_b32_e32 v0, v0, v11, vcc
	v_lshlrev_b32_e32 v11, 24, v12
	v_and_b32_e32 v14, 3, v14
	v_and_b32_e32 v11, 0x80000000, v11
	v_cndmask_b32_e32 v2, v2, v14, vcc
	v_lshl_add_u32 v0, v0, 23, v11
	v_lshl_or_b32 v0, v2, 21, v0
	v_add_u32_e32 v0, 0x38000000, v0
                                        ; implicit-def: $vgpr2
.LBB4_1003:                             ;   in Loop: Header=BB4_127 Depth=2
	s_andn2_saveexec_b64 s[88:89], s[88:89]
; %bb.1004:                             ;   in Loop: Header=BB4_127 Depth=2
	v_mov_b32_e32 v0, -1
	v_cmp_gt_i16_sdwa vcc, sext(v12), v0 src0_sel:BYTE_0 src1_sel:DWORD
	v_cndmask_b32_e32 v0, v5, v36, vcc
	v_cmp_eq_u32_e32 vcc, 0, v2
	v_cndmask_b32_e32 v0, v37, v0, vcc
; %bb.1005:                             ;   in Loop: Header=BB4_127 Depth=2
	s_or_b64 exec, exec, s[88:89]
.LBB4_1006:                             ;   in Loop: Header=BB4_127 Depth=2
	s_or_b64 exec, exec, s[78:79]
.LBB4_1007:                             ;   in Loop: Header=BB4_127 Depth=2
	s_or_b64 exec, exec, s[20:21]
	v_mul_f32_e32 v0, v1, v0
	v_and_b32_e32 v1, 0x7f800000, v0
	v_mov_b32_e32 v2, v35
	v_cmp_ne_u64_e32 vcc, s[60:61], v[1:2]
	v_and_b32_e32 v34, 0x7fffff, v0
                                        ; implicit-def: $vgpr11
	s_and_saveexec_b64 s[20:21], vcc
	s_xor_b64 s[78:79], exec, s[20:21]
	s_cbranch_execz .LBB4_1021
; %bb.1008:                             ;   in Loop: Header=BB4_127 Depth=2
	v_and_b32_e32 v1, 0x7fffffff, v0
	v_mov_b32_e32 v2, v35
	v_cmp_gt_u64_e32 vcc, s[62:63], v[1:2]
	v_and_b32_sdwa v14, v0, s55 dst_sel:DWORD dst_unused:UNUSED_PAD src0_sel:BYTE_3 src1_sel:DWORD
                                        ; implicit-def: $vgpr11
	s_and_saveexec_b64 s[20:21], vcc
	s_xor_b64 s[88:89], exec, s[20:21]
	s_cbranch_execz .LBB4_1018
; %bb.1009:                             ;   in Loop: Header=BB4_127 Depth=2
	v_mov_b32_e32 v11, 0
	v_cmp_ne_u32_e32 vcc, 0, v0
	s_and_saveexec_b64 s[90:91], vcc
	s_cbranch_execz .LBB4_1017
; %bb.1010:                             ;   in Loop: Header=BB4_127 Depth=2
	v_bfe_u32 v11, v0, 23, 8
	v_cmp_gt_u32_e64 s[20:21], s64, v11
	v_sub_u32_e32 v0, 0x71, v11
	v_cmp_eq_u32_e32 vcc, 0, v11
	v_cndmask_b32_e64 v0, 0, v0, s[20:21]
	v_mov_b32_e32 v2, 0x70
	v_cndmask_b32_e32 v15, v0, v2, vcc
	v_or_b32_e32 v1, 0x800000, v34
	v_add_u32_e32 v0, 21, v15
	v_cndmask_b32_e32 v34, v1, v34, vcc
	v_lshlrev_b64 v[0:1], v0, -1
	v_add_u32_e32 v2, 20, v15
	v_lshlrev_b64 v[42:43], v2, 1
	v_bfi_b32 v1, v1, 0, 0
	v_bfi_b32 v0, v0, 0, v34
	v_cmp_eq_u64_e64 s[20:21], v[0:1], v[42:43]
	v_lshrrev_b64 v[0:1], v15, v[34:35]
	v_mov_b32_e32 v2, v1
	v_mov_b32_e32 v1, v0
	s_and_saveexec_b64 s[92:93], s[20:21]
; %bb.1011:                             ;   in Loop: Header=BB4_127 Depth=2
	v_bfe_u32 v1, v0, 21, 1
	v_add_co_u32_e64 v1, s[20:21], v0, v1
	v_add_co_u32_e64 v1, s[20:21], -1, v1
; %bb.1012:                             ;   in Loop: Header=BB4_127 Depth=2
	s_or_b64 exec, exec, s[92:93]
	v_add_u32_e32 v2, 0xffffff81, v11
	v_mov_b32_e32 v11, 0xffffff82
	v_cndmask_b32_e32 v2, v2, v11, vcc
	v_lshrrev_b32_e32 v11, 23, v0
	v_add3_u32 v15, v15, v2, v11
	v_add_u32_e32 v11, 14, v15
	v_and_b32_e32 v1, 0x1fffff, v1
	v_add_u32_e32 v34, v1, v0
	v_cmp_ne_u32_e32 vcc, 0, v11
                                        ; implicit-def: $vgpr0_vgpr1
                                        ; implicit-def: $vgpr2
	s_and_saveexec_b64 s[20:21], vcc
	s_xor_b64 s[20:21], exec, s[20:21]
; %bb.1013:                             ;   in Loop: Header=BB4_127 Depth=2
	v_cmp_lt_u64_e32 vcc, s[72:73], v[34:35]
	v_add_u32_e32 v0, 15, v15
	v_cndmask_b32_e32 v2, v11, v0, vcc
	v_cndmask_b32_e64 v0, 0, 1, vcc
	v_lshrrev_b64 v[0:1], v0, v[34:35]
; %bb.1014:                             ;   in Loop: Header=BB4_127 Depth=2
	s_andn2_saveexec_b64 s[20:21], s[20:21]
; %bb.1015:                             ;   in Loop: Header=BB4_127 Depth=2
	v_mov_b32_e32 v0, v34
	v_bfe_u32 v2, v34, 23, 1
	v_mov_b32_e32 v1, v35
; %bb.1016:                             ;   in Loop: Header=BB4_127 Depth=2
	s_or_b64 exec, exec, s[20:21]
	v_lshrrev_b64 v[0:1], 21, v[0:1]
	v_cmp_gt_i32_e32 vcc, 32, v2
	v_cndmask_b32_e32 v1, 0, v1, vcc
	v_cndmask_b32_e32 v0, 3, v0, vcc
	v_cmp_eq_u64_e64 s[20:21], 0, v[0:1]
	v_min_i32_e32 v1, 31, v2
	v_lshlrev_b32_e32 v1, 2, v1
	v_cmp_eq_u32_e32 vcc, 0, v2
	v_and_b32_e32 v1, 0xfc, v1
	v_and_or_b32 v0, v0, 3, v1
	s_and_b64 s[20:21], vcc, s[20:21]
	v_cndmask_b32_e64 v0, v0, 0, s[20:21]
	v_or_b32_e32 v11, v0, v14
.LBB4_1017:                             ;   in Loop: Header=BB4_127 Depth=2
	s_or_b64 exec, exec, s[90:91]
                                        ; implicit-def: $vgpr14
.LBB4_1018:                             ;   in Loop: Header=BB4_127 Depth=2
	s_andn2_saveexec_b64 s[20:21], s[88:89]
; %bb.1019:                             ;   in Loop: Header=BB4_127 Depth=2
	v_or_b32_e32 v11, 0x7b, v14
; %bb.1020:                             ;   in Loop: Header=BB4_127 Depth=2
	s_or_b64 exec, exec, s[20:21]
                                        ; implicit-def: $vgpr0
.LBB4_1021:                             ;   in Loop: Header=BB4_127 Depth=2
	s_andn2_saveexec_b64 s[20:21], s[78:79]
	s_cbranch_execz .LBB4_1027
; %bb.1022:                             ;   in Loop: Header=BB4_127 Depth=2
	v_cmp_ne_u64_e32 vcc, 0, v[34:35]
                                        ; implicit-def: $vgpr11
	s_and_saveexec_b64 s[78:79], vcc
	s_xor_b64 s[78:79], exec, s[78:79]
; %bb.1023:                             ;   in Loop: Header=BB4_127 Depth=2
	v_or_b32_sdwa v11, v0, s65 dst_sel:DWORD dst_unused:UNUSED_PAD src0_sel:BYTE_3 src1_sel:DWORD
                                        ; implicit-def: $vgpr0
; %bb.1024:                             ;   in Loop: Header=BB4_127 Depth=2
	s_andn2_saveexec_b64 s[78:79], s[78:79]
; %bb.1025:                             ;   in Loop: Header=BB4_127 Depth=2
	v_cmp_lt_i32_e32 vcc, -1, v0
	v_bfrev_b32_e32 v0, 0.5
	v_mov_b32_e32 v1, 0x7c
	v_cndmask_b32_e32 v11, v0, v1, vcc
; %bb.1026:                             ;   in Loop: Header=BB4_127 Depth=2
	s_or_b64 exec, exec, s[78:79]
.LBB4_1027:                             ;   in Loop: Header=BB4_127 Depth=2
	s_or_b64 exec, exec, s[20:21]
	v_lshrrev_b16_e32 v34, 8, v16
	v_cmp_ne_u16_e32 vcc, 0, v34
	v_mov_b32_e32 v0, 0
	v_mov_b32_e32 v1, 0
	s_and_saveexec_b64 s[20:21], vcc
	s_cbranch_execz .LBB4_1035
; %bb.1028:                             ;   in Loop: Header=BB4_127 Depth=2
	v_cmp_ne_u16_e32 vcc, s55, v34
	v_bfrev_b32_e32 v1, 1
	s_and_saveexec_b64 s[78:79], vcc
	s_cbranch_execz .LBB4_1034
; %bb.1029:                             ;   in Loop: Header=BB4_127 Depth=2
	v_and_b32_e32 v1, 0x7c, v34
	v_and_b32_e32 v2, 3, v34
	v_cmp_ne_u32_e32 vcc, s53, v1
                                        ; implicit-def: $vgpr1
	s_and_saveexec_b64 s[88:89], vcc
	s_xor_b64 s[88:89], exec, s[88:89]
	s_cbranch_execz .LBB4_1031
; %bb.1030:                             ;   in Loop: Header=BB4_127 Depth=2
	v_ffbh_u32_e32 v14, v2
	v_min_u32_e32 v26, 32, v14
	v_subrev_u32_e32 v14, 29, v26
	v_lshlrev_b64 v[14:15], v14, v[34:35]
	v_bfe_u32 v1, v34, 2, 5
	v_and_b32_e32 v14, 3, v14
	v_cmp_eq_u32_e32 vcc, 0, v1
	v_sub_u32_e32 v15, 30, v26
	v_cndmask_b32_e32 v2, v2, v14, vcc
	v_lshlrev_b32_e32 v14, 16, v16
	v_cndmask_b32_e32 v1, v1, v15, vcc
	v_and_b32_e32 v14, 0x80000000, v14
	v_lshl_add_u32 v1, v1, 23, v14
	v_lshl_or_b32 v1, v2, 21, v1
	v_add_u32_e32 v1, 0x38000000, v1
                                        ; implicit-def: $vgpr2
.LBB4_1031:                             ;   in Loop: Header=BB4_127 Depth=2
	s_andn2_saveexec_b64 s[88:89], s[88:89]
; %bb.1032:                             ;   in Loop: Header=BB4_127 Depth=2
	v_cmp_lt_i16_e32 vcc, -1, v16
	v_cndmask_b32_e32 v1, v5, v36, vcc
	v_cmp_eq_u32_e32 vcc, 0, v2
	v_cndmask_b32_e32 v1, v37, v1, vcc
; %bb.1033:                             ;   in Loop: Header=BB4_127 Depth=2
	s_or_b64 exec, exec, s[88:89]
.LBB4_1034:                             ;   in Loop: Header=BB4_127 Depth=2
	s_or_b64 exec, exec, s[78:79]
.LBB4_1035:                             ;   in Loop: Header=BB4_127 Depth=2
	s_or_b64 exec, exec, s[20:21]
	v_lshrrev_b16_e32 v34, 8, v12
	v_cmp_ne_u16_e32 vcc, 0, v34
	s_and_saveexec_b64 s[20:21], vcc
	s_cbranch_execz .LBB4_1043
; %bb.1036:                             ;   in Loop: Header=BB4_127 Depth=2
	v_cmp_ne_u16_e32 vcc, s55, v34
	v_bfrev_b32_e32 v0, 1
	s_and_saveexec_b64 s[78:79], vcc
	s_cbranch_execz .LBB4_1042
; %bb.1037:                             ;   in Loop: Header=BB4_127 Depth=2
	v_and_b32_e32 v0, 0x7c, v34
	v_and_b32_e32 v2, 3, v34
	v_cmp_ne_u32_e32 vcc, s53, v0
                                        ; implicit-def: $vgpr0
	s_and_saveexec_b64 s[88:89], vcc
	s_xor_b64 s[88:89], exec, s[88:89]
	s_cbranch_execz .LBB4_1039
; %bb.1038:                             ;   in Loop: Header=BB4_127 Depth=2
	v_ffbh_u32_e32 v14, v2
	v_min_u32_e32 v26, 32, v14
	v_subrev_u32_e32 v14, 29, v26
	v_lshlrev_b64 v[14:15], v14, v[34:35]
	v_bfe_u32 v0, v34, 2, 5
	v_and_b32_e32 v14, 3, v14
	v_cmp_eq_u32_e32 vcc, 0, v0
	v_sub_u32_e32 v15, 30, v26
	v_cndmask_b32_e32 v2, v2, v14, vcc
	v_lshlrev_b32_e32 v14, 16, v12
	v_cndmask_b32_e32 v0, v0, v15, vcc
	v_and_b32_e32 v14, 0x80000000, v14
	v_lshl_add_u32 v0, v0, 23, v14
	v_lshl_or_b32 v0, v2, 21, v0
	v_add_u32_e32 v0, 0x38000000, v0
                                        ; implicit-def: $vgpr2
.LBB4_1039:                             ;   in Loop: Header=BB4_127 Depth=2
	s_andn2_saveexec_b64 s[88:89], s[88:89]
; %bb.1040:                             ;   in Loop: Header=BB4_127 Depth=2
	v_cmp_lt_i16_e32 vcc, -1, v12
	v_cndmask_b32_e32 v0, v5, v36, vcc
	v_cmp_eq_u32_e32 vcc, 0, v2
	v_cndmask_b32_e32 v0, v37, v0, vcc
; %bb.1041:                             ;   in Loop: Header=BB4_127 Depth=2
	s_or_b64 exec, exec, s[88:89]
.LBB4_1042:                             ;   in Loop: Header=BB4_127 Depth=2
	s_or_b64 exec, exec, s[78:79]
.LBB4_1043:                             ;   in Loop: Header=BB4_127 Depth=2
	s_or_b64 exec, exec, s[20:21]
	v_mul_f32_e32 v0, v1, v0
	v_and_b32_e32 v1, 0x7f800000, v0
	v_mov_b32_e32 v2, v35
	v_cmp_ne_u64_e32 vcc, s[60:61], v[1:2]
	v_and_b32_e32 v34, 0x7fffff, v0
                                        ; implicit-def: $vgpr14
	s_and_saveexec_b64 s[20:21], vcc
	s_xor_b64 s[78:79], exec, s[20:21]
	s_cbranch_execz .LBB4_1057
; %bb.1044:                             ;   in Loop: Header=BB4_127 Depth=2
	v_and_b32_e32 v1, 0x7fffffff, v0
	v_mov_b32_e32 v2, v35
	v_cmp_gt_u64_e32 vcc, s[62:63], v[1:2]
	v_and_b32_sdwa v15, v0, s55 dst_sel:DWORD dst_unused:UNUSED_PAD src0_sel:BYTE_3 src1_sel:DWORD
                                        ; implicit-def: $vgpr14
	s_and_saveexec_b64 s[20:21], vcc
	s_xor_b64 s[88:89], exec, s[20:21]
	s_cbranch_execz .LBB4_1054
; %bb.1045:                             ;   in Loop: Header=BB4_127 Depth=2
	v_mov_b32_e32 v14, 0
	v_cmp_ne_u32_e32 vcc, 0, v0
	s_and_saveexec_b64 s[90:91], vcc
	s_cbranch_execz .LBB4_1053
; %bb.1046:                             ;   in Loop: Header=BB4_127 Depth=2
	v_bfe_u32 v14, v0, 23, 8
	v_cmp_gt_u32_e64 s[20:21], s64, v14
	v_sub_u32_e32 v0, 0x71, v14
	v_cmp_eq_u32_e32 vcc, 0, v14
	v_cndmask_b32_e64 v0, 0, v0, s[20:21]
	v_mov_b32_e32 v2, 0x70
	v_cndmask_b32_e32 v42, v0, v2, vcc
	v_or_b32_e32 v1, 0x800000, v34
	v_add_u32_e32 v0, 21, v42
	v_cndmask_b32_e32 v34, v1, v34, vcc
	v_lshlrev_b64 v[0:1], v0, -1
	v_add_u32_e32 v2, 20, v42
	v_lshlrev_b64 v[43:44], v2, 1
	v_bfi_b32 v1, v1, 0, 0
	v_bfi_b32 v0, v0, 0, v34
	v_cmp_eq_u64_e64 s[20:21], v[0:1], v[43:44]
	v_lshrrev_b64 v[0:1], v42, v[34:35]
	v_mov_b32_e32 v2, v1
	v_mov_b32_e32 v1, v0
	s_and_saveexec_b64 s[92:93], s[20:21]
; %bb.1047:                             ;   in Loop: Header=BB4_127 Depth=2
	v_bfe_u32 v1, v0, 21, 1
	v_add_co_u32_e64 v1, s[20:21], v0, v1
	v_add_co_u32_e64 v1, s[20:21], -1, v1
; %bb.1048:                             ;   in Loop: Header=BB4_127 Depth=2
	s_or_b64 exec, exec, s[92:93]
	v_add_u32_e32 v2, 0xffffff81, v14
	v_mov_b32_e32 v14, 0xffffff82
	v_cndmask_b32_e32 v2, v2, v14, vcc
	v_lshrrev_b32_e32 v14, 23, v0
	v_add3_u32 v42, v42, v2, v14
	v_add_u32_e32 v14, 14, v42
	v_and_b32_e32 v1, 0x1fffff, v1
	v_add_u32_e32 v34, v1, v0
	v_cmp_ne_u32_e32 vcc, 0, v14
                                        ; implicit-def: $vgpr0_vgpr1
                                        ; implicit-def: $vgpr2
	s_and_saveexec_b64 s[20:21], vcc
	s_xor_b64 s[20:21], exec, s[20:21]
; %bb.1049:                             ;   in Loop: Header=BB4_127 Depth=2
	v_cmp_lt_u64_e32 vcc, s[72:73], v[34:35]
	v_add_u32_e32 v0, 15, v42
	v_cndmask_b32_e32 v2, v14, v0, vcc
	v_cndmask_b32_e64 v0, 0, 1, vcc
	v_lshrrev_b64 v[0:1], v0, v[34:35]
; %bb.1050:                             ;   in Loop: Header=BB4_127 Depth=2
	s_andn2_saveexec_b64 s[20:21], s[20:21]
; %bb.1051:                             ;   in Loop: Header=BB4_127 Depth=2
	v_mov_b32_e32 v0, v34
	v_bfe_u32 v2, v34, 23, 1
	v_mov_b32_e32 v1, v35
; %bb.1052:                             ;   in Loop: Header=BB4_127 Depth=2
	s_or_b64 exec, exec, s[20:21]
	v_lshrrev_b64 v[0:1], 21, v[0:1]
	v_cmp_gt_i32_e32 vcc, 32, v2
	v_cndmask_b32_e32 v1, 0, v1, vcc
	v_cndmask_b32_e32 v0, 3, v0, vcc
	v_cmp_eq_u64_e64 s[20:21], 0, v[0:1]
	v_min_i32_e32 v1, 31, v2
	v_lshlrev_b32_e32 v1, 2, v1
	v_cmp_eq_u32_e32 vcc, 0, v2
	v_and_b32_e32 v1, 0xfc, v1
	v_and_or_b32 v0, v0, 3, v1
	s_and_b64 s[20:21], vcc, s[20:21]
	v_cndmask_b32_e64 v0, v0, 0, s[20:21]
	v_or_b32_e32 v14, v0, v15
.LBB4_1053:                             ;   in Loop: Header=BB4_127 Depth=2
	s_or_b64 exec, exec, s[90:91]
                                        ; implicit-def: $vgpr15
.LBB4_1054:                             ;   in Loop: Header=BB4_127 Depth=2
	s_andn2_saveexec_b64 s[20:21], s[88:89]
; %bb.1055:                             ;   in Loop: Header=BB4_127 Depth=2
	v_or_b32_e32 v14, 0x7b, v15
; %bb.1056:                             ;   in Loop: Header=BB4_127 Depth=2
	s_or_b64 exec, exec, s[20:21]
                                        ; implicit-def: $vgpr0
.LBB4_1057:                             ;   in Loop: Header=BB4_127 Depth=2
	s_andn2_saveexec_b64 s[20:21], s[78:79]
	s_cbranch_execz .LBB4_1063
; %bb.1058:                             ;   in Loop: Header=BB4_127 Depth=2
	v_cmp_ne_u64_e32 vcc, 0, v[34:35]
                                        ; implicit-def: $vgpr14
	s_and_saveexec_b64 s[78:79], vcc
	s_xor_b64 s[78:79], exec, s[78:79]
; %bb.1059:                             ;   in Loop: Header=BB4_127 Depth=2
	v_or_b32_sdwa v14, v0, s65 dst_sel:DWORD dst_unused:UNUSED_PAD src0_sel:BYTE_3 src1_sel:DWORD
                                        ; implicit-def: $vgpr0
; %bb.1060:                             ;   in Loop: Header=BB4_127 Depth=2
	s_andn2_saveexec_b64 s[78:79], s[78:79]
; %bb.1061:                             ;   in Loop: Header=BB4_127 Depth=2
	v_cmp_lt_i32_e32 vcc, -1, v0
	v_bfrev_b32_e32 v0, 0.5
	v_mov_b32_e32 v1, 0x7c
	v_cndmask_b32_e32 v14, v0, v1, vcc
; %bb.1062:                             ;   in Loop: Header=BB4_127 Depth=2
	s_or_b64 exec, exec, s[78:79]
.LBB4_1063:                             ;   in Loop: Header=BB4_127 Depth=2
	s_or_b64 exec, exec, s[20:21]
	v_lshrrev_b32_e32 v0, 16, v16
	v_cmp_ne_u16_sdwa s[78:79], v0, v35 src0_sel:BYTE_0 src1_sel:DWORD
	v_mov_b32_e32 v1, 0
	v_mov_b32_e32 v2, 0
	s_and_saveexec_b64 s[20:21], s[78:79]
	s_cbranch_execz .LBB4_1071
; %bb.1064:                             ;   in Loop: Header=BB4_127 Depth=2
	v_cmp_ne_u16_sdwa s[88:89], v0, s55 src0_sel:BYTE_0 src1_sel:DWORD
	v_bfrev_b32_e32 v2, 1
	s_and_saveexec_b64 s[78:79], s[88:89]
	s_cbranch_execz .LBB4_1070
; %bb.1065:                             ;   in Loop: Header=BB4_127 Depth=2
	v_and_b32_e32 v2, 0x7c0000, v16
	v_bfe_u32 v15, v16, 16, 2
	v_cmp_ne_u32_e32 vcc, s66, v2
                                        ; implicit-def: $vgpr2
	s_and_saveexec_b64 s[88:89], vcc
	s_xor_b64 s[88:89], exec, s[88:89]
	s_cbranch_execz .LBB4_1067
; %bb.1066:                             ;   in Loop: Header=BB4_127 Depth=2
	v_ffbh_u32_e32 v26, v15
	v_min_u32_e32 v26, 32, v26
	v_subrev_u32_e32 v27, 29, v26
	v_lshlrev_b64 v[42:43], v27, v[0:1]
	v_bfe_u32 v2, v16, 18, 5
	v_sub_u32_e32 v0, 30, v26
	v_and_b32_e32 v26, 3, v42
	v_cmp_eq_u32_e32 vcc, 0, v2
	v_cndmask_b32_e32 v0, v2, v0, vcc
	v_cndmask_b32_e32 v2, v15, v26, vcc
	v_lshlrev_b32_e32 v15, 8, v16
	v_and_b32_e32 v15, 0x80000000, v15
	v_lshl_add_u32 v0, v0, 23, v15
	v_lshl_or_b32 v0, v2, 21, v0
	v_add_u32_e32 v2, 0x38000000, v0
                                        ; implicit-def: $vgpr15
                                        ; implicit-def: $vgpr0
.LBB4_1067:                             ;   in Loop: Header=BB4_127 Depth=2
	s_andn2_saveexec_b64 s[88:89], s[88:89]
; %bb.1068:                             ;   in Loop: Header=BB4_127 Depth=2
	v_mov_b32_e32 v2, -1
	v_cmp_gt_i16_sdwa vcc, sext(v0), v2 src0_sel:BYTE_0 src1_sel:DWORD
	v_cndmask_b32_e32 v0, v5, v36, vcc
	v_cmp_eq_u32_e32 vcc, 0, v15
	v_cndmask_b32_e32 v2, v37, v0, vcc
; %bb.1069:                             ;   in Loop: Header=BB4_127 Depth=2
	s_or_b64 exec, exec, s[88:89]
.LBB4_1070:                             ;   in Loop: Header=BB4_127 Depth=2
	s_or_b64 exec, exec, s[78:79]
.LBB4_1071:                             ;   in Loop: Header=BB4_127 Depth=2
	s_or_b64 exec, exec, s[20:21]
	v_lshrrev_b32_e32 v0, 16, v12
	v_cmp_ne_u16_sdwa s[78:79], v0, v35 src0_sel:BYTE_0 src1_sel:DWORD
	s_and_saveexec_b64 s[20:21], s[78:79]
	s_cbranch_execz .LBB4_1079
; %bb.1072:                             ;   in Loop: Header=BB4_127 Depth=2
	v_cmp_ne_u16_sdwa s[88:89], v0, s55 src0_sel:BYTE_0 src1_sel:DWORD
	v_bfrev_b32_e32 v1, 1
	s_and_saveexec_b64 s[78:79], s[88:89]
	s_cbranch_execz .LBB4_1078
; %bb.1073:                             ;   in Loop: Header=BB4_127 Depth=2
	v_and_b32_e32 v1, 0x7c0000, v12
	v_bfe_u32 v15, v12, 16, 2
	v_cmp_ne_u32_e32 vcc, s66, v1
                                        ; implicit-def: $vgpr1
	s_and_saveexec_b64 s[88:89], vcc
	s_xor_b64 s[88:89], exec, s[88:89]
	s_cbranch_execz .LBB4_1075
; %bb.1074:                             ;   in Loop: Header=BB4_127 Depth=2
	v_ffbh_u32_e32 v1, v15
	v_min_u32_e32 v27, 32, v1
	v_subrev_u32_e32 v1, 29, v27
	v_lshlrev_b64 v[0:1], v1, v[0:1]
	v_bfe_u32 v26, v12, 18, 5
	v_and_b32_e32 v0, 3, v0
	v_cmp_eq_u32_e32 vcc, 0, v26
	v_sub_u32_e32 v1, 30, v27
	v_cndmask_b32_e32 v0, v15, v0, vcc
	v_lshlrev_b32_e32 v15, 8, v12
	v_cndmask_b32_e32 v1, v26, v1, vcc
	v_and_b32_e32 v15, 0x80000000, v15
	v_lshl_add_u32 v1, v1, 23, v15
	v_lshl_or_b32 v0, v0, 21, v1
	v_add_u32_e32 v1, 0x38000000, v0
                                        ; implicit-def: $vgpr15
                                        ; implicit-def: $vgpr0
.LBB4_1075:                             ;   in Loop: Header=BB4_127 Depth=2
	s_andn2_saveexec_b64 s[88:89], s[88:89]
; %bb.1076:                             ;   in Loop: Header=BB4_127 Depth=2
	v_mov_b32_e32 v1, -1
	v_cmp_gt_i16_sdwa vcc, sext(v0), v1 src0_sel:BYTE_0 src1_sel:DWORD
	v_cndmask_b32_e32 v0, v5, v36, vcc
	v_cmp_eq_u32_e32 vcc, 0, v15
	v_cndmask_b32_e32 v1, v37, v0, vcc
; %bb.1077:                             ;   in Loop: Header=BB4_127 Depth=2
	s_or_b64 exec, exec, s[88:89]
.LBB4_1078:                             ;   in Loop: Header=BB4_127 Depth=2
	s_or_b64 exec, exec, s[78:79]
.LBB4_1079:                             ;   in Loop: Header=BB4_127 Depth=2
	s_or_b64 exec, exec, s[20:21]
	v_mul_f32_e32 v0, v2, v1
	v_and_b32_e32 v1, 0x7f800000, v0
	v_mov_b32_e32 v2, v35
	v_cmp_ne_u64_e32 vcc, s[60:61], v[1:2]
	v_and_b32_e32 v34, 0x7fffff, v0
                                        ; implicit-def: $vgpr15
	s_and_saveexec_b64 s[20:21], vcc
	s_xor_b64 s[78:79], exec, s[20:21]
	s_cbranch_execz .LBB4_1093
; %bb.1080:                             ;   in Loop: Header=BB4_127 Depth=2
	v_and_b32_e32 v1, 0x7fffffff, v0
	v_mov_b32_e32 v2, v35
	v_cmp_gt_u64_e32 vcc, s[62:63], v[1:2]
	v_and_b32_sdwa v42, v0, s55 dst_sel:DWORD dst_unused:UNUSED_PAD src0_sel:BYTE_3 src1_sel:DWORD
                                        ; implicit-def: $vgpr15
	s_and_saveexec_b64 s[20:21], vcc
	s_xor_b64 s[88:89], exec, s[20:21]
	s_cbranch_execz .LBB4_1090
; %bb.1081:                             ;   in Loop: Header=BB4_127 Depth=2
	v_mov_b32_e32 v15, 0
	v_cmp_ne_u32_e32 vcc, 0, v0
	s_and_saveexec_b64 s[90:91], vcc
	s_cbranch_execz .LBB4_1089
; %bb.1082:                             ;   in Loop: Header=BB4_127 Depth=2
	v_bfe_u32 v15, v0, 23, 8
	v_cmp_gt_u32_e64 s[20:21], s64, v15
	v_sub_u32_e32 v0, 0x71, v15
	v_cmp_eq_u32_e32 vcc, 0, v15
	v_cndmask_b32_e64 v0, 0, v0, s[20:21]
	v_mov_b32_e32 v2, 0x70
	v_cndmask_b32_e32 v43, v0, v2, vcc
	v_or_b32_e32 v1, 0x800000, v34
	v_add_u32_e32 v0, 21, v43
	v_cndmask_b32_e32 v34, v1, v34, vcc
	v_lshlrev_b64 v[0:1], v0, -1
	v_add_u32_e32 v2, 20, v43
	v_mov_b32_e32 v26, v45
	v_lshlrev_b64 v[44:45], v2, 1
	v_bfi_b32 v1, v1, 0, 0
	v_bfi_b32 v0, v0, 0, v34
	v_cmp_eq_u64_e64 s[20:21], v[0:1], v[44:45]
	v_lshrrev_b64 v[0:1], v43, v[34:35]
	v_mov_b32_e32 v2, v1
	v_mov_b32_e32 v1, v0
	s_and_saveexec_b64 s[92:93], s[20:21]
; %bb.1083:                             ;   in Loop: Header=BB4_127 Depth=2
	v_bfe_u32 v1, v0, 21, 1
	v_add_co_u32_e64 v1, s[20:21], v0, v1
	v_add_co_u32_e64 v1, s[20:21], -1, v1
; %bb.1084:                             ;   in Loop: Header=BB4_127 Depth=2
	s_or_b64 exec, exec, s[92:93]
	v_add_u32_e32 v2, 0xffffff81, v15
	v_mov_b32_e32 v15, 0xffffff82
	v_cndmask_b32_e32 v2, v2, v15, vcc
	v_lshrrev_b32_e32 v15, 23, v0
	v_add3_u32 v43, v43, v2, v15
	v_add_u32_e32 v15, 14, v43
	v_and_b32_e32 v1, 0x1fffff, v1
	v_add_u32_e32 v34, v1, v0
	v_cmp_ne_u32_e32 vcc, 0, v15
                                        ; implicit-def: $vgpr0_vgpr1
                                        ; implicit-def: $vgpr2
	s_and_saveexec_b64 s[20:21], vcc
	s_xor_b64 s[20:21], exec, s[20:21]
; %bb.1085:                             ;   in Loop: Header=BB4_127 Depth=2
	v_cmp_lt_u64_e32 vcc, s[72:73], v[34:35]
	v_add_u32_e32 v0, 15, v43
	v_cndmask_b32_e32 v2, v15, v0, vcc
	v_cndmask_b32_e64 v0, 0, 1, vcc
	v_lshrrev_b64 v[0:1], v0, v[34:35]
; %bb.1086:                             ;   in Loop: Header=BB4_127 Depth=2
	s_or_saveexec_b64 s[20:21], s[20:21]
	v_mov_b32_e32 v45, v26
	s_xor_b64 exec, exec, s[20:21]
; %bb.1087:                             ;   in Loop: Header=BB4_127 Depth=2
	v_mov_b32_e32 v0, v34
	v_bfe_u32 v2, v34, 23, 1
	v_mov_b32_e32 v1, v35
; %bb.1088:                             ;   in Loop: Header=BB4_127 Depth=2
	s_or_b64 exec, exec, s[20:21]
	v_lshrrev_b64 v[0:1], 21, v[0:1]
	v_cmp_gt_i32_e32 vcc, 32, v2
	v_cndmask_b32_e32 v1, 0, v1, vcc
	v_cndmask_b32_e32 v0, 3, v0, vcc
	v_cmp_eq_u64_e64 s[20:21], 0, v[0:1]
	v_min_i32_e32 v1, 31, v2
	v_lshlrev_b32_e32 v1, 2, v1
	v_cmp_eq_u32_e32 vcc, 0, v2
	v_and_b32_e32 v1, 0xfc, v1
	v_and_or_b32 v0, v0, 3, v1
	s_and_b64 s[20:21], vcc, s[20:21]
	v_cndmask_b32_e64 v0, v0, 0, s[20:21]
	v_or_b32_e32 v15, v0, v42
.LBB4_1089:                             ;   in Loop: Header=BB4_127 Depth=2
	s_or_b64 exec, exec, s[90:91]
                                        ; implicit-def: $vgpr42
.LBB4_1090:                             ;   in Loop: Header=BB4_127 Depth=2
	s_andn2_saveexec_b64 s[20:21], s[88:89]
; %bb.1091:                             ;   in Loop: Header=BB4_127 Depth=2
	v_or_b32_e32 v15, 0x7b, v42
; %bb.1092:                             ;   in Loop: Header=BB4_127 Depth=2
	s_or_b64 exec, exec, s[20:21]
                                        ; implicit-def: $vgpr0
.LBB4_1093:                             ;   in Loop: Header=BB4_127 Depth=2
	s_andn2_saveexec_b64 s[20:21], s[78:79]
	s_cbranch_execz .LBB4_1099
; %bb.1094:                             ;   in Loop: Header=BB4_127 Depth=2
	v_cmp_ne_u64_e32 vcc, 0, v[34:35]
                                        ; implicit-def: $vgpr15
	s_and_saveexec_b64 s[78:79], vcc
	s_xor_b64 s[78:79], exec, s[78:79]
; %bb.1095:                             ;   in Loop: Header=BB4_127 Depth=2
	v_or_b32_sdwa v15, v0, s65 dst_sel:DWORD dst_unused:UNUSED_PAD src0_sel:BYTE_3 src1_sel:DWORD
                                        ; implicit-def: $vgpr0
; %bb.1096:                             ;   in Loop: Header=BB4_127 Depth=2
	s_andn2_saveexec_b64 s[78:79], s[78:79]
; %bb.1097:                             ;   in Loop: Header=BB4_127 Depth=2
	v_cmp_lt_i32_e32 vcc, -1, v0
	v_bfrev_b32_e32 v0, 0.5
	v_mov_b32_e32 v1, 0x7c
	v_cndmask_b32_e32 v15, v0, v1, vcc
; %bb.1098:                             ;   in Loop: Header=BB4_127 Depth=2
	s_or_b64 exec, exec, s[78:79]
.LBB4_1099:                             ;   in Loop: Header=BB4_127 Depth=2
	s_or_b64 exec, exec, s[20:21]
	v_cmp_lt_u32_e32 vcc, s59, v16
	v_mov_b32_e32 v1, 0
	v_mov_b32_e32 v2, 0
	s_and_saveexec_b64 s[20:21], vcc
	s_cbranch_execz .LBB4_1107
; %bb.1100:                             ;   in Loop: Header=BB4_127 Depth=2
	v_lshrrev_b32_e32 v0, 24, v16
	v_cmp_ne_u32_e32 vcc, s55, v0
	v_bfrev_b32_e32 v2, 1
	s_and_saveexec_b64 s[78:79], vcc
	s_cbranch_execz .LBB4_1106
; %bb.1101:                             ;   in Loop: Header=BB4_127 Depth=2
	v_and_b32_e32 v2, 0x7c000000, v16
	v_bfe_u32 v34, v16, 24, 2
	v_cmp_ne_u32_e32 vcc, s67, v2
                                        ; implicit-def: $vgpr2
	s_and_saveexec_b64 s[88:89], vcc
	s_xor_b64 s[88:89], exec, s[88:89]
	s_cbranch_execz .LBB4_1103
; %bb.1102:                             ;   in Loop: Header=BB4_127 Depth=2
	v_ffbh_u32_e32 v26, v34
	v_min_u32_e32 v26, 32, v26
	v_subrev_u32_e32 v27, 29, v26
	v_lshlrev_b64 v[42:43], v27, v[0:1]
	v_bfe_u32 v2, v16, 26, 5
	v_sub_u32_e32 v0, 30, v26
	v_and_b32_e32 v26, 3, v42
	v_cmp_eq_u32_e32 vcc, 0, v2
	v_cndmask_b32_e32 v0, v2, v0, vcc
	v_cndmask_b32_e32 v2, v34, v26, vcc
	v_and_b32_e32 v26, 0x80000000, v16
	v_lshl_add_u32 v0, v0, 23, v26
	v_lshl_or_b32 v0, v2, 21, v0
	v_add_u32_e32 v2, 0x38000000, v0
                                        ; implicit-def: $vgpr34
.LBB4_1103:                             ;   in Loop: Header=BB4_127 Depth=2
	s_andn2_saveexec_b64 s[88:89], s[88:89]
; %bb.1104:                             ;   in Loop: Header=BB4_127 Depth=2
	v_cmp_lt_i32_e32 vcc, -1, v16
	v_cndmask_b32_e32 v0, v5, v36, vcc
	v_cmp_eq_u32_e32 vcc, 0, v34
	v_cndmask_b32_e32 v2, v37, v0, vcc
; %bb.1105:                             ;   in Loop: Header=BB4_127 Depth=2
	s_or_b64 exec, exec, s[88:89]
.LBB4_1106:                             ;   in Loop: Header=BB4_127 Depth=2
	s_or_b64 exec, exec, s[78:79]
.LBB4_1107:                             ;   in Loop: Header=BB4_127 Depth=2
	s_or_b64 exec, exec, s[20:21]
	v_cmp_lt_u32_e32 vcc, s59, v12
	s_and_saveexec_b64 s[20:21], vcc
	s_cbranch_execz .LBB4_1115
; %bb.1108:                             ;   in Loop: Header=BB4_127 Depth=2
	v_lshrrev_b32_e32 v0, 24, v12
	v_cmp_ne_u32_e32 vcc, s55, v0
	v_bfrev_b32_e32 v1, 1
	s_and_saveexec_b64 s[78:79], vcc
	s_cbranch_execz .LBB4_1114
; %bb.1109:                             ;   in Loop: Header=BB4_127 Depth=2
	v_and_b32_e32 v1, 0x7c000000, v12
	v_bfe_u32 v34, v12, 24, 2
	v_cmp_ne_u32_e32 vcc, s67, v1
                                        ; implicit-def: $vgpr1
	s_and_saveexec_b64 s[88:89], vcc
	s_xor_b64 s[88:89], exec, s[88:89]
	s_cbranch_execz .LBB4_1111
; %bb.1110:                             ;   in Loop: Header=BB4_127 Depth=2
	v_ffbh_u32_e32 v1, v34
	v_min_u32_e32 v27, 32, v1
	v_subrev_u32_e32 v1, 29, v27
	v_bfe_u32 v26, v12, 26, 5
	v_lshlrev_b64 v[0:1], v1, v[0:1]
	v_sub_u32_e32 v1, 30, v27
	v_cmp_eq_u32_e32 vcc, 0, v26
	v_and_b32_e32 v0, 3, v0
	v_cndmask_b32_e32 v1, v26, v1, vcc
	v_and_b32_e32 v26, 0x80000000, v12
	v_cndmask_b32_e32 v0, v34, v0, vcc
	v_lshl_add_u32 v1, v1, 23, v26
	v_lshl_or_b32 v0, v0, 21, v1
	v_add_u32_e32 v1, 0x38000000, v0
                                        ; implicit-def: $vgpr34
.LBB4_1111:                             ;   in Loop: Header=BB4_127 Depth=2
	s_andn2_saveexec_b64 s[88:89], s[88:89]
; %bb.1112:                             ;   in Loop: Header=BB4_127 Depth=2
	v_cmp_lt_i32_e32 vcc, -1, v12
	v_cndmask_b32_e32 v0, v5, v36, vcc
	v_cmp_eq_u32_e32 vcc, 0, v34
	v_cndmask_b32_e32 v1, v37, v0, vcc
; %bb.1113:                             ;   in Loop: Header=BB4_127 Depth=2
	s_or_b64 exec, exec, s[88:89]
.LBB4_1114:                             ;   in Loop: Header=BB4_127 Depth=2
	s_or_b64 exec, exec, s[78:79]
.LBB4_1115:                             ;   in Loop: Header=BB4_127 Depth=2
	s_or_b64 exec, exec, s[20:21]
	v_mul_f32_e32 v0, v2, v1
	v_and_b32_e32 v1, 0x7f800000, v0
	v_mov_b32_e32 v2, v35
	v_cmp_ne_u64_e32 vcc, s[60:61], v[1:2]
	v_and_b32_e32 v34, 0x7fffff, v0
                                        ; implicit-def: $vgpr60
	s_and_saveexec_b64 s[20:21], vcc
	s_xor_b64 s[78:79], exec, s[20:21]
	s_cbranch_execz .LBB4_1129
; %bb.1116:                             ;   in Loop: Header=BB4_127 Depth=2
	v_and_b32_e32 v1, 0x7fffffff, v0
	v_mov_b32_e32 v2, v35
	v_cmp_gt_u64_e32 vcc, s[62:63], v[1:2]
	v_and_b32_sdwa v42, v0, s55 dst_sel:DWORD dst_unused:UNUSED_PAD src0_sel:BYTE_3 src1_sel:DWORD
                                        ; implicit-def: $vgpr60
	s_and_saveexec_b64 s[20:21], vcc
	s_xor_b64 s[88:89], exec, s[20:21]
	s_cbranch_execz .LBB4_1126
; %bb.1117:                             ;   in Loop: Header=BB4_127 Depth=2
	v_mov_b32_e32 v60, 0
	v_cmp_ne_u32_e32 vcc, 0, v0
	s_and_saveexec_b64 s[90:91], vcc
	s_cbranch_execz .LBB4_1125
; %bb.1118:                             ;   in Loop: Header=BB4_127 Depth=2
	v_bfe_u32 v43, v0, 23, 8
	v_cmp_gt_u32_e64 s[20:21], s64, v43
	v_sub_u32_e32 v0, 0x71, v43
	v_cmp_eq_u32_e32 vcc, 0, v43
	v_cndmask_b32_e64 v0, 0, v0, s[20:21]
	v_mov_b32_e32 v2, 0x70
	v_cndmask_b32_e32 v60, v0, v2, vcc
	v_or_b32_e32 v1, 0x800000, v34
	v_add_u32_e32 v0, 21, v60
	v_cndmask_b32_e32 v34, v1, v34, vcc
	v_lshlrev_b64 v[0:1], v0, -1
	v_add_u32_e32 v2, 20, v60
	v_mov_b32_e32 v27, v45
	v_lshlrev_b64 v[44:45], v2, 1
	v_bfi_b32 v1, v1, 0, 0
	v_bfi_b32 v0, v0, 0, v34
	v_cmp_eq_u64_e64 s[20:21], v[0:1], v[44:45]
	v_lshrrev_b64 v[0:1], v60, v[34:35]
	v_mov_b32_e32 v2, v1
	v_mov_b32_e32 v1, v0
	s_and_saveexec_b64 s[92:93], s[20:21]
; %bb.1119:                             ;   in Loop: Header=BB4_127 Depth=2
	v_bfe_u32 v1, v0, 21, 1
	v_add_co_u32_e64 v1, s[20:21], v0, v1
	v_add_co_u32_e64 v1, s[20:21], -1, v1
; %bb.1120:                             ;   in Loop: Header=BB4_127 Depth=2
	s_or_b64 exec, exec, s[92:93]
	v_add_u32_e32 v2, 0xffffff81, v43
	v_mov_b32_e32 v26, 0xffffff82
	v_cndmask_b32_e32 v2, v2, v26, vcc
	v_lshrrev_b32_e32 v26, 23, v0
	v_add3_u32 v44, v60, v2, v26
	v_add_u32_e32 v43, 14, v44
	v_and_b32_e32 v1, 0x1fffff, v1
	v_add_u32_e32 v34, v1, v0
	v_cmp_ne_u32_e32 vcc, 0, v43
                                        ; implicit-def: $vgpr0_vgpr1
                                        ; implicit-def: $vgpr2
	s_and_saveexec_b64 s[20:21], vcc
	s_xor_b64 s[20:21], exec, s[20:21]
; %bb.1121:                             ;   in Loop: Header=BB4_127 Depth=2
	v_cmp_lt_u64_e32 vcc, s[72:73], v[34:35]
	v_add_u32_e32 v0, 15, v44
	v_cndmask_b32_e32 v2, v43, v0, vcc
	v_cndmask_b32_e64 v0, 0, 1, vcc
	v_lshrrev_b64 v[0:1], v0, v[34:35]
; %bb.1122:                             ;   in Loop: Header=BB4_127 Depth=2
	s_or_saveexec_b64 s[20:21], s[20:21]
	v_mov_b32_e32 v45, v27
	s_xor_b64 exec, exec, s[20:21]
; %bb.1123:                             ;   in Loop: Header=BB4_127 Depth=2
	v_mov_b32_e32 v0, v34
	v_bfe_u32 v2, v34, 23, 1
	v_mov_b32_e32 v1, v35
; %bb.1124:                             ;   in Loop: Header=BB4_127 Depth=2
	s_or_b64 exec, exec, s[20:21]
	v_lshrrev_b64 v[0:1], 21, v[0:1]
	v_cmp_gt_i32_e32 vcc, 32, v2
	v_cndmask_b32_e32 v1, 0, v1, vcc
	v_cndmask_b32_e32 v0, 3, v0, vcc
	v_cmp_eq_u64_e64 s[20:21], 0, v[0:1]
	v_min_i32_e32 v1, 31, v2
	v_lshlrev_b32_e32 v1, 2, v1
	v_cmp_eq_u32_e32 vcc, 0, v2
	v_and_b32_e32 v1, 0xfc, v1
	v_and_or_b32 v0, v0, 3, v1
	s_and_b64 s[20:21], vcc, s[20:21]
	v_cndmask_b32_e64 v0, v0, 0, s[20:21]
	v_or_b32_e32 v60, v0, v42
.LBB4_1125:                             ;   in Loop: Header=BB4_127 Depth=2
	s_or_b64 exec, exec, s[90:91]
                                        ; implicit-def: $vgpr42
.LBB4_1126:                             ;   in Loop: Header=BB4_127 Depth=2
	s_andn2_saveexec_b64 s[20:21], s[88:89]
; %bb.1127:                             ;   in Loop: Header=BB4_127 Depth=2
	v_or_b32_e32 v60, 0x7b, v42
; %bb.1128:                             ;   in Loop: Header=BB4_127 Depth=2
	s_or_b64 exec, exec, s[20:21]
                                        ; implicit-def: $vgpr0
.LBB4_1129:                             ;   in Loop: Header=BB4_127 Depth=2
	s_andn2_saveexec_b64 s[20:21], s[78:79]
	s_cbranch_execz .LBB4_1135
; %bb.1130:                             ;   in Loop: Header=BB4_127 Depth=2
	v_cmp_ne_u64_e32 vcc, 0, v[34:35]
                                        ; implicit-def: $vgpr60
	s_and_saveexec_b64 s[78:79], vcc
	s_xor_b64 s[78:79], exec, s[78:79]
; %bb.1131:                             ;   in Loop: Header=BB4_127 Depth=2
	v_or_b32_sdwa v60, v0, s65 dst_sel:DWORD dst_unused:UNUSED_PAD src0_sel:BYTE_3 src1_sel:DWORD
                                        ; implicit-def: $vgpr0
; %bb.1132:                             ;   in Loop: Header=BB4_127 Depth=2
	s_andn2_saveexec_b64 s[78:79], s[78:79]
; %bb.1133:                             ;   in Loop: Header=BB4_127 Depth=2
	v_cmp_lt_i32_e32 vcc, -1, v0
	v_bfrev_b32_e32 v0, 0.5
	v_mov_b32_e32 v1, 0x7c
	v_cndmask_b32_e32 v60, v0, v1, vcc
; %bb.1134:                             ;   in Loop: Header=BB4_127 Depth=2
	s_or_b64 exec, exec, s[78:79]
.LBB4_1135:                             ;   in Loop: Header=BB4_127 Depth=2
	s_or_b64 exec, exec, s[20:21]
	v_mov_b32_e32 v34, v17
	v_cmp_ne_u16_sdwa s[78:79], v17, v35 src0_sel:BYTE_0 src1_sel:DWORD
	v_mov_b32_e32 v1, 0
	v_mov_b32_e32 v0, 0
	s_and_saveexec_b64 s[20:21], s[78:79]
	s_cbranch_execz .LBB4_1143
; %bb.1136:                             ;   in Loop: Header=BB4_127 Depth=2
	v_cmp_ne_u16_sdwa s[88:89], v17, s55 src0_sel:BYTE_0 src1_sel:DWORD
	v_bfrev_b32_e32 v0, 1
	s_and_saveexec_b64 s[78:79], s[88:89]
	s_cbranch_execz .LBB4_1142
; %bb.1137:                             ;   in Loop: Header=BB4_127 Depth=2
	v_and_b32_e32 v0, 0x7c, v17
	v_and_b32_e32 v2, 3, v17
	v_cmp_ne_u32_e32 vcc, s53, v0
                                        ; implicit-def: $vgpr0
	s_and_saveexec_b64 s[88:89], vcc
	s_xor_b64 s[88:89], exec, s[88:89]
	s_cbranch_execz .LBB4_1139
; %bb.1138:                             ;   in Loop: Header=BB4_127 Depth=2
	v_ffbh_u32_e32 v26, v2
	v_min_u32_e32 v26, 32, v26
	v_bfe_u32 v0, v17, 2, 5
	v_subrev_u32_e32 v27, 29, v26
	v_lshlrev_b64 v[42:43], v27, v[34:35]
	v_sub_u32_e32 v26, 30, v26
	v_cmp_eq_u32_e32 vcc, 0, v0
	v_cndmask_b32_e32 v0, v0, v26, vcc
	v_lshlrev_b32_e32 v26, 24, v17
	v_and_b32_e32 v27, 3, v42
	v_and_b32_e32 v26, 0x80000000, v26
	v_cndmask_b32_e32 v2, v2, v27, vcc
	v_lshl_add_u32 v0, v0, 23, v26
	v_lshl_or_b32 v0, v2, 21, v0
	v_add_u32_e32 v0, 0x38000000, v0
                                        ; implicit-def: $vgpr2
.LBB4_1139:                             ;   in Loop: Header=BB4_127 Depth=2
	s_andn2_saveexec_b64 s[88:89], s[88:89]
; %bb.1140:                             ;   in Loop: Header=BB4_127 Depth=2
	v_mov_b32_e32 v0, -1
	v_cmp_gt_i16_sdwa vcc, sext(v17), v0 src0_sel:BYTE_0 src1_sel:DWORD
	v_cndmask_b32_e32 v0, v5, v36, vcc
	v_cmp_eq_u32_e32 vcc, 0, v2
	v_cndmask_b32_e32 v0, v37, v0, vcc
; %bb.1141:                             ;   in Loop: Header=BB4_127 Depth=2
	s_or_b64 exec, exec, s[88:89]
.LBB4_1142:                             ;   in Loop: Header=BB4_127 Depth=2
	s_or_b64 exec, exec, s[78:79]
.LBB4_1143:                             ;   in Loop: Header=BB4_127 Depth=2
	s_or_b64 exec, exec, s[20:21]
	v_cmp_ne_u16_sdwa s[78:79], v13, v35 src0_sel:BYTE_0 src1_sel:DWORD
	s_and_saveexec_b64 s[20:21], s[78:79]
	s_cbranch_execz .LBB4_1151
; %bb.1144:                             ;   in Loop: Header=BB4_127 Depth=2
	v_cmp_ne_u16_sdwa s[88:89], v13, s55 src0_sel:BYTE_0 src1_sel:DWORD
	v_bfrev_b32_e32 v1, 1
	s_and_saveexec_b64 s[78:79], s[88:89]
	s_cbranch_execz .LBB4_1150
; %bb.1145:                             ;   in Loop: Header=BB4_127 Depth=2
	v_and_b32_e32 v1, 0x7c, v13
	v_and_b32_e32 v2, 3, v13
	v_cmp_ne_u32_e32 vcc, s53, v1
                                        ; implicit-def: $vgpr1
	s_and_saveexec_b64 s[88:89], vcc
	s_xor_b64 s[88:89], exec, s[88:89]
	s_cbranch_execz .LBB4_1147
; %bb.1146:                             ;   in Loop: Header=BB4_127 Depth=2
	v_ffbh_u32_e32 v26, v2
	v_min_u32_e32 v26, 32, v26
	v_mov_b32_e32 v42, v13
	v_mov_b32_e32 v43, v35
	v_bfe_u32 v1, v13, 2, 5
	v_subrev_u32_e32 v27, 29, v26
	v_lshlrev_b64 v[42:43], v27, v[42:43]
	v_sub_u32_e32 v26, 30, v26
	v_cmp_eq_u32_e32 vcc, 0, v1
	v_cndmask_b32_e32 v1, v1, v26, vcc
	v_lshlrev_b32_e32 v26, 24, v13
	v_and_b32_e32 v27, 3, v42
	v_and_b32_e32 v26, 0x80000000, v26
	v_cndmask_b32_e32 v2, v2, v27, vcc
	v_lshl_add_u32 v1, v1, 23, v26
	v_lshl_or_b32 v1, v2, 21, v1
	v_add_u32_e32 v1, 0x38000000, v1
                                        ; implicit-def: $vgpr2
.LBB4_1147:                             ;   in Loop: Header=BB4_127 Depth=2
	s_andn2_saveexec_b64 s[88:89], s[88:89]
; %bb.1148:                             ;   in Loop: Header=BB4_127 Depth=2
	v_mov_b32_e32 v1, -1
	v_cmp_gt_i16_sdwa vcc, sext(v13), v1 src0_sel:BYTE_0 src1_sel:DWORD
	v_cndmask_b32_e32 v1, v5, v36, vcc
	v_cmp_eq_u32_e32 vcc, 0, v2
	v_cndmask_b32_e32 v1, v37, v1, vcc
; %bb.1149:                             ;   in Loop: Header=BB4_127 Depth=2
	s_or_b64 exec, exec, s[88:89]
.LBB4_1150:                             ;   in Loop: Header=BB4_127 Depth=2
	s_or_b64 exec, exec, s[78:79]
.LBB4_1151:                             ;   in Loop: Header=BB4_127 Depth=2
	s_or_b64 exec, exec, s[20:21]
	v_mul_f32_e32 v2, v0, v1
	v_and_b32_e32 v42, 0x7f800000, v2
	v_mov_b32_e32 v43, v35
	v_cmp_ne_u64_e32 vcc, s[60:61], v[42:43]
	v_and_b32_e32 v0, 0x7fffff, v2
	v_mov_b32_e32 v1, v35
                                        ; implicit-def: $vgpr61
	s_and_saveexec_b64 s[20:21], vcc
	s_xor_b64 s[78:79], exec, s[20:21]
	s_cbranch_execz .LBB4_1165
; %bb.1152:                             ;   in Loop: Header=BB4_127 Depth=2
	v_and_b32_e32 v42, 0x7fffffff, v2
	v_mov_b32_e32 v43, v35
	v_cmp_gt_u64_e32 vcc, s[62:63], v[42:43]
	v_and_b32_sdwa v42, v2, s55 dst_sel:DWORD dst_unused:UNUSED_PAD src0_sel:BYTE_3 src1_sel:DWORD
                                        ; implicit-def: $vgpr61
	s_and_saveexec_b64 s[20:21], vcc
	s_xor_b64 s[88:89], exec, s[20:21]
	s_cbranch_execz .LBB4_1162
; %bb.1153:                             ;   in Loop: Header=BB4_127 Depth=2
	v_mov_b32_e32 v61, 0
	v_cmp_ne_u32_e32 vcc, 0, v2
	s_and_saveexec_b64 s[90:91], vcc
	s_cbranch_execz .LBB4_1161
; %bb.1154:                             ;   in Loop: Header=BB4_127 Depth=2
	v_bfe_u32 v43, v2, 23, 8
	v_cmp_gt_u32_e64 s[20:21], s64, v43
	v_sub_u32_e32 v2, 0x71, v43
	v_cmp_eq_u32_e32 vcc, 0, v43
	v_cndmask_b32_e64 v2, 0, v2, s[20:21]
	v_mov_b32_e32 v27, 0x70
	v_cndmask_b32_e32 v61, v2, v27, vcc
	v_add_u32_e32 v2, 21, v61
	v_mov_b32_e32 v62, v45
	v_or_b32_e32 v26, 0x800000, v0
	v_lshlrev_b64 v[44:45], v2, -1
	v_cndmask_b32_e32 v0, v26, v0, vcc
	v_add_u32_e32 v2, 20, v61
	v_bfi_b32 v44, v44, 0, v0
	v_lshlrev_b64 v[26:27], v2, 1
	v_lshrrev_b64 v[0:1], v61, v[0:1]
	v_bfi_b32 v45, v45, 0, 0
	v_cmp_eq_u64_e64 s[20:21], v[44:45], v[26:27]
	v_mov_b32_e32 v2, v1
	v_mov_b32_e32 v1, v0
	s_and_saveexec_b64 s[92:93], s[20:21]
; %bb.1155:                             ;   in Loop: Header=BB4_127 Depth=2
	v_bfe_u32 v1, v0, 21, 1
	v_add_co_u32_e64 v1, s[20:21], v0, v1
	v_add_co_u32_e64 v1, s[20:21], -1, v1
; %bb.1156:                             ;   in Loop: Header=BB4_127 Depth=2
	s_or_b64 exec, exec, s[92:93]
	v_add_u32_e32 v2, 0xffffff81, v43
	v_mov_b32_e32 v26, 0xffffff82
	v_cndmask_b32_e32 v2, v2, v26, vcc
	v_lshrrev_b32_e32 v26, 23, v0
	v_add3_u32 v44, v61, v2, v26
	v_add_u32_e32 v43, 14, v44
	v_and_b32_e32 v1, 0x1fffff, v1
	v_add_u32_e32 v0, v1, v0
	v_mov_b32_e32 v1, v35
	v_cmp_ne_u32_e32 vcc, 0, v43
                                        ; implicit-def: $vgpr2
	s_and_saveexec_b64 s[20:21], vcc
	s_xor_b64 s[20:21], exec, s[20:21]
; %bb.1157:                             ;   in Loop: Header=BB4_127 Depth=2
	v_cmp_lt_u64_e32 vcc, s[72:73], v[0:1]
	v_add_u32_e32 v2, 15, v44
	v_cndmask_b32_e64 v26, 0, 1, vcc
	v_lshrrev_b64 v[0:1], v26, v[0:1]
	v_cndmask_b32_e32 v2, v43, v2, vcc
; %bb.1158:                             ;   in Loop: Header=BB4_127 Depth=2
	s_or_saveexec_b64 s[20:21], s[20:21]
	v_mov_b32_e32 v45, v62
	s_xor_b64 exec, exec, s[20:21]
; %bb.1159:                             ;   in Loop: Header=BB4_127 Depth=2
	v_bfe_u32 v2, v0, 23, 1
; %bb.1160:                             ;   in Loop: Header=BB4_127 Depth=2
	s_or_b64 exec, exec, s[20:21]
	v_lshrrev_b64 v[0:1], 21, v[0:1]
	v_cmp_gt_i32_e32 vcc, 32, v2
	v_cndmask_b32_e32 v1, 0, v1, vcc
	v_cndmask_b32_e32 v0, 3, v0, vcc
	v_cmp_eq_u64_e64 s[20:21], 0, v[0:1]
	v_min_i32_e32 v1, 31, v2
	v_lshlrev_b32_e32 v1, 2, v1
	v_cmp_eq_u32_e32 vcc, 0, v2
	v_and_b32_e32 v1, 0xfc, v1
	v_and_or_b32 v0, v0, 3, v1
	s_and_b64 s[20:21], vcc, s[20:21]
	v_cndmask_b32_e64 v0, v0, 0, s[20:21]
	v_or_b32_e32 v61, v0, v42
.LBB4_1161:                             ;   in Loop: Header=BB4_127 Depth=2
	s_or_b64 exec, exec, s[90:91]
                                        ; implicit-def: $vgpr42
.LBB4_1162:                             ;   in Loop: Header=BB4_127 Depth=2
	s_andn2_saveexec_b64 s[20:21], s[88:89]
; %bb.1163:                             ;   in Loop: Header=BB4_127 Depth=2
	v_or_b32_e32 v61, 0x7b, v42
; %bb.1164:                             ;   in Loop: Header=BB4_127 Depth=2
	s_or_b64 exec, exec, s[20:21]
                                        ; implicit-def: $vgpr2
                                        ; implicit-def: $vgpr0_vgpr1
.LBB4_1165:                             ;   in Loop: Header=BB4_127 Depth=2
	s_andn2_saveexec_b64 s[20:21], s[78:79]
	s_cbranch_execz .LBB4_1171
; %bb.1166:                             ;   in Loop: Header=BB4_127 Depth=2
	v_cmp_ne_u64_e32 vcc, 0, v[0:1]
                                        ; implicit-def: $vgpr61
	s_and_saveexec_b64 s[78:79], vcc
	s_xor_b64 s[78:79], exec, s[78:79]
; %bb.1167:                             ;   in Loop: Header=BB4_127 Depth=2
	v_or_b32_sdwa v61, v2, s65 dst_sel:DWORD dst_unused:UNUSED_PAD src0_sel:BYTE_3 src1_sel:DWORD
                                        ; implicit-def: $vgpr2
; %bb.1168:                             ;   in Loop: Header=BB4_127 Depth=2
	s_andn2_saveexec_b64 s[78:79], s[78:79]
; %bb.1169:                             ;   in Loop: Header=BB4_127 Depth=2
	v_cmp_lt_i32_e32 vcc, -1, v2
	v_bfrev_b32_e32 v0, 0.5
	v_mov_b32_e32 v1, 0x7c
	v_cndmask_b32_e32 v61, v0, v1, vcc
; %bb.1170:                             ;   in Loop: Header=BB4_127 Depth=2
	s_or_b64 exec, exec, s[78:79]
.LBB4_1171:                             ;   in Loop: Header=BB4_127 Depth=2
	s_or_b64 exec, exec, s[20:21]
	v_lshrrev_b16_e32 v0, 8, v34
	v_cmp_ne_u16_e32 vcc, 0, v0
	v_mov_b32_e32 v2, 0
	v_mov_b32_e32 v1, 0
	s_and_saveexec_b64 s[20:21], vcc
	s_cbranch_execz .LBB4_1179
; %bb.1172:                             ;   in Loop: Header=BB4_127 Depth=2
	v_cmp_ne_u16_e32 vcc, s55, v0
	v_bfrev_b32_e32 v1, 1
	s_and_saveexec_b64 s[78:79], vcc
	s_cbranch_execz .LBB4_1178
; %bb.1173:                             ;   in Loop: Header=BB4_127 Depth=2
	v_and_b32_e32 v1, 0x7c, v0
	v_and_b32_e32 v42, 3, v0
	v_cmp_ne_u32_e32 vcc, s53, v1
                                        ; implicit-def: $vgpr1
	s_and_saveexec_b64 s[88:89], vcc
	s_xor_b64 s[88:89], exec, s[88:89]
	s_cbranch_execz .LBB4_1175
; %bb.1174:                             ;   in Loop: Header=BB4_127 Depth=2
	v_ffbh_u32_e32 v27, v42
	v_min_u32_e32 v27, 32, v27
	v_mov_b32_e32 v1, v35
	v_subrev_u32_e32 v43, 29, v27
	v_bfe_u32 v26, v0, 2, 5
	v_lshlrev_b64 v[0:1], v43, v[0:1]
	v_sub_u32_e32 v1, 30, v27
	v_cmp_eq_u32_e32 vcc, 0, v26
	v_cndmask_b32_e32 v1, v26, v1, vcc
	v_lshlrev_b32_e32 v26, 16, v34
	v_and_b32_e32 v0, 3, v0
	v_and_b32_e32 v26, 0x80000000, v26
	v_cndmask_b32_e32 v0, v42, v0, vcc
	v_lshl_add_u32 v1, v1, 23, v26
	v_lshl_or_b32 v0, v0, 21, v1
	v_add_u32_e32 v1, 0x38000000, v0
                                        ; implicit-def: $vgpr42
.LBB4_1175:                             ;   in Loop: Header=BB4_127 Depth=2
	s_andn2_saveexec_b64 s[88:89], s[88:89]
; %bb.1176:                             ;   in Loop: Header=BB4_127 Depth=2
	v_cmp_lt_i16_e32 vcc, -1, v34
	v_cndmask_b32_e32 v0, v5, v36, vcc
	v_cmp_eq_u32_e32 vcc, 0, v42
	v_cndmask_b32_e32 v1, v37, v0, vcc
; %bb.1177:                             ;   in Loop: Header=BB4_127 Depth=2
	s_or_b64 exec, exec, s[88:89]
.LBB4_1178:                             ;   in Loop: Header=BB4_127 Depth=2
	s_or_b64 exec, exec, s[78:79]
.LBB4_1179:                             ;   in Loop: Header=BB4_127 Depth=2
	s_or_b64 exec, exec, s[20:21]
	v_lshrrev_b16_e32 v34, 8, v13
	v_cmp_ne_u16_e32 vcc, 0, v34
	s_and_saveexec_b64 s[20:21], vcc
	s_cbranch_execz .LBB4_1187
; %bb.1180:                             ;   in Loop: Header=BB4_127 Depth=2
	v_cmp_ne_u16_e32 vcc, s55, v34
	v_bfrev_b32_e32 v2, 1
	s_and_saveexec_b64 s[78:79], vcc
	s_cbranch_execz .LBB4_1186
; %bb.1181:                             ;   in Loop: Header=BB4_127 Depth=2
	v_and_b32_e32 v2, 0x7c, v34
	v_and_b32_e32 v0, 3, v34
	v_cmp_ne_u32_e32 vcc, s53, v2
                                        ; implicit-def: $vgpr2
	s_and_saveexec_b64 s[88:89], vcc
	s_xor_b64 s[88:89], exec, s[88:89]
	s_cbranch_execz .LBB4_1183
; %bb.1182:                             ;   in Loop: Header=BB4_127 Depth=2
	v_ffbh_u32_e32 v26, v0
	v_min_u32_e32 v42, 32, v26
	v_subrev_u32_e32 v26, 29, v42
	v_lshlrev_b64 v[26:27], v26, v[34:35]
	v_bfe_u32 v2, v34, 2, 5
	v_and_b32_e32 v26, 3, v26
	v_cmp_eq_u32_e32 vcc, 0, v2
	v_sub_u32_e32 v27, 30, v42
	v_cndmask_b32_e32 v0, v0, v26, vcc
	v_lshlrev_b32_e32 v26, 16, v13
	v_cndmask_b32_e32 v2, v2, v27, vcc
	v_and_b32_e32 v26, 0x80000000, v26
	v_lshl_add_u32 v2, v2, 23, v26
	v_lshl_or_b32 v0, v0, 21, v2
	v_add_u32_e32 v2, 0x38000000, v0
                                        ; implicit-def: $vgpr0
.LBB4_1183:                             ;   in Loop: Header=BB4_127 Depth=2
	s_andn2_saveexec_b64 s[88:89], s[88:89]
; %bb.1184:                             ;   in Loop: Header=BB4_127 Depth=2
	v_cmp_lt_i16_e32 vcc, -1, v13
	v_cndmask_b32_e32 v2, v5, v36, vcc
	v_cmp_eq_u32_e32 vcc, 0, v0
	v_cndmask_b32_e32 v2, v37, v2, vcc
; %bb.1185:                             ;   in Loop: Header=BB4_127 Depth=2
	s_or_b64 exec, exec, s[88:89]
.LBB4_1186:                             ;   in Loop: Header=BB4_127 Depth=2
	s_or_b64 exec, exec, s[78:79]
.LBB4_1187:                             ;   in Loop: Header=BB4_127 Depth=2
	s_or_b64 exec, exec, s[20:21]
	v_mul_f32_e32 v0, v1, v2
	v_and_b32_e32 v1, 0x7f800000, v0
	v_mov_b32_e32 v2, v35
	v_cmp_ne_u64_e32 vcc, s[60:61], v[1:2]
	v_and_b32_e32 v34, 0x7fffff, v0
                                        ; implicit-def: $vgpr62
	s_and_saveexec_b64 s[20:21], vcc
	s_xor_b64 s[78:79], exec, s[20:21]
	s_cbranch_execz .LBB4_1201
; %bb.1188:                             ;   in Loop: Header=BB4_127 Depth=2
	v_and_b32_e32 v1, 0x7fffffff, v0
	v_mov_b32_e32 v2, v35
	v_cmp_gt_u64_e32 vcc, s[62:63], v[1:2]
	v_and_b32_sdwa v42, v0, s55 dst_sel:DWORD dst_unused:UNUSED_PAD src0_sel:BYTE_3 src1_sel:DWORD
                                        ; implicit-def: $vgpr62
	s_and_saveexec_b64 s[20:21], vcc
	s_xor_b64 s[88:89], exec, s[20:21]
	s_cbranch_execz .LBB4_1198
; %bb.1189:                             ;   in Loop: Header=BB4_127 Depth=2
	v_mov_b32_e32 v62, 0
	v_cmp_ne_u32_e32 vcc, 0, v0
	s_and_saveexec_b64 s[90:91], vcc
	s_cbranch_execz .LBB4_1197
; %bb.1190:                             ;   in Loop: Header=BB4_127 Depth=2
	v_bfe_u32 v43, v0, 23, 8
	v_cmp_gt_u32_e64 s[20:21], s64, v43
	v_sub_u32_e32 v0, 0x71, v43
	v_cmp_eq_u32_e32 vcc, 0, v43
	v_cndmask_b32_e64 v0, 0, v0, s[20:21]
	v_mov_b32_e32 v2, 0x70
	v_cndmask_b32_e32 v62, v0, v2, vcc
	v_or_b32_e32 v1, 0x800000, v34
	v_add_u32_e32 v0, 21, v62
	v_cndmask_b32_e32 v34, v1, v34, vcc
	v_lshlrev_b64 v[0:1], v0, -1
	v_add_u32_e32 v2, 20, v62
	v_lshlrev_b64 v[26:27], v2, 1
	v_bfi_b32 v1, v1, 0, 0
	v_bfi_b32 v0, v0, 0, v34
	v_cmp_eq_u64_e64 s[20:21], v[0:1], v[26:27]
	v_lshrrev_b64 v[0:1], v62, v[34:35]
	v_mov_b32_e32 v2, v1
	v_mov_b32_e32 v1, v0
	s_and_saveexec_b64 s[92:93], s[20:21]
; %bb.1191:                             ;   in Loop: Header=BB4_127 Depth=2
	v_bfe_u32 v1, v0, 21, 1
	v_add_co_u32_e64 v1, s[20:21], v0, v1
	v_add_co_u32_e64 v1, s[20:21], -1, v1
; %bb.1192:                             ;   in Loop: Header=BB4_127 Depth=2
	s_or_b64 exec, exec, s[92:93]
	v_add_u32_e32 v2, 0xffffff81, v43
	v_mov_b32_e32 v26, 0xffffff82
	v_cndmask_b32_e32 v2, v2, v26, vcc
	v_lshrrev_b32_e32 v26, 23, v0
	v_add3_u32 v44, v62, v2, v26
	v_add_u32_e32 v43, 14, v44
	v_and_b32_e32 v1, 0x1fffff, v1
	v_add_u32_e32 v34, v1, v0
	v_cmp_ne_u32_e32 vcc, 0, v43
                                        ; implicit-def: $vgpr0_vgpr1
                                        ; implicit-def: $vgpr2
	s_and_saveexec_b64 s[20:21], vcc
	s_xor_b64 s[20:21], exec, s[20:21]
; %bb.1193:                             ;   in Loop: Header=BB4_127 Depth=2
	v_cmp_lt_u64_e32 vcc, s[72:73], v[34:35]
	v_add_u32_e32 v0, 15, v44
	v_cndmask_b32_e32 v2, v43, v0, vcc
	v_cndmask_b32_e64 v0, 0, 1, vcc
	v_lshrrev_b64 v[0:1], v0, v[34:35]
; %bb.1194:                             ;   in Loop: Header=BB4_127 Depth=2
	s_andn2_saveexec_b64 s[20:21], s[20:21]
; %bb.1195:                             ;   in Loop: Header=BB4_127 Depth=2
	v_mov_b32_e32 v0, v34
	v_bfe_u32 v2, v34, 23, 1
	v_mov_b32_e32 v1, v35
; %bb.1196:                             ;   in Loop: Header=BB4_127 Depth=2
	s_or_b64 exec, exec, s[20:21]
	v_lshrrev_b64 v[0:1], 21, v[0:1]
	v_cmp_gt_i32_e32 vcc, 32, v2
	v_cndmask_b32_e32 v1, 0, v1, vcc
	v_cndmask_b32_e32 v0, 3, v0, vcc
	v_cmp_eq_u64_e64 s[20:21], 0, v[0:1]
	v_min_i32_e32 v1, 31, v2
	v_lshlrev_b32_e32 v1, 2, v1
	v_cmp_eq_u32_e32 vcc, 0, v2
	v_and_b32_e32 v1, 0xfc, v1
	v_and_or_b32 v0, v0, 3, v1
	s_and_b64 s[20:21], vcc, s[20:21]
	v_cndmask_b32_e64 v0, v0, 0, s[20:21]
	v_or_b32_e32 v62, v0, v42
.LBB4_1197:                             ;   in Loop: Header=BB4_127 Depth=2
	s_or_b64 exec, exec, s[90:91]
                                        ; implicit-def: $vgpr42
.LBB4_1198:                             ;   in Loop: Header=BB4_127 Depth=2
	s_andn2_saveexec_b64 s[20:21], s[88:89]
; %bb.1199:                             ;   in Loop: Header=BB4_127 Depth=2
	v_or_b32_e32 v62, 0x7b, v42
; %bb.1200:                             ;   in Loop: Header=BB4_127 Depth=2
	s_or_b64 exec, exec, s[20:21]
                                        ; implicit-def: $vgpr0
.LBB4_1201:                             ;   in Loop: Header=BB4_127 Depth=2
	s_andn2_saveexec_b64 s[20:21], s[78:79]
	s_cbranch_execz .LBB4_1207
; %bb.1202:                             ;   in Loop: Header=BB4_127 Depth=2
	v_cmp_ne_u64_e32 vcc, 0, v[34:35]
                                        ; implicit-def: $vgpr62
	s_and_saveexec_b64 s[78:79], vcc
	s_xor_b64 s[78:79], exec, s[78:79]
; %bb.1203:                             ;   in Loop: Header=BB4_127 Depth=2
	v_or_b32_sdwa v62, v0, s65 dst_sel:DWORD dst_unused:UNUSED_PAD src0_sel:BYTE_3 src1_sel:DWORD
                                        ; implicit-def: $vgpr0
; %bb.1204:                             ;   in Loop: Header=BB4_127 Depth=2
	s_andn2_saveexec_b64 s[78:79], s[78:79]
; %bb.1205:                             ;   in Loop: Header=BB4_127 Depth=2
	v_cmp_lt_i32_e32 vcc, -1, v0
	v_bfrev_b32_e32 v0, 0.5
	v_mov_b32_e32 v1, 0x7c
	v_cndmask_b32_e32 v62, v0, v1, vcc
; %bb.1206:                             ;   in Loop: Header=BB4_127 Depth=2
	s_or_b64 exec, exec, s[78:79]
.LBB4_1207:                             ;   in Loop: Header=BB4_127 Depth=2
	s_or_b64 exec, exec, s[20:21]
	v_lshrrev_b32_e32 v0, 16, v17
	v_cmp_ne_u16_sdwa s[78:79], v0, v35 src0_sel:BYTE_0 src1_sel:DWORD
	v_mov_b32_e32 v1, 0
	v_mov_b32_e32 v2, 0
	s_and_saveexec_b64 s[20:21], s[78:79]
	s_cbranch_execz .LBB4_1215
; %bb.1208:                             ;   in Loop: Header=BB4_127 Depth=2
	v_cmp_ne_u16_sdwa s[88:89], v0, s55 src0_sel:BYTE_0 src1_sel:DWORD
	v_bfrev_b32_e32 v2, 1
	s_and_saveexec_b64 s[78:79], s[88:89]
	s_cbranch_execz .LBB4_1214
; %bb.1209:                             ;   in Loop: Header=BB4_127 Depth=2
	v_and_b32_e32 v2, 0x7c0000, v17
	v_bfe_u32 v34, v17, 16, 2
	v_cmp_ne_u32_e32 vcc, s66, v2
                                        ; implicit-def: $vgpr2
	s_and_saveexec_b64 s[88:89], vcc
	s_xor_b64 s[88:89], exec, s[88:89]
	s_cbranch_execz .LBB4_1211
; %bb.1210:                             ;   in Loop: Header=BB4_127 Depth=2
	v_ffbh_u32_e32 v26, v34
	v_min_u32_e32 v42, 32, v26
	v_subrev_u32_e32 v26, 29, v42
	v_lshlrev_b64 v[26:27], v26, v[0:1]
	v_bfe_u32 v2, v17, 18, 5
	v_sub_u32_e32 v0, 30, v42
	v_and_b32_e32 v26, 3, v26
	v_cmp_eq_u32_e32 vcc, 0, v2
	v_cndmask_b32_e32 v0, v2, v0, vcc
	v_cndmask_b32_e32 v2, v34, v26, vcc
	v_lshlrev_b32_e32 v26, 8, v17
	v_and_b32_e32 v26, 0x80000000, v26
	v_lshl_add_u32 v0, v0, 23, v26
	v_lshl_or_b32 v0, v2, 21, v0
	v_add_u32_e32 v2, 0x38000000, v0
                                        ; implicit-def: $vgpr34
                                        ; implicit-def: $vgpr0
.LBB4_1211:                             ;   in Loop: Header=BB4_127 Depth=2
	s_andn2_saveexec_b64 s[88:89], s[88:89]
; %bb.1212:                             ;   in Loop: Header=BB4_127 Depth=2
	v_mov_b32_e32 v2, -1
	v_cmp_gt_i16_sdwa vcc, sext(v0), v2 src0_sel:BYTE_0 src1_sel:DWORD
	v_cndmask_b32_e32 v0, v5, v36, vcc
	v_cmp_eq_u32_e32 vcc, 0, v34
	v_cndmask_b32_e32 v2, v37, v0, vcc
; %bb.1213:                             ;   in Loop: Header=BB4_127 Depth=2
	s_or_b64 exec, exec, s[88:89]
.LBB4_1214:                             ;   in Loop: Header=BB4_127 Depth=2
	s_or_b64 exec, exec, s[78:79]
.LBB4_1215:                             ;   in Loop: Header=BB4_127 Depth=2
	s_or_b64 exec, exec, s[20:21]
	v_lshrrev_b32_e32 v0, 16, v13
	v_cmp_ne_u16_sdwa s[78:79], v0, v35 src0_sel:BYTE_0 src1_sel:DWORD
	s_and_saveexec_b64 s[20:21], s[78:79]
	s_cbranch_execz .LBB4_1223
; %bb.1216:                             ;   in Loop: Header=BB4_127 Depth=2
	v_cmp_ne_u16_sdwa s[88:89], v0, s55 src0_sel:BYTE_0 src1_sel:DWORD
	v_bfrev_b32_e32 v1, 1
	s_and_saveexec_b64 s[78:79], s[88:89]
	s_cbranch_execz .LBB4_1222
; %bb.1217:                             ;   in Loop: Header=BB4_127 Depth=2
	v_and_b32_e32 v1, 0x7c0000, v13
	v_bfe_u32 v34, v13, 16, 2
	v_cmp_ne_u32_e32 vcc, s66, v1
                                        ; implicit-def: $vgpr1
	s_and_saveexec_b64 s[88:89], vcc
	s_xor_b64 s[88:89], exec, s[88:89]
	s_cbranch_execz .LBB4_1219
; %bb.1218:                             ;   in Loop: Header=BB4_127 Depth=2
	v_ffbh_u32_e32 v1, v34
	v_min_u32_e32 v27, 32, v1
	v_subrev_u32_e32 v1, 29, v27
	v_bfe_u32 v26, v13, 18, 5
	v_lshlrev_b64 v[0:1], v1, v[0:1]
	v_sub_u32_e32 v1, 30, v27
	v_cmp_eq_u32_e32 vcc, 0, v26
	v_cndmask_b32_e32 v1, v26, v1, vcc
	v_lshlrev_b32_e32 v26, 8, v13
	v_and_b32_e32 v0, 3, v0
	v_and_b32_e32 v26, 0x80000000, v26
	v_cndmask_b32_e32 v0, v34, v0, vcc
	v_lshl_add_u32 v1, v1, 23, v26
	v_lshl_or_b32 v0, v0, 21, v1
	v_add_u32_e32 v1, 0x38000000, v0
                                        ; implicit-def: $vgpr34
                                        ; implicit-def: $vgpr0
.LBB4_1219:                             ;   in Loop: Header=BB4_127 Depth=2
	s_andn2_saveexec_b64 s[88:89], s[88:89]
; %bb.1220:                             ;   in Loop: Header=BB4_127 Depth=2
	v_mov_b32_e32 v1, -1
	v_cmp_gt_i16_sdwa vcc, sext(v0), v1 src0_sel:BYTE_0 src1_sel:DWORD
	v_cndmask_b32_e32 v0, v5, v36, vcc
	v_cmp_eq_u32_e32 vcc, 0, v34
	v_cndmask_b32_e32 v1, v37, v0, vcc
; %bb.1221:                             ;   in Loop: Header=BB4_127 Depth=2
	s_or_b64 exec, exec, s[88:89]
.LBB4_1222:                             ;   in Loop: Header=BB4_127 Depth=2
	s_or_b64 exec, exec, s[78:79]
.LBB4_1223:                             ;   in Loop: Header=BB4_127 Depth=2
	s_or_b64 exec, exec, s[20:21]
	v_mul_f32_e32 v0, v2, v1
	v_and_b32_e32 v1, 0x7f800000, v0
	v_mov_b32_e32 v2, v35
	v_cmp_ne_u64_e32 vcc, s[60:61], v[1:2]
	v_and_b32_e32 v34, 0x7fffff, v0
                                        ; implicit-def: $vgpr42
	s_and_saveexec_b64 s[20:21], vcc
	s_xor_b64 s[78:79], exec, s[20:21]
	s_cbranch_execz .LBB4_1237
; %bb.1224:                             ;   in Loop: Header=BB4_127 Depth=2
	v_and_b32_e32 v1, 0x7fffffff, v0
	v_mov_b32_e32 v2, v35
	v_cmp_gt_u64_e32 vcc, s[62:63], v[1:2]
	v_and_b32_sdwa v43, v0, s55 dst_sel:DWORD dst_unused:UNUSED_PAD src0_sel:BYTE_3 src1_sel:DWORD
                                        ; implicit-def: $vgpr42
	s_and_saveexec_b64 s[20:21], vcc
	s_xor_b64 s[88:89], exec, s[20:21]
	s_cbranch_execz .LBB4_1234
; %bb.1225:                             ;   in Loop: Header=BB4_127 Depth=2
	v_mov_b32_e32 v42, 0
	v_cmp_ne_u32_e32 vcc, 0, v0
	s_and_saveexec_b64 s[90:91], vcc
	s_cbranch_execz .LBB4_1233
; %bb.1226:                             ;   in Loop: Header=BB4_127 Depth=2
	v_bfe_u32 v42, v0, 23, 8
	v_cmp_gt_u32_e64 s[20:21], s64, v42
	v_sub_u32_e32 v0, 0x71, v42
	v_cmp_eq_u32_e32 vcc, 0, v42
	v_cndmask_b32_e64 v0, 0, v0, s[20:21]
	v_mov_b32_e32 v2, 0x70
	v_cndmask_b32_e32 v44, v0, v2, vcc
	v_or_b32_e32 v1, 0x800000, v34
	v_add_u32_e32 v0, 21, v44
	v_cndmask_b32_e32 v34, v1, v34, vcc
	v_lshlrev_b64 v[0:1], v0, -1
	v_add_u32_e32 v2, 20, v44
	v_lshlrev_b64 v[26:27], v2, 1
	v_bfi_b32 v1, v1, 0, 0
	v_bfi_b32 v0, v0, 0, v34
	v_cmp_eq_u64_e64 s[20:21], v[0:1], v[26:27]
	v_lshrrev_b64 v[0:1], v44, v[34:35]
	v_mov_b32_e32 v2, v1
	v_mov_b32_e32 v1, v0
	s_and_saveexec_b64 s[92:93], s[20:21]
; %bb.1227:                             ;   in Loop: Header=BB4_127 Depth=2
	v_bfe_u32 v1, v0, 21, 1
	v_add_co_u32_e64 v1, s[20:21], v0, v1
	v_add_co_u32_e64 v1, s[20:21], -1, v1
; %bb.1228:                             ;   in Loop: Header=BB4_127 Depth=2
	s_or_b64 exec, exec, s[92:93]
	v_add_u32_e32 v2, 0xffffff81, v42
	v_mov_b32_e32 v26, 0xffffff82
	v_cndmask_b32_e32 v2, v2, v26, vcc
	v_lshrrev_b32_e32 v26, 23, v0
	v_add3_u32 v44, v44, v2, v26
	v_add_u32_e32 v42, 14, v44
	v_and_b32_e32 v1, 0x1fffff, v1
	v_add_u32_e32 v34, v1, v0
	v_cmp_ne_u32_e32 vcc, 0, v42
                                        ; implicit-def: $vgpr0_vgpr1
                                        ; implicit-def: $vgpr2
	s_and_saveexec_b64 s[20:21], vcc
	s_xor_b64 s[20:21], exec, s[20:21]
; %bb.1229:                             ;   in Loop: Header=BB4_127 Depth=2
	v_cmp_lt_u64_e32 vcc, s[72:73], v[34:35]
	v_add_u32_e32 v0, 15, v44
	v_cndmask_b32_e32 v2, v42, v0, vcc
	v_cndmask_b32_e64 v0, 0, 1, vcc
	v_lshrrev_b64 v[0:1], v0, v[34:35]
; %bb.1230:                             ;   in Loop: Header=BB4_127 Depth=2
	s_andn2_saveexec_b64 s[20:21], s[20:21]
; %bb.1231:                             ;   in Loop: Header=BB4_127 Depth=2
	v_mov_b32_e32 v0, v34
	v_bfe_u32 v2, v34, 23, 1
	v_mov_b32_e32 v1, v35
; %bb.1232:                             ;   in Loop: Header=BB4_127 Depth=2
	s_or_b64 exec, exec, s[20:21]
	v_lshrrev_b64 v[0:1], 21, v[0:1]
	v_cmp_gt_i32_e32 vcc, 32, v2
	v_cndmask_b32_e32 v1, 0, v1, vcc
	v_cndmask_b32_e32 v0, 3, v0, vcc
	v_cmp_eq_u64_e64 s[20:21], 0, v[0:1]
	v_min_i32_e32 v1, 31, v2
	v_lshlrev_b32_e32 v1, 2, v1
	v_cmp_eq_u32_e32 vcc, 0, v2
	v_and_b32_e32 v1, 0xfc, v1
	v_and_or_b32 v0, v0, 3, v1
	s_and_b64 s[20:21], vcc, s[20:21]
	v_cndmask_b32_e64 v0, v0, 0, s[20:21]
	v_or_b32_e32 v42, v0, v43
.LBB4_1233:                             ;   in Loop: Header=BB4_127 Depth=2
	s_or_b64 exec, exec, s[90:91]
                                        ; implicit-def: $vgpr43
.LBB4_1234:                             ;   in Loop: Header=BB4_127 Depth=2
	s_andn2_saveexec_b64 s[20:21], s[88:89]
; %bb.1235:                             ;   in Loop: Header=BB4_127 Depth=2
	v_or_b32_e32 v42, 0x7b, v43
; %bb.1236:                             ;   in Loop: Header=BB4_127 Depth=2
	s_or_b64 exec, exec, s[20:21]
                                        ; implicit-def: $vgpr0
.LBB4_1237:                             ;   in Loop: Header=BB4_127 Depth=2
	s_andn2_saveexec_b64 s[20:21], s[78:79]
	s_cbranch_execz .LBB4_1243
; %bb.1238:                             ;   in Loop: Header=BB4_127 Depth=2
	v_cmp_ne_u64_e32 vcc, 0, v[34:35]
                                        ; implicit-def: $vgpr42
	s_and_saveexec_b64 s[78:79], vcc
	s_xor_b64 s[78:79], exec, s[78:79]
; %bb.1239:                             ;   in Loop: Header=BB4_127 Depth=2
	v_or_b32_sdwa v42, v0, s65 dst_sel:DWORD dst_unused:UNUSED_PAD src0_sel:BYTE_3 src1_sel:DWORD
                                        ; implicit-def: $vgpr0
; %bb.1240:                             ;   in Loop: Header=BB4_127 Depth=2
	s_andn2_saveexec_b64 s[78:79], s[78:79]
; %bb.1241:                             ;   in Loop: Header=BB4_127 Depth=2
	v_cmp_lt_i32_e32 vcc, -1, v0
	v_bfrev_b32_e32 v0, 0.5
	v_mov_b32_e32 v1, 0x7c
	v_cndmask_b32_e32 v42, v0, v1, vcc
; %bb.1242:                             ;   in Loop: Header=BB4_127 Depth=2
	s_or_b64 exec, exec, s[78:79]
.LBB4_1243:                             ;   in Loop: Header=BB4_127 Depth=2
	s_or_b64 exec, exec, s[20:21]
	v_cmp_lt_u64_e32 vcc, s[58:59], v[16:17]
	v_mov_b32_e32 v1, 0
	v_mov_b32_e32 v2, 0
	s_and_saveexec_b64 s[20:21], vcc
	s_cbranch_execz .LBB4_1251
; %bb.1244:                             ;   in Loop: Header=BB4_127 Depth=2
	v_lshrrev_b32_e32 v0, 24, v17
	v_cmp_ne_u32_e32 vcc, s55, v0
	v_bfrev_b32_e32 v2, 1
	s_and_saveexec_b64 s[78:79], vcc
	s_cbranch_execz .LBB4_1250
; %bb.1245:                             ;   in Loop: Header=BB4_127 Depth=2
	v_and_b32_e32 v2, 0x7c000000, v17
	v_bfe_u32 v34, v17, 24, 2
	v_cmp_ne_u32_e32 vcc, s67, v2
                                        ; implicit-def: $vgpr2
	s_and_saveexec_b64 s[88:89], vcc
	s_xor_b64 s[88:89], exec, s[88:89]
	s_cbranch_execz .LBB4_1247
; %bb.1246:                             ;   in Loop: Header=BB4_127 Depth=2
	v_ffbh_u32_e32 v16, v34
	v_min_u32_e32 v16, 32, v16
	v_subrev_u32_e32 v26, 29, v16
	v_lshlrev_b64 v[26:27], v26, v[0:1]
	v_bfe_u32 v2, v17, 26, 5
	v_sub_u32_e32 v0, 30, v16
	v_and_b32_e32 v16, 3, v26
	v_cmp_eq_u32_e32 vcc, 0, v2
	v_cndmask_b32_e32 v0, v2, v0, vcc
	v_cndmask_b32_e32 v2, v34, v16, vcc
	v_and_b32_e32 v16, 0x80000000, v17
	v_lshl_add_u32 v0, v0, 23, v16
	v_lshl_or_b32 v0, v2, 21, v0
	v_add_u32_e32 v2, 0x38000000, v0
                                        ; implicit-def: $vgpr34
                                        ; implicit-def: $vgpr16_vgpr17
.LBB4_1247:                             ;   in Loop: Header=BB4_127 Depth=2
	s_andn2_saveexec_b64 s[88:89], s[88:89]
; %bb.1248:                             ;   in Loop: Header=BB4_127 Depth=2
	v_cmp_lt_i64_e32 vcc, -1, v[16:17]
	v_cndmask_b32_e32 v0, v5, v36, vcc
	v_cmp_eq_u32_e32 vcc, 0, v34
	v_cndmask_b32_e32 v2, v37, v0, vcc
; %bb.1249:                             ;   in Loop: Header=BB4_127 Depth=2
	s_or_b64 exec, exec, s[88:89]
.LBB4_1250:                             ;   in Loop: Header=BB4_127 Depth=2
	s_or_b64 exec, exec, s[78:79]
.LBB4_1251:                             ;   in Loop: Header=BB4_127 Depth=2
	s_or_b64 exec, exec, s[20:21]
	v_cmp_lt_u64_e32 vcc, s[58:59], v[12:13]
	s_and_saveexec_b64 s[20:21], vcc
	s_cbranch_execz .LBB4_1259
; %bb.1252:                             ;   in Loop: Header=BB4_127 Depth=2
	v_lshrrev_b32_e32 v0, 24, v13
	v_cmp_ne_u32_e32 vcc, s55, v0
	v_bfrev_b32_e32 v1, 1
	s_and_saveexec_b64 s[78:79], vcc
	s_cbranch_execz .LBB4_1258
; %bb.1253:                             ;   in Loop: Header=BB4_127 Depth=2
	v_and_b32_e32 v1, 0x7c000000, v13
	v_bfe_u32 v16, v13, 24, 2
	v_cmp_ne_u32_e32 vcc, s67, v1
                                        ; implicit-def: $vgpr1
	s_and_saveexec_b64 s[88:89], vcc
	s_xor_b64 s[88:89], exec, s[88:89]
	s_cbranch_execz .LBB4_1255
; %bb.1254:                             ;   in Loop: Header=BB4_127 Depth=2
	v_ffbh_u32_e32 v1, v16
	v_min_u32_e32 v17, 32, v1
	v_subrev_u32_e32 v1, 29, v17
	v_bfe_u32 v12, v13, 26, 5
	v_lshlrev_b64 v[0:1], v1, v[0:1]
	v_sub_u32_e32 v1, 30, v17
	v_cmp_eq_u32_e32 vcc, 0, v12
	v_and_b32_e32 v0, 3, v0
	v_cndmask_b32_e32 v1, v12, v1, vcc
	v_and_b32_e32 v12, 0x80000000, v13
	v_cndmask_b32_e32 v0, v16, v0, vcc
	v_lshl_add_u32 v1, v1, 23, v12
	v_lshl_or_b32 v0, v0, 21, v1
	v_add_u32_e32 v1, 0x38000000, v0
                                        ; implicit-def: $vgpr16
                                        ; implicit-def: $vgpr12_vgpr13
.LBB4_1255:                             ;   in Loop: Header=BB4_127 Depth=2
	s_andn2_saveexec_b64 s[88:89], s[88:89]
; %bb.1256:                             ;   in Loop: Header=BB4_127 Depth=2
	v_cmp_lt_i64_e32 vcc, -1, v[12:13]
	v_cndmask_b32_e32 v0, v5, v36, vcc
	v_cmp_eq_u32_e32 vcc, 0, v16
	v_cndmask_b32_e32 v1, v37, v0, vcc
; %bb.1257:                             ;   in Loop: Header=BB4_127 Depth=2
	s_or_b64 exec, exec, s[88:89]
.LBB4_1258:                             ;   in Loop: Header=BB4_127 Depth=2
	s_or_b64 exec, exec, s[78:79]
.LBB4_1259:                             ;   in Loop: Header=BB4_127 Depth=2
	s_or_b64 exec, exec, s[20:21]
	v_mul_f32_e32 v1, v2, v1
	v_and_b32_e32 v12, 0x7f800000, v1
	v_mov_b32_e32 v13, v35
	v_cmp_ne_u64_e32 vcc, s[60:61], v[12:13]
	v_and_b32_e32 v34, 0x7fffff, v1
                                        ; implicit-def: $vgpr0
	s_and_saveexec_b64 s[20:21], vcc
	s_xor_b64 s[78:79], exec, s[20:21]
	s_cbranch_execz .LBB4_1273
; %bb.1260:                             ;   in Loop: Header=BB4_127 Depth=2
	v_and_b32_e32 v12, 0x7fffffff, v1
	v_mov_b32_e32 v13, v35
	v_cmp_gt_u64_e32 vcc, s[62:63], v[12:13]
	v_and_b32_sdwa v12, v1, s55 dst_sel:DWORD dst_unused:UNUSED_PAD src0_sel:BYTE_3 src1_sel:DWORD
                                        ; implicit-def: $vgpr0
	s_and_saveexec_b64 s[20:21], vcc
	s_xor_b64 s[88:89], exec, s[20:21]
	s_cbranch_execz .LBB4_1270
; %bb.1261:                             ;   in Loop: Header=BB4_127 Depth=2
	v_mov_b32_e32 v0, 0
	v_cmp_ne_u32_e32 vcc, 0, v1
	s_and_saveexec_b64 s[90:91], vcc
	s_cbranch_execz .LBB4_1269
; %bb.1262:                             ;   in Loop: Header=BB4_127 Depth=2
	v_bfe_u32 v13, v1, 23, 8
	v_cmp_gt_u32_e64 s[20:21], s64, v13
	v_sub_u32_e32 v0, 0x71, v13
	v_cmp_eq_u32_e32 vcc, 0, v13
	v_cndmask_b32_e64 v0, 0, v0, s[20:21]
	v_mov_b32_e32 v2, 0x70
	v_cndmask_b32_e32 v16, v0, v2, vcc
	v_or_b32_e32 v1, 0x800000, v34
	v_add_u32_e32 v0, 21, v16
	v_cndmask_b32_e32 v34, v1, v34, vcc
	v_lshlrev_b64 v[0:1], v0, -1
	v_add_u32_e32 v2, 20, v16
	v_lshlrev_b64 v[26:27], v2, 1
	v_bfi_b32 v1, v1, 0, 0
	v_bfi_b32 v0, v0, 0, v34
	v_cmp_eq_u64_e64 s[20:21], v[0:1], v[26:27]
	v_lshrrev_b64 v[0:1], v16, v[34:35]
	v_mov_b32_e32 v2, v1
	v_mov_b32_e32 v1, v0
	s_and_saveexec_b64 s[92:93], s[20:21]
; %bb.1263:                             ;   in Loop: Header=BB4_127 Depth=2
	v_bfe_u32 v1, v0, 21, 1
	v_add_co_u32_e64 v1, s[20:21], v0, v1
	v_add_co_u32_e64 v1, s[20:21], -1, v1
; %bb.1264:                             ;   in Loop: Header=BB4_127 Depth=2
	s_or_b64 exec, exec, s[92:93]
	v_add_u32_e32 v2, 0xffffff81, v13
	v_mov_b32_e32 v13, 0xffffff82
	v_cndmask_b32_e32 v2, v2, v13, vcc
	v_lshrrev_b32_e32 v13, 23, v0
	v_add3_u32 v16, v16, v2, v13
	v_add_u32_e32 v13, 14, v16
	v_and_b32_e32 v1, 0x1fffff, v1
	v_add_u32_e32 v34, v1, v0
	v_cmp_ne_u32_e32 vcc, 0, v13
                                        ; implicit-def: $vgpr0_vgpr1
                                        ; implicit-def: $vgpr2
	s_and_saveexec_b64 s[20:21], vcc
	s_xor_b64 s[20:21], exec, s[20:21]
; %bb.1265:                             ;   in Loop: Header=BB4_127 Depth=2
	v_cmp_lt_u64_e32 vcc, s[72:73], v[34:35]
	v_add_u32_e32 v0, 15, v16
	v_cndmask_b32_e32 v2, v13, v0, vcc
	v_cndmask_b32_e64 v0, 0, 1, vcc
	v_lshrrev_b64 v[0:1], v0, v[34:35]
; %bb.1266:                             ;   in Loop: Header=BB4_127 Depth=2
	s_andn2_saveexec_b64 s[20:21], s[20:21]
; %bb.1267:                             ;   in Loop: Header=BB4_127 Depth=2
	v_mov_b32_e32 v0, v34
	v_bfe_u32 v2, v34, 23, 1
	v_mov_b32_e32 v1, v35
; %bb.1268:                             ;   in Loop: Header=BB4_127 Depth=2
	s_or_b64 exec, exec, s[20:21]
	v_lshrrev_b64 v[0:1], 21, v[0:1]
	v_cmp_gt_i32_e32 vcc, 32, v2
	v_cndmask_b32_e32 v1, 0, v1, vcc
	v_cndmask_b32_e32 v0, 3, v0, vcc
	v_cmp_eq_u64_e64 s[20:21], 0, v[0:1]
	v_min_i32_e32 v1, 31, v2
	v_lshlrev_b32_e32 v1, 2, v1
	v_cmp_eq_u32_e32 vcc, 0, v2
	v_and_b32_e32 v1, 0xfc, v1
	v_and_or_b32 v0, v0, 3, v1
	s_and_b64 s[20:21], vcc, s[20:21]
	v_cndmask_b32_e64 v0, v0, 0, s[20:21]
	v_or_b32_e32 v0, v0, v12
.LBB4_1269:                             ;   in Loop: Header=BB4_127 Depth=2
	s_or_b64 exec, exec, s[90:91]
                                        ; implicit-def: $vgpr12
.LBB4_1270:                             ;   in Loop: Header=BB4_127 Depth=2
	s_andn2_saveexec_b64 s[20:21], s[88:89]
; %bb.1271:                             ;   in Loop: Header=BB4_127 Depth=2
	v_or_b32_e32 v0, 0x7b, v12
; %bb.1272:                             ;   in Loop: Header=BB4_127 Depth=2
	s_or_b64 exec, exec, s[20:21]
                                        ; implicit-def: $vgpr1
.LBB4_1273:                             ;   in Loop: Header=BB4_127 Depth=2
	s_andn2_saveexec_b64 s[20:21], s[78:79]
	s_cbranch_execz .LBB4_126
; %bb.1274:                             ;   in Loop: Header=BB4_127 Depth=2
	v_cmp_ne_u64_e32 vcc, 0, v[34:35]
                                        ; implicit-def: $vgpr0
	s_and_saveexec_b64 s[78:79], vcc
	s_xor_b64 s[78:79], exec, s[78:79]
; %bb.1275:                             ;   in Loop: Header=BB4_127 Depth=2
	v_or_b32_sdwa v0, v1, s65 dst_sel:DWORD dst_unused:UNUSED_PAD src0_sel:BYTE_3 src1_sel:DWORD
                                        ; implicit-def: $vgpr1
; %bb.1276:                             ;   in Loop: Header=BB4_127 Depth=2
	s_andn2_saveexec_b64 s[78:79], s[78:79]
	s_cbranch_execz .LBB4_125
; %bb.1277:                             ;   in Loop: Header=BB4_127 Depth=2
	v_cmp_lt_i32_e32 vcc, -1, v1
	v_bfrev_b32_e32 v0, 0.5
	v_mov_b32_e32 v1, 0x7c
	v_cndmask_b32_e32 v0, v0, v1, vcc
	s_branch .LBB4_125
.LBB4_1278:                             ;   in Loop: Header=BB4_49 Depth=1
	s_or_b64 exec, exec, s[24:25]
	buffer_load_dword v44, off, s[0:3], s33 offset:180 ; 4-byte Folded Reload
	buffer_load_dword v60, off, s[0:3], s33 offset:168 ; 4-byte Folded Reload
	buffer_load_dword v61, off, s[0:3], s33 offset:172 ; 4-byte Folded Reload
	buffer_load_dword v47, off, s[0:3], s33 offset:184 ; 4-byte Folded Reload
	buffer_load_dword v56, off, s[0:3], s33 offset:176 ; 4-byte Folded Reload
	buffer_load_dword v45, off, s[0:3], s33 offset:212 ; 4-byte Folded Reload
	buffer_load_dword v46, off, s[0:3], s33 offset:216 ; 4-byte Folded Reload
	buffer_load_dword v57, off, s[0:3], s33 offset:220 ; 4-byte Folded Reload
	v_mov_b32_e32 v58, 1
	v_mov_b32_e32 v59, 0xc8
.LBB4_1279:                             ;   in Loop: Header=BB4_49 Depth=1
	s_or_b64 exec, exec, s[22:23]
	buffer_load_dword v0, off, s[0:3], s33 offset:148 ; 4-byte Folded Reload
	s_mov_b64 s[20:21], 0
	v_mov_b32_e32 v10, 0
                                        ; implicit-def: $vgpr11
                                        ; implicit-def: $vgpr12
	s_waitcnt vmcnt(0)
	v_and_b32_e32 v1, 0x3ffff800, v0
	v_cmp_ne_u32_e32 vcc, v0, v1
                                        ; implicit-def: $vgpr0
	s_and_saveexec_b64 s[78:79], vcc
	s_cbranch_execz .LBB4_1831
; %bb.1280:                             ;   in Loop: Header=BB4_49 Depth=1
	buffer_load_dword v11, off, s[0:3], s33 offset:148 ; 4-byte Folded Reload
	v_lshlrev_b32_e32 v0, 6, v3
	buffer_load_dword v3, off, s[0:3], s33 offset:232 ; 4-byte Folded Reload
	s_waitcnt vmcnt(1)
	v_and_b32_e32 v2, 0x7ff, v11
	v_and_b32_e32 v25, 0x3ff, v11
	s_waitcnt vmcnt(0)
	v_sub_u32_e32 v0, v3, v0
	v_ashrrev_i32_e32 v3, 31, v0
	v_lshrrev_b32_e32 v3, 26, v3
	v_add_u32_e32 v3, v0, v3
	v_ashrrev_i32_e32 v10, 6, v3
	v_and_b32_e32 v3, 0xffffffc0, v3
	v_sub_u32_e32 v4, v0, v3
	v_lshlrev_b32_e32 v0, 4, v4
	v_lshl_add_u32 v0, v10, 10, v0
	v_sub_u32_e32 v26, v2, v0
	v_bfe_u32 v2, v11, 10, 1
	v_cmp_lt_u32_e32 vcc, 15, v25
	v_addc_co_u32_e64 v2, s[20:21], 0, v2, vcc
	v_sub_u32_e32 v24, v2, v10
	v_cmp_lt_i32_e64 s[20:21], 15, v26
	s_and_saveexec_b64 s[88:89], s[20:21]
	s_cbranch_execz .LBB4_1828
; %bb.1281:                             ;   in Loop: Header=BB4_49 Depth=1
	v_add_u32_e32 v2, v0, v1
	s_trap 2
	ds_read_b64 v[0:1], v0
	buffer_load_dword v10, off, s[0:3], s33 offset:160 ; 4-byte Folded Reload
	buffer_load_dword v11, off, s[0:3], s33 offset:164 ; 4-byte Folded Reload
	v_ashrrev_i32_e32 v3, 31, v2
	s_mov_b64 s[90:91], 0
	s_waitcnt vmcnt(1)
	v_add_co_u32_e64 v18, s[20:21], v2, v10
	s_waitcnt vmcnt(0)
	v_addc_co_u32_e64 v19, s[20:21], v3, v11, s[20:21]
	s_waitcnt lgkmcnt(0)
	v_add_co_u32_e64 v20, s[20:21], v0, v2
	v_addc_co_u32_e64 v21, s[20:21], v1, v3, s[20:21]
	buffer_load_dword v0, off, s[0:3], s33 offset:188 ; 4-byte Folded Reload
	buffer_load_dword v1, off, s[0:3], s33 offset:192 ; 4-byte Folded Reload
	s_waitcnt vmcnt(1)
	v_add_co_u32_e64 v22, s[20:21], v2, v0
	s_waitcnt vmcnt(0)
	v_addc_co_u32_e64 v23, s[20:21], v3, v1, s[20:21]
	s_branch .LBB4_1284
.LBB4_1282:                             ;   in Loop: Header=BB4_1284 Depth=2
	s_or_b64 exec, exec, s[24:25]
.LBB4_1283:                             ;   in Loop: Header=BB4_1284 Depth=2
	s_or_b64 exec, exec, s[22:23]
	v_lshl_or_b32 v1, v48, 8, v31
	v_lshlrev_b32_e32 v2, 16, v49
	v_lshlrev_b32_e32 v10, 24, v10
	v_or3_b32 v13, v1, v2, v10
	v_lshl_or_b32 v1, v28, 8, v27
	v_lshlrev_b32_e32 v2, 16, v29
	v_lshlrev_b32_e32 v10, 24, v30
	v_or3_b32 v12, v1, v2, v10
	v_lshl_or_b32 v1, v14, 8, v11
	v_lshlrev_b32_e32 v2, 16, v15
	v_lshlrev_b32_e32 v10, 24, v50
	v_or3_b32 v14, v1, v2, v10
	v_lshlrev_b32_e32 v0, 24, v0
	v_lshlrev_b32_e32 v1, 16, v52
	v_lshl_or_b32 v2, v51, 8, v3
	v_or3_b32 v15, v2, v1, v0
	buffer_load_dword v0, off, s[0:3], s33 offset:84 ; 4-byte Folded Reload
	s_waitcnt vmcnt(0)
	v_add_co_u32_e64 v18, s[20:21], v18, v0
	v_addc_co_u32_e64 v19, s[20:21], 0, v19, s[20:21]
	v_add_co_u32_e64 v20, s[20:21], v20, v0
	v_addc_co_u32_e64 v21, s[20:21], 0, v21, s[20:21]
	global_store_dwordx4 v[22:23], v[12:15], off glc slc
	v_add_co_u32_e64 v22, s[20:21], v22, v0
	v_sub_u32_e32 v26, v26, v0
	buffer_load_dword v0, off, s[0:3], s33 offset:68 ; 4-byte Folded Reload
	v_addc_co_u32_e64 v23, s[20:21], 0, v23, s[20:21]
	v_cmp_gt_i32_e64 s[20:21], 16, v26
	s_or_b64 s[90:91], s[20:21], s[90:91]
	s_waitcnt vmcnt(0)
	v_sub_u32_e32 v24, v24, v0
	s_andn2_b64 exec, exec, s[90:91]
	s_cbranch_execz .LBB4_1827
.LBB4_1284:                             ;   Parent Loop BB4_49 Depth=1
                                        ; =>  This Inner Loop Header: Depth=2
	global_load_dwordx4 v[14:17], v[18:19], off glc slc
	global_load_dwordx4 v[10:13], v[20:21], off glc slc
	v_mov_b32_e32 v0, 0
	s_waitcnt vmcnt(1)
	v_cmp_ne_u16_sdwa s[20:21], v14, v35 src0_sel:BYTE_0 src1_sel:DWORD
	s_and_saveexec_b64 s[22:23], s[20:21]
	s_cbranch_execz .LBB4_1292
; %bb.1285:                             ;   in Loop: Header=BB4_1284 Depth=2
	v_cmp_ne_u16_sdwa s[20:21], sext(v14), s52 src0_sel:BYTE_0 src1_sel:DWORD
	v_bfrev_b32_e32 v0, 1
	s_and_saveexec_b64 s[24:25], s[20:21]
	s_cbranch_execz .LBB4_1291
; %bb.1286:                             ;   in Loop: Header=BB4_1284 Depth=2
	v_and_b32_e32 v0, 0x7c, v14
	v_and_b32_e32 v1, 3, v14
	v_cmp_ne_u32_e64 s[20:21], s53, v0
                                        ; implicit-def: $vgpr0
	s_and_saveexec_b64 s[92:93], s[20:21]
	s_xor_b64 s[92:93], exec, s[92:93]
	s_cbranch_execz .LBB4_1288
; %bb.1287:                             ;   in Loop: Header=BB4_1284 Depth=2
	v_ffbh_u32_e32 v2, v1
	v_min_u32_e32 v27, 32, v2
	v_subrev_u32_e32 v2, 29, v27
	v_lshlrev_b64 v[2:3], v2, v[14:15]
	v_bfe_u32 v0, v14, 2, 5
	v_and_b32_e32 v2, 3, v2
	v_cmp_eq_u32_e64 s[20:21], 0, v0
	v_sub_u32_e32 v3, 30, v27
	v_cndmask_b32_e64 v1, v1, v2, s[20:21]
	v_lshlrev_b32_e32 v2, 24, v14
	v_cndmask_b32_e64 v0, v0, v3, s[20:21]
	v_and_b32_e32 v2, 0x80000000, v2
	v_lshl_add_u32 v0, v0, 23, v2
	v_lshl_or_b32 v0, v1, 21, v0
	v_add_u32_e32 v0, 0x38000000, v0
                                        ; implicit-def: $vgpr1
.LBB4_1288:                             ;   in Loop: Header=BB4_1284 Depth=2
	s_andn2_saveexec_b64 s[92:93], s[92:93]
; %bb.1289:                             ;   in Loop: Header=BB4_1284 Depth=2
	v_mov_b32_e32 v0, -1
	v_cmp_gt_i16_sdwa s[20:21], sext(v14), v0 src0_sel:BYTE_0 src1_sel:DWORD
	v_cndmask_b32_e64 v0, v5, v36, s[20:21]
	v_cmp_eq_u32_e64 s[20:21], 0, v1
	v_cndmask_b32_e64 v0, v37, v0, s[20:21]
; %bb.1290:                             ;   in Loop: Header=BB4_1284 Depth=2
	s_or_b64 exec, exec, s[92:93]
.LBB4_1291:                             ;   in Loop: Header=BB4_1284 Depth=2
	s_or_b64 exec, exec, s[24:25]
.LBB4_1292:                             ;   in Loop: Header=BB4_1284 Depth=2
	s_or_b64 exec, exec, s[22:23]
	s_waitcnt vmcnt(0)
	v_cmp_gt_i16_sdwa s[22:23], v10, s65 src0_sel:BYTE_0 src1_sel:DWORD
	s_mov_b64 s[20:21], 0
	s_and_saveexec_b64 s[24:25], s[22:23]
	s_xor_b64 s[22:23], exec, s[24:25]
	s_cbranch_execz .LBB4_1807
; %bb.1293:                             ;   in Loop: Header=BB4_1284 Depth=2
	v_cmp_eq_u16_sdwa s[92:93], v10, s55 src0_sel:BYTE_0 src1_sel:DWORD
	s_mov_b64 s[20:21], -1
	s_and_saveexec_b64 s[24:25], s[92:93]
; %bb.1294:                             ;   in Loop: Header=BB4_1284 Depth=2
	s_xor_b64 s[20:21], exec, -1
; %bb.1295:                             ;   in Loop: Header=BB4_1284 Depth=2
	s_or_b64 exec, exec, s[24:25]
	s_and_b64 s[20:21], s[20:21], exec
	s_or_saveexec_b64 s[22:23], s[22:23]
	v_bfrev_b32_e32 v1, 1
	s_xor_b64 exec, exec, s[22:23]
	s_cbranch_execnz .LBB4_1808
.LBB4_1296:                             ;   in Loop: Header=BB4_1284 Depth=2
	s_or_b64 exec, exec, s[22:23]
	s_and_saveexec_b64 s[92:93], s[20:21]
	s_cbranch_execz .LBB4_1298
.LBB4_1297:                             ;   in Loop: Header=BB4_1284 Depth=2
	v_and_b32_e32 v3, 3, v10
	v_and_b32_e32 v1, 0x7c, v10
	v_cmp_eq_u32_e64 s[20:21], s53, v1
	v_ffbh_u32_e32 v1, v3
	v_min_u32_e32 v28, 32, v1
	v_subrev_u32_e32 v1, 29, v28
	v_bfe_u32 v27, v10, 2, 5
	v_lshlrev_b64 v[1:2], v1, v[10:11]
	v_cmp_eq_u32_e64 s[22:23], 0, v27
	v_sub_u32_e32 v2, 30, v28
	v_cndmask_b32_e64 v2, v27, v2, s[22:23]
	v_lshlrev_b32_e32 v27, 24, v10
	v_and_b32_e32 v1, 3, v1
	v_and_b32_e32 v27, 0x80000000, v27
	v_cndmask_b32_e64 v1, v3, v1, s[22:23]
	v_lshl_add_u32 v2, v2, 23, v27
	v_lshl_or_b32 v1, v1, 21, v2
	v_mov_b32_e32 v2, -1
	v_cmp_gt_i16_sdwa s[24:25], sext(v10), v2 src0_sel:BYTE_0 src1_sel:DWORD
	v_cmp_eq_u32_e64 s[22:23], 0, v3
	v_cndmask_b32_e64 v2, v5, v36, s[24:25]
	v_add_u32_e32 v1, 0x38000000, v1
	v_cndmask_b32_e64 v2, v37, v2, s[22:23]
	v_cndmask_b32_e64 v1, v1, v2, s[20:21]
.LBB4_1298:                             ;   in Loop: Header=BB4_1284 Depth=2
	s_or_b64 exec, exec, s[92:93]
	v_mul_f32_e32 v0, v0, v1
	v_and_b32_e32 v1, 0x7f800000, v0
	v_mov_b32_e32 v2, v35
	v_cmp_ne_u64_e64 s[20:21], s[60:61], v[1:2]
	v_and_b32_e32 v34, 0x7fffff, v0
                                        ; implicit-def: $vgpr27
	s_and_saveexec_b64 s[22:23], s[20:21]
	s_xor_b64 s[24:25], exec, s[22:23]
	s_cbranch_execz .LBB4_1312
; %bb.1299:                             ;   in Loop: Header=BB4_1284 Depth=2
	v_and_b32_e32 v1, 0x7fffffff, v0
	v_mov_b32_e32 v2, v35
	v_cmp_gt_u64_e64 s[20:21], s[62:63], v[1:2]
	v_and_b32_sdwa v3, v0, s55 dst_sel:DWORD dst_unused:UNUSED_PAD src0_sel:BYTE_3 src1_sel:DWORD
                                        ; implicit-def: $vgpr27
	s_and_saveexec_b64 s[22:23], s[20:21]
	s_xor_b64 s[92:93], exec, s[22:23]
	s_cbranch_execz .LBB4_1309
; %bb.1300:                             ;   in Loop: Header=BB4_1284 Depth=2
	v_mov_b32_e32 v27, 0
	v_cmp_ne_u32_e64 s[20:21], 0, v0
	s_and_saveexec_b64 s[94:95], s[20:21]
	s_cbranch_execz .LBB4_1308
; %bb.1301:                             ;   in Loop: Header=BB4_1284 Depth=2
	v_bfe_u32 v27, v0, 23, 8
	v_cmp_gt_u32_e64 s[22:23], s64, v27
	v_sub_u32_e32 v0, 0x71, v27
	v_cmp_eq_u32_e64 s[20:21], 0, v27
	v_cndmask_b32_e64 v0, 0, v0, s[22:23]
	v_mov_b32_e32 v2, 0x70
	v_cndmask_b32_e64 v28, v0, v2, s[20:21]
	v_or_b32_e32 v1, 0x800000, v34
	v_add_u32_e32 v0, 21, v28
	v_cndmask_b32_e64 v34, v1, v34, s[20:21]
	v_lshlrev_b64 v[0:1], v0, -1
	v_add_u32_e32 v2, 20, v28
	v_lshlrev_b64 v[29:30], v2, 1
	v_bfi_b32 v1, v1, 0, 0
	v_bfi_b32 v0, v0, 0, v34
	v_cmp_eq_u64_e64 s[22:23], v[0:1], v[29:30]
	v_lshrrev_b64 v[0:1], v28, v[34:35]
	v_mov_b32_e32 v2, v1
	v_mov_b32_e32 v1, v0
	s_and_saveexec_b64 s[30:31], s[22:23]
; %bb.1302:                             ;   in Loop: Header=BB4_1284 Depth=2
	v_bfe_u32 v1, v0, 21, 1
	v_add_co_u32_e64 v1, s[22:23], v0, v1
	v_add_co_u32_e64 v1, s[22:23], -1, v1
; %bb.1303:                             ;   in Loop: Header=BB4_1284 Depth=2
	s_or_b64 exec, exec, s[30:31]
	v_add_u32_e32 v2, 0xffffff81, v27
	v_mov_b32_e32 v27, 0xffffff82
	v_cndmask_b32_e64 v2, v2, v27, s[20:21]
	v_lshrrev_b32_e32 v27, 23, v0
	v_add3_u32 v28, v28, v2, v27
	v_add_u32_e32 v27, 14, v28
	v_and_b32_e32 v1, 0x1fffff, v1
	v_add_u32_e32 v34, v1, v0
	v_cmp_ne_u32_e64 s[20:21], 0, v27
                                        ; implicit-def: $vgpr0_vgpr1
                                        ; implicit-def: $vgpr2
	s_and_saveexec_b64 s[22:23], s[20:21]
	s_xor_b64 s[22:23], exec, s[22:23]
; %bb.1304:                             ;   in Loop: Header=BB4_1284 Depth=2
	v_cmp_lt_u64_e64 s[20:21], s[72:73], v[34:35]
	v_add_u32_e32 v0, 15, v28
	v_cndmask_b32_e64 v2, v27, v0, s[20:21]
	v_cndmask_b32_e64 v0, 0, 1, s[20:21]
	v_lshrrev_b64 v[0:1], v0, v[34:35]
; %bb.1305:                             ;   in Loop: Header=BB4_1284 Depth=2
	s_andn2_saveexec_b64 s[20:21], s[22:23]
; %bb.1306:                             ;   in Loop: Header=BB4_1284 Depth=2
	v_mov_b32_e32 v0, v34
	v_bfe_u32 v2, v34, 23, 1
	v_mov_b32_e32 v1, v35
; %bb.1307:                             ;   in Loop: Header=BB4_1284 Depth=2
	s_or_b64 exec, exec, s[20:21]
	v_lshrrev_b64 v[0:1], 21, v[0:1]
	v_cmp_gt_i32_e64 s[20:21], 32, v2
	v_cndmask_b32_e64 v1, 0, v1, s[20:21]
	v_cndmask_b32_e64 v0, 3, v0, s[20:21]
	v_cmp_eq_u64_e64 s[22:23], 0, v[0:1]
	v_min_i32_e32 v1, 31, v2
	v_lshlrev_b32_e32 v1, 2, v1
	v_cmp_eq_u32_e64 s[20:21], 0, v2
	v_and_b32_e32 v1, 0xfc, v1
	v_and_or_b32 v0, v0, 3, v1
	s_and_b64 s[20:21], s[20:21], s[22:23]
	v_cndmask_b32_e64 v0, v0, 0, s[20:21]
	v_or_b32_e32 v27, v0, v3
.LBB4_1308:                             ;   in Loop: Header=BB4_1284 Depth=2
	s_or_b64 exec, exec, s[94:95]
                                        ; implicit-def: $vgpr3
.LBB4_1309:                             ;   in Loop: Header=BB4_1284 Depth=2
	s_andn2_saveexec_b64 s[20:21], s[92:93]
; %bb.1310:                             ;   in Loop: Header=BB4_1284 Depth=2
	v_or_b32_e32 v27, 0x7b, v3
; %bb.1311:                             ;   in Loop: Header=BB4_1284 Depth=2
	s_or_b64 exec, exec, s[20:21]
                                        ; implicit-def: $vgpr0
.LBB4_1312:                             ;   in Loop: Header=BB4_1284 Depth=2
	s_andn2_saveexec_b64 s[22:23], s[24:25]
	s_cbranch_execz .LBB4_1318
; %bb.1313:                             ;   in Loop: Header=BB4_1284 Depth=2
	v_cmp_ne_u64_e64 s[20:21], 0, v[34:35]
                                        ; implicit-def: $vgpr27
	s_and_saveexec_b64 s[24:25], s[20:21]
	s_xor_b64 s[20:21], exec, s[24:25]
; %bb.1314:                             ;   in Loop: Header=BB4_1284 Depth=2
	v_or_b32_sdwa v27, v0, s65 dst_sel:DWORD dst_unused:UNUSED_PAD src0_sel:BYTE_3 src1_sel:DWORD
                                        ; implicit-def: $vgpr0
; %bb.1315:                             ;   in Loop: Header=BB4_1284 Depth=2
	s_andn2_saveexec_b64 s[24:25], s[20:21]
; %bb.1316:                             ;   in Loop: Header=BB4_1284 Depth=2
	v_cmp_lt_i32_e64 s[20:21], -1, v0
	v_bfrev_b32_e32 v0, 0.5
	v_mov_b32_e32 v1, 0x7c
	v_cndmask_b32_e64 v27, v0, v1, s[20:21]
; %bb.1317:                             ;   in Loop: Header=BB4_1284 Depth=2
	s_or_b64 exec, exec, s[24:25]
.LBB4_1318:                             ;   in Loop: Header=BB4_1284 Depth=2
	s_or_b64 exec, exec, s[22:23]
	v_lshrrev_b16_e32 v34, 8, v14
	v_cmp_ne_u16_e64 s[20:21], 0, v34
	v_mov_b32_e32 v0, 0
	s_and_saveexec_b64 s[22:23], s[20:21]
	s_cbranch_execz .LBB4_1326
; %bb.1319:                             ;   in Loop: Header=BB4_1284 Depth=2
	v_cmp_ne_u16_e64 s[20:21], s55, v34
	v_bfrev_b32_e32 v0, 1
	s_and_saveexec_b64 s[24:25], s[20:21]
	s_cbranch_execz .LBB4_1325
; %bb.1320:                             ;   in Loop: Header=BB4_1284 Depth=2
	v_and_b32_e32 v0, 0x7c, v34
	v_and_b32_e32 v1, 3, v34
	v_cmp_ne_u32_e64 s[20:21], s53, v0
                                        ; implicit-def: $vgpr0
	s_and_saveexec_b64 s[92:93], s[20:21]
	s_xor_b64 s[92:93], exec, s[92:93]
	s_cbranch_execz .LBB4_1322
; %bb.1321:                             ;   in Loop: Header=BB4_1284 Depth=2
	v_ffbh_u32_e32 v2, v1
	v_min_u32_e32 v28, 32, v2
	v_subrev_u32_e32 v2, 29, v28
	v_lshlrev_b64 v[2:3], v2, v[34:35]
	v_bfe_u32 v0, v34, 2, 5
	v_and_b32_e32 v2, 3, v2
	v_cmp_eq_u32_e64 s[20:21], 0, v0
	v_sub_u32_e32 v3, 30, v28
	v_cndmask_b32_e64 v1, v1, v2, s[20:21]
	v_lshlrev_b32_e32 v2, 16, v14
	v_cndmask_b32_e64 v0, v0, v3, s[20:21]
	v_and_b32_e32 v2, 0x80000000, v2
	v_lshl_add_u32 v0, v0, 23, v2
	v_lshl_or_b32 v0, v1, 21, v0
	v_add_u32_e32 v0, 0x38000000, v0
                                        ; implicit-def: $vgpr1
.LBB4_1322:                             ;   in Loop: Header=BB4_1284 Depth=2
	s_andn2_saveexec_b64 s[92:93], s[92:93]
; %bb.1323:                             ;   in Loop: Header=BB4_1284 Depth=2
	v_cmp_lt_i16_e64 s[20:21], -1, v14
	v_cndmask_b32_e64 v0, v5, v36, s[20:21]
	v_cmp_eq_u32_e64 s[20:21], 0, v1
	v_cndmask_b32_e64 v0, v37, v0, s[20:21]
; %bb.1324:                             ;   in Loop: Header=BB4_1284 Depth=2
	s_or_b64 exec, exec, s[92:93]
.LBB4_1325:                             ;   in Loop: Header=BB4_1284 Depth=2
	s_or_b64 exec, exec, s[24:25]
.LBB4_1326:                             ;   in Loop: Header=BB4_1284 Depth=2
	s_or_b64 exec, exec, s[22:23]
	v_lshrrev_b16_e32 v34, 8, v10
	v_cmp_lt_i16_e64 s[20:21], s65, v34
	s_mov_b64 s[22:23], 0
	s_and_saveexec_b64 s[24:25], s[20:21]
	s_xor_b64 s[24:25], exec, s[24:25]
	s_cbranch_execz .LBB4_1809
; %bb.1327:                             ;   in Loop: Header=BB4_1284 Depth=2
	v_cmp_eq_u16_e64 s[20:21], s55, v34
	s_mov_b64 s[22:23], -1
	s_and_saveexec_b64 s[92:93], s[20:21]
; %bb.1328:                             ;   in Loop: Header=BB4_1284 Depth=2
	s_xor_b64 s[22:23], exec, -1
; %bb.1329:                             ;   in Loop: Header=BB4_1284 Depth=2
	s_or_b64 exec, exec, s[92:93]
	s_and_b64 s[22:23], s[22:23], exec
	s_or_saveexec_b64 s[24:25], s[24:25]
	v_bfrev_b32_e32 v1, 1
	s_xor_b64 exec, exec, s[24:25]
	s_cbranch_execnz .LBB4_1810
.LBB4_1330:                             ;   in Loop: Header=BB4_1284 Depth=2
	s_or_b64 exec, exec, s[24:25]
	s_and_saveexec_b64 s[92:93], s[22:23]
	s_cbranch_execz .LBB4_1332
.LBB4_1331:                             ;   in Loop: Header=BB4_1284 Depth=2
	v_and_b32_e32 v3, 3, v34
	v_and_b32_e32 v1, 0x7c, v34
	v_cmp_eq_u32_e64 s[20:21], s53, v1
	v_ffbh_u32_e32 v1, v3
	v_min_u32_e32 v29, 32, v1
	v_subrev_u32_e32 v1, 29, v29
	v_bfe_u32 v28, v34, 2, 5
	v_lshlrev_b64 v[1:2], v1, v[34:35]
	v_cmp_eq_u32_e64 s[22:23], 0, v28
	v_sub_u32_e32 v2, 30, v29
	v_cndmask_b32_e64 v2, v28, v2, s[22:23]
	v_lshlrev_b32_e32 v28, 24, v34
	v_and_b32_e32 v1, 3, v1
	v_and_b32_e32 v28, 0x80000000, v28
	v_cndmask_b32_e64 v1, v3, v1, s[22:23]
	v_lshl_add_u32 v2, v2, 23, v28
	v_cmp_lt_i16_e64 s[24:25], -1, v10
	v_lshl_or_b32 v1, v1, 21, v2
	v_cmp_eq_u32_e64 s[22:23], 0, v3
	v_cndmask_b32_e64 v2, v5, v36, s[24:25]
	v_add_u32_e32 v1, 0x38000000, v1
	v_cndmask_b32_e64 v2, v37, v2, s[22:23]
	v_cndmask_b32_e64 v1, v1, v2, s[20:21]
.LBB4_1332:                             ;   in Loop: Header=BB4_1284 Depth=2
	s_or_b64 exec, exec, s[92:93]
	v_mul_f32_e32 v0, v0, v1
	v_and_b32_e32 v1, 0x7f800000, v0
	v_mov_b32_e32 v2, v35
	v_cmp_ne_u64_e64 s[20:21], s[60:61], v[1:2]
	v_and_b32_e32 v34, 0x7fffff, v0
                                        ; implicit-def: $vgpr28
	s_and_saveexec_b64 s[22:23], s[20:21]
	s_xor_b64 s[24:25], exec, s[22:23]
	s_cbranch_execz .LBB4_1346
; %bb.1333:                             ;   in Loop: Header=BB4_1284 Depth=2
	v_and_b32_e32 v1, 0x7fffffff, v0
	v_mov_b32_e32 v2, v35
	v_cmp_gt_u64_e64 s[20:21], s[62:63], v[1:2]
	v_and_b32_sdwa v3, v0, s55 dst_sel:DWORD dst_unused:UNUSED_PAD src0_sel:BYTE_3 src1_sel:DWORD
                                        ; implicit-def: $vgpr28
	s_and_saveexec_b64 s[22:23], s[20:21]
	s_xor_b64 s[92:93], exec, s[22:23]
	s_cbranch_execz .LBB4_1343
; %bb.1334:                             ;   in Loop: Header=BB4_1284 Depth=2
	v_mov_b32_e32 v28, 0
	v_cmp_ne_u32_e64 s[20:21], 0, v0
	s_and_saveexec_b64 s[94:95], s[20:21]
	s_cbranch_execz .LBB4_1342
; %bb.1335:                             ;   in Loop: Header=BB4_1284 Depth=2
	v_bfe_u32 v28, v0, 23, 8
	v_cmp_gt_u32_e64 s[22:23], s64, v28
	v_sub_u32_e32 v0, 0x71, v28
	v_cmp_eq_u32_e64 s[20:21], 0, v28
	v_cndmask_b32_e64 v0, 0, v0, s[22:23]
	v_mov_b32_e32 v2, 0x70
	v_cndmask_b32_e64 v29, v0, v2, s[20:21]
	v_or_b32_e32 v1, 0x800000, v34
	v_add_u32_e32 v0, 21, v29
	v_cndmask_b32_e64 v34, v1, v34, s[20:21]
	v_lshlrev_b64 v[0:1], v0, -1
	v_add_u32_e32 v2, 20, v29
	v_lshlrev_b64 v[30:31], v2, 1
	v_bfi_b32 v1, v1, 0, 0
	v_bfi_b32 v0, v0, 0, v34
	v_cmp_eq_u64_e64 s[22:23], v[0:1], v[30:31]
	v_lshrrev_b64 v[0:1], v29, v[34:35]
	v_mov_b32_e32 v2, v1
	v_mov_b32_e32 v1, v0
	s_and_saveexec_b64 s[30:31], s[22:23]
; %bb.1336:                             ;   in Loop: Header=BB4_1284 Depth=2
	v_bfe_u32 v1, v0, 21, 1
	v_add_co_u32_e64 v1, s[22:23], v0, v1
	v_add_co_u32_e64 v1, s[22:23], -1, v1
; %bb.1337:                             ;   in Loop: Header=BB4_1284 Depth=2
	s_or_b64 exec, exec, s[30:31]
	v_add_u32_e32 v2, 0xffffff81, v28
	v_mov_b32_e32 v28, 0xffffff82
	v_cndmask_b32_e64 v2, v2, v28, s[20:21]
	v_lshrrev_b32_e32 v28, 23, v0
	v_add3_u32 v29, v29, v2, v28
	v_add_u32_e32 v28, 14, v29
	v_and_b32_e32 v1, 0x1fffff, v1
	v_add_u32_e32 v34, v1, v0
	v_cmp_ne_u32_e64 s[20:21], 0, v28
                                        ; implicit-def: $vgpr0_vgpr1
                                        ; implicit-def: $vgpr2
	s_and_saveexec_b64 s[22:23], s[20:21]
	s_xor_b64 s[22:23], exec, s[22:23]
; %bb.1338:                             ;   in Loop: Header=BB4_1284 Depth=2
	v_cmp_lt_u64_e64 s[20:21], s[72:73], v[34:35]
	v_add_u32_e32 v0, 15, v29
	v_cndmask_b32_e64 v2, v28, v0, s[20:21]
	v_cndmask_b32_e64 v0, 0, 1, s[20:21]
	v_lshrrev_b64 v[0:1], v0, v[34:35]
; %bb.1339:                             ;   in Loop: Header=BB4_1284 Depth=2
	s_andn2_saveexec_b64 s[20:21], s[22:23]
; %bb.1340:                             ;   in Loop: Header=BB4_1284 Depth=2
	v_mov_b32_e32 v0, v34
	v_bfe_u32 v2, v34, 23, 1
	v_mov_b32_e32 v1, v35
; %bb.1341:                             ;   in Loop: Header=BB4_1284 Depth=2
	s_or_b64 exec, exec, s[20:21]
	v_lshrrev_b64 v[0:1], 21, v[0:1]
	v_cmp_gt_i32_e64 s[20:21], 32, v2
	v_cndmask_b32_e64 v1, 0, v1, s[20:21]
	v_cndmask_b32_e64 v0, 3, v0, s[20:21]
	v_cmp_eq_u64_e64 s[22:23], 0, v[0:1]
	v_min_i32_e32 v1, 31, v2
	v_lshlrev_b32_e32 v1, 2, v1
	v_cmp_eq_u32_e64 s[20:21], 0, v2
	v_and_b32_e32 v1, 0xfc, v1
	v_and_or_b32 v0, v0, 3, v1
	s_and_b64 s[20:21], s[20:21], s[22:23]
	v_cndmask_b32_e64 v0, v0, 0, s[20:21]
	v_or_b32_e32 v28, v0, v3
.LBB4_1342:                             ;   in Loop: Header=BB4_1284 Depth=2
	s_or_b64 exec, exec, s[94:95]
                                        ; implicit-def: $vgpr3
.LBB4_1343:                             ;   in Loop: Header=BB4_1284 Depth=2
	s_andn2_saveexec_b64 s[20:21], s[92:93]
; %bb.1344:                             ;   in Loop: Header=BB4_1284 Depth=2
	v_or_b32_e32 v28, 0x7b, v3
; %bb.1345:                             ;   in Loop: Header=BB4_1284 Depth=2
	s_or_b64 exec, exec, s[20:21]
                                        ; implicit-def: $vgpr0
.LBB4_1346:                             ;   in Loop: Header=BB4_1284 Depth=2
	s_andn2_saveexec_b64 s[22:23], s[24:25]
	s_cbranch_execz .LBB4_1352
; %bb.1347:                             ;   in Loop: Header=BB4_1284 Depth=2
	v_cmp_ne_u64_e64 s[20:21], 0, v[34:35]
                                        ; implicit-def: $vgpr28
	s_and_saveexec_b64 s[24:25], s[20:21]
	s_xor_b64 s[20:21], exec, s[24:25]
; %bb.1348:                             ;   in Loop: Header=BB4_1284 Depth=2
	v_or_b32_sdwa v28, v0, s65 dst_sel:DWORD dst_unused:UNUSED_PAD src0_sel:BYTE_3 src1_sel:DWORD
                                        ; implicit-def: $vgpr0
; %bb.1349:                             ;   in Loop: Header=BB4_1284 Depth=2
	s_andn2_saveexec_b64 s[24:25], s[20:21]
; %bb.1350:                             ;   in Loop: Header=BB4_1284 Depth=2
	v_cmp_lt_i32_e64 s[20:21], -1, v0
	v_bfrev_b32_e32 v0, 0.5
	v_mov_b32_e32 v1, 0x7c
	v_cndmask_b32_e64 v28, v0, v1, s[20:21]
; %bb.1351:                             ;   in Loop: Header=BB4_1284 Depth=2
	s_or_b64 exec, exec, s[24:25]
.LBB4_1352:                             ;   in Loop: Header=BB4_1284 Depth=2
	s_or_b64 exec, exec, s[22:23]
	v_lshrrev_b32_e32 v0, 16, v14
	v_cmp_ne_u16_sdwa s[20:21], v0, v35 src0_sel:BYTE_0 src1_sel:DWORD
	v_mov_b32_e32 v1, 0
	s_and_saveexec_b64 s[22:23], s[20:21]
	s_cbranch_execz .LBB4_1360
; %bb.1353:                             ;   in Loop: Header=BB4_1284 Depth=2
	v_cmp_ne_u16_sdwa s[20:21], v0, s55 src0_sel:BYTE_0 src1_sel:DWORD
	v_bfrev_b32_e32 v1, 1
	s_and_saveexec_b64 s[24:25], s[20:21]
	s_cbranch_execz .LBB4_1359
; %bb.1354:                             ;   in Loop: Header=BB4_1284 Depth=2
	v_and_b32_e32 v1, 0x7c0000, v14
	v_bfe_u32 v2, v14, 16, 2
	v_cmp_ne_u32_e64 s[20:21], s66, v1
                                        ; implicit-def: $vgpr1
	s_and_saveexec_b64 s[92:93], s[20:21]
	s_xor_b64 s[92:93], exec, s[92:93]
	s_cbranch_execz .LBB4_1356
; %bb.1355:                             ;   in Loop: Header=BB4_1284 Depth=2
	v_ffbh_u32_e32 v1, v2
	v_min_u32_e32 v29, 32, v1
	v_subrev_u32_e32 v1, 29, v29
	v_lshlrev_b64 v[0:1], v1, v[0:1]
	v_bfe_u32 v3, v14, 18, 5
	v_and_b32_e32 v0, 3, v0
	v_cmp_eq_u32_e64 s[20:21], 0, v3
	v_sub_u32_e32 v1, 30, v29
	v_cndmask_b32_e64 v0, v2, v0, s[20:21]
	v_lshlrev_b32_e32 v2, 8, v14
	v_cndmask_b32_e64 v1, v3, v1, s[20:21]
	v_and_b32_e32 v2, 0x80000000, v2
	v_lshl_add_u32 v1, v1, 23, v2
	v_lshl_or_b32 v0, v0, 21, v1
	v_add_u32_e32 v1, 0x38000000, v0
                                        ; implicit-def: $vgpr2
                                        ; implicit-def: $vgpr0
.LBB4_1356:                             ;   in Loop: Header=BB4_1284 Depth=2
	s_andn2_saveexec_b64 s[92:93], s[92:93]
; %bb.1357:                             ;   in Loop: Header=BB4_1284 Depth=2
	v_mov_b32_e32 v1, -1
	v_cmp_gt_i16_sdwa s[20:21], sext(v0), v1 src0_sel:BYTE_0 src1_sel:DWORD
	v_cndmask_b32_e64 v0, v5, v36, s[20:21]
	v_cmp_eq_u32_e64 s[20:21], 0, v2
	v_cndmask_b32_e64 v1, v37, v0, s[20:21]
; %bb.1358:                             ;   in Loop: Header=BB4_1284 Depth=2
	s_or_b64 exec, exec, s[92:93]
.LBB4_1359:                             ;   in Loop: Header=BB4_1284 Depth=2
	s_or_b64 exec, exec, s[24:25]
.LBB4_1360:                             ;   in Loop: Header=BB4_1284 Depth=2
	s_or_b64 exec, exec, s[22:23]
	v_lshrrev_b32_e32 v0, 16, v10
	v_cmp_gt_i16_sdwa s[22:23], v0, s65 src0_sel:BYTE_0 src1_sel:DWORD
	s_mov_b64 s[20:21], 0
	s_and_saveexec_b64 s[24:25], s[22:23]
	s_xor_b64 s[22:23], exec, s[24:25]
	s_cbranch_execz .LBB4_1811
; %bb.1361:                             ;   in Loop: Header=BB4_1284 Depth=2
	v_cmp_eq_u16_sdwa s[92:93], v0, s55 src0_sel:BYTE_0 src1_sel:DWORD
	s_mov_b64 s[20:21], -1
	s_and_saveexec_b64 s[24:25], s[92:93]
; %bb.1362:                             ;   in Loop: Header=BB4_1284 Depth=2
	s_xor_b64 s[20:21], exec, -1
; %bb.1363:                             ;   in Loop: Header=BB4_1284 Depth=2
	s_or_b64 exec, exec, s[24:25]
	s_and_b64 s[20:21], s[20:21], exec
	s_or_saveexec_b64 s[22:23], s[22:23]
	v_bfrev_b32_e32 v2, 1
	s_xor_b64 exec, exec, s[22:23]
	s_cbranch_execnz .LBB4_1812
.LBB4_1364:                             ;   in Loop: Header=BB4_1284 Depth=2
	s_or_b64 exec, exec, s[22:23]
	s_and_saveexec_b64 s[92:93], s[20:21]
	s_cbranch_execz .LBB4_1366
.LBB4_1365:                             ;   in Loop: Header=BB4_1284 Depth=2
	v_and_b32_e32 v29, 3, v0
	v_and_b32_e32 v2, 0x7c0000, v10
	v_cmp_eq_u32_e64 s[20:21], s66, v2
	v_ffbh_u32_e32 v2, v29
	v_min_u32_e32 v31, 32, v2
	v_subrev_u32_e32 v2, 29, v31
	v_bfe_u32 v30, v10, 18, 5
	v_lshlrev_b64 v[2:3], v2, v[0:1]
	v_cmp_eq_u32_e64 s[22:23], 0, v30
	v_sub_u32_e32 v3, 30, v31
	v_cndmask_b32_e64 v3, v30, v3, s[22:23]
	v_lshlrev_b32_e32 v30, 24, v0
	v_and_b32_e32 v2, 3, v2
	v_and_b32_e32 v30, 0x80000000, v30
	v_cndmask_b32_e64 v2, v29, v2, s[22:23]
	v_lshl_add_u32 v3, v3, 23, v30
	v_lshl_or_b32 v2, v2, 21, v3
	v_mov_b32_e32 v3, -1
	v_cmp_gt_i16_sdwa s[24:25], sext(v0), v3 src0_sel:BYTE_0 src1_sel:DWORD
	v_cmp_eq_u32_e64 s[22:23], 0, v29
	v_cndmask_b32_e64 v0, v5, v36, s[24:25]
	v_add_u32_e32 v2, 0x38000000, v2
	v_cndmask_b32_e64 v0, v37, v0, s[22:23]
	v_cndmask_b32_e64 v2, v2, v0, s[20:21]
.LBB4_1366:                             ;   in Loop: Header=BB4_1284 Depth=2
	s_or_b64 exec, exec, s[92:93]
	v_mul_f32_e32 v0, v1, v2
	v_and_b32_e32 v1, 0x7f800000, v0
	v_mov_b32_e32 v2, v35
	v_cmp_ne_u64_e64 s[20:21], s[60:61], v[1:2]
	v_and_b32_e32 v34, 0x7fffff, v0
                                        ; implicit-def: $vgpr29
	s_and_saveexec_b64 s[22:23], s[20:21]
	s_xor_b64 s[24:25], exec, s[22:23]
	s_cbranch_execz .LBB4_1380
; %bb.1367:                             ;   in Loop: Header=BB4_1284 Depth=2
	v_and_b32_e32 v1, 0x7fffffff, v0
	v_mov_b32_e32 v2, v35
	v_cmp_gt_u64_e64 s[20:21], s[62:63], v[1:2]
	v_and_b32_sdwa v3, v0, s55 dst_sel:DWORD dst_unused:UNUSED_PAD src0_sel:BYTE_3 src1_sel:DWORD
                                        ; implicit-def: $vgpr29
	s_and_saveexec_b64 s[22:23], s[20:21]
	s_xor_b64 s[92:93], exec, s[22:23]
	s_cbranch_execz .LBB4_1377
; %bb.1368:                             ;   in Loop: Header=BB4_1284 Depth=2
	v_mov_b32_e32 v29, 0
	v_cmp_ne_u32_e64 s[20:21], 0, v0
	s_and_saveexec_b64 s[94:95], s[20:21]
	s_cbranch_execz .LBB4_1376
; %bb.1369:                             ;   in Loop: Header=BB4_1284 Depth=2
	v_bfe_u32 v29, v0, 23, 8
	v_cmp_gt_u32_e64 s[22:23], s64, v29
	v_sub_u32_e32 v0, 0x71, v29
	v_cmp_eq_u32_e64 s[20:21], 0, v29
	v_cndmask_b32_e64 v0, 0, v0, s[22:23]
	v_mov_b32_e32 v2, 0x70
	v_cndmask_b32_e64 v30, v0, v2, s[20:21]
	v_or_b32_e32 v1, 0x800000, v34
	v_add_u32_e32 v0, 21, v30
	v_cndmask_b32_e64 v34, v1, v34, s[20:21]
	v_lshlrev_b64 v[0:1], v0, -1
	v_add_u32_e32 v2, 20, v30
	v_lshlrev_b64 v[48:49], v2, 1
	v_bfi_b32 v1, v1, 0, 0
	v_bfi_b32 v0, v0, 0, v34
	v_cmp_eq_u64_e64 s[22:23], v[0:1], v[48:49]
	v_lshrrev_b64 v[0:1], v30, v[34:35]
	v_mov_b32_e32 v2, v1
	v_mov_b32_e32 v1, v0
	s_and_saveexec_b64 s[30:31], s[22:23]
; %bb.1370:                             ;   in Loop: Header=BB4_1284 Depth=2
	v_bfe_u32 v1, v0, 21, 1
	v_add_co_u32_e64 v1, s[22:23], v0, v1
	v_add_co_u32_e64 v1, s[22:23], -1, v1
; %bb.1371:                             ;   in Loop: Header=BB4_1284 Depth=2
	s_or_b64 exec, exec, s[30:31]
	v_add_u32_e32 v2, 0xffffff81, v29
	v_mov_b32_e32 v29, 0xffffff82
	v_cndmask_b32_e64 v2, v2, v29, s[20:21]
	v_lshrrev_b32_e32 v29, 23, v0
	v_add3_u32 v30, v30, v2, v29
	v_add_u32_e32 v29, 14, v30
	v_and_b32_e32 v1, 0x1fffff, v1
	v_add_u32_e32 v34, v1, v0
	v_cmp_ne_u32_e64 s[20:21], 0, v29
                                        ; implicit-def: $vgpr0_vgpr1
                                        ; implicit-def: $vgpr2
	s_and_saveexec_b64 s[22:23], s[20:21]
	s_xor_b64 s[22:23], exec, s[22:23]
; %bb.1372:                             ;   in Loop: Header=BB4_1284 Depth=2
	v_cmp_lt_u64_e64 s[20:21], s[72:73], v[34:35]
	v_add_u32_e32 v0, 15, v30
	v_cndmask_b32_e64 v2, v29, v0, s[20:21]
	v_cndmask_b32_e64 v0, 0, 1, s[20:21]
	v_lshrrev_b64 v[0:1], v0, v[34:35]
; %bb.1373:                             ;   in Loop: Header=BB4_1284 Depth=2
	s_andn2_saveexec_b64 s[20:21], s[22:23]
; %bb.1374:                             ;   in Loop: Header=BB4_1284 Depth=2
	v_mov_b32_e32 v0, v34
	v_bfe_u32 v2, v34, 23, 1
	v_mov_b32_e32 v1, v35
; %bb.1375:                             ;   in Loop: Header=BB4_1284 Depth=2
	s_or_b64 exec, exec, s[20:21]
	v_lshrrev_b64 v[0:1], 21, v[0:1]
	v_cmp_gt_i32_e64 s[20:21], 32, v2
	v_cndmask_b32_e64 v1, 0, v1, s[20:21]
	v_cndmask_b32_e64 v0, 3, v0, s[20:21]
	v_cmp_eq_u64_e64 s[22:23], 0, v[0:1]
	v_min_i32_e32 v1, 31, v2
	v_lshlrev_b32_e32 v1, 2, v1
	v_cmp_eq_u32_e64 s[20:21], 0, v2
	v_and_b32_e32 v1, 0xfc, v1
	v_and_or_b32 v0, v0, 3, v1
	s_and_b64 s[20:21], s[20:21], s[22:23]
	v_cndmask_b32_e64 v0, v0, 0, s[20:21]
	v_or_b32_e32 v29, v0, v3
.LBB4_1376:                             ;   in Loop: Header=BB4_1284 Depth=2
	s_or_b64 exec, exec, s[94:95]
                                        ; implicit-def: $vgpr3
.LBB4_1377:                             ;   in Loop: Header=BB4_1284 Depth=2
	s_andn2_saveexec_b64 s[20:21], s[92:93]
; %bb.1378:                             ;   in Loop: Header=BB4_1284 Depth=2
	v_or_b32_e32 v29, 0x7b, v3
; %bb.1379:                             ;   in Loop: Header=BB4_1284 Depth=2
	s_or_b64 exec, exec, s[20:21]
                                        ; implicit-def: $vgpr0
.LBB4_1380:                             ;   in Loop: Header=BB4_1284 Depth=2
	s_andn2_saveexec_b64 s[22:23], s[24:25]
	s_cbranch_execz .LBB4_1386
; %bb.1381:                             ;   in Loop: Header=BB4_1284 Depth=2
	v_cmp_ne_u64_e64 s[20:21], 0, v[34:35]
                                        ; implicit-def: $vgpr29
	s_and_saveexec_b64 s[24:25], s[20:21]
	s_xor_b64 s[20:21], exec, s[24:25]
; %bb.1382:                             ;   in Loop: Header=BB4_1284 Depth=2
	v_or_b32_sdwa v29, v0, s65 dst_sel:DWORD dst_unused:UNUSED_PAD src0_sel:BYTE_3 src1_sel:DWORD
                                        ; implicit-def: $vgpr0
; %bb.1383:                             ;   in Loop: Header=BB4_1284 Depth=2
	s_andn2_saveexec_b64 s[24:25], s[20:21]
; %bb.1384:                             ;   in Loop: Header=BB4_1284 Depth=2
	v_cmp_lt_i32_e64 s[20:21], -1, v0
	v_bfrev_b32_e32 v0, 0.5
	v_mov_b32_e32 v1, 0x7c
	v_cndmask_b32_e64 v29, v0, v1, s[20:21]
; %bb.1385:                             ;   in Loop: Header=BB4_1284 Depth=2
	s_or_b64 exec, exec, s[24:25]
.LBB4_1386:                             ;   in Loop: Header=BB4_1284 Depth=2
	s_or_b64 exec, exec, s[22:23]
	v_cmp_lt_u32_e64 s[20:21], s59, v14
	v_mov_b32_e32 v1, 0
	s_and_saveexec_b64 s[22:23], s[20:21]
	s_cbranch_execz .LBB4_1394
; %bb.1387:                             ;   in Loop: Header=BB4_1284 Depth=2
	v_lshrrev_b32_e32 v0, 24, v14
	v_cmp_ne_u32_e64 s[20:21], s55, v0
	v_bfrev_b32_e32 v1, 1
	s_and_saveexec_b64 s[24:25], s[20:21]
	s_cbranch_execz .LBB4_1393
; %bb.1388:                             ;   in Loop: Header=BB4_1284 Depth=2
	v_and_b32_e32 v1, 0x7c000000, v14
	v_bfe_u32 v2, v14, 24, 2
	v_cmp_ne_u32_e64 s[20:21], s67, v1
                                        ; implicit-def: $vgpr1
	s_and_saveexec_b64 s[92:93], s[20:21]
	s_xor_b64 s[92:93], exec, s[92:93]
	s_cbranch_execz .LBB4_1390
; %bb.1389:                             ;   in Loop: Header=BB4_1284 Depth=2
	v_ffbh_u32_e32 v1, v2
	v_min_u32_e32 v30, 32, v1
	v_subrev_u32_e32 v1, 29, v30
	v_lshlrev_b64 v[0:1], v1, v[0:1]
	v_bfe_u32 v3, v14, 26, 5
	v_sub_u32_e32 v1, 30, v30
	v_and_b32_e32 v0, 3, v0
	v_cmp_eq_u32_e64 s[20:21], 0, v3
	v_cndmask_b32_e64 v1, v3, v1, s[20:21]
	v_cndmask_b32_e64 v0, v2, v0, s[20:21]
	v_and_b32_e32 v2, 0x80000000, v14
	v_lshl_add_u32 v1, v1, 23, v2
	v_lshl_or_b32 v0, v0, 21, v1
	v_add_u32_e32 v1, 0x38000000, v0
                                        ; implicit-def: $vgpr2
.LBB4_1390:                             ;   in Loop: Header=BB4_1284 Depth=2
	s_andn2_saveexec_b64 s[92:93], s[92:93]
; %bb.1391:                             ;   in Loop: Header=BB4_1284 Depth=2
	v_cmp_lt_i32_e64 s[20:21], -1, v14
	v_cndmask_b32_e64 v0, v5, v36, s[20:21]
	v_cmp_eq_u32_e64 s[20:21], 0, v2
	v_cndmask_b32_e64 v1, v37, v0, s[20:21]
; %bb.1392:                             ;   in Loop: Header=BB4_1284 Depth=2
	s_or_b64 exec, exec, s[92:93]
.LBB4_1393:                             ;   in Loop: Header=BB4_1284 Depth=2
	s_or_b64 exec, exec, s[24:25]
.LBB4_1394:                             ;   in Loop: Header=BB4_1284 Depth=2
	s_or_b64 exec, exec, s[22:23]
	v_bfe_u32 v30, v10, 24, 2
	v_and_b32_e32 v2, 0x7c000000, v10
	v_cmp_eq_u32_e64 s[20:21], s67, v2
	v_ffbh_u32_e32 v2, v30
	v_min_u32_e32 v34, 32, v2
	v_lshrrev_b32_e32 v0, 24, v10
	v_subrev_u32_e32 v2, 29, v34
	v_bfe_u32 v31, v10, 26, 5
	v_lshlrev_b64 v[2:3], v2, v[0:1]
	v_cmp_eq_u32_e64 s[22:23], 0, v31
	v_sub_u32_e32 v3, 30, v34
	v_and_b32_e32 v2, 3, v2
	v_cndmask_b32_e64 v3, v31, v3, s[22:23]
	v_and_b32_e32 v31, 0x80000000, v10
	v_cndmask_b32_e64 v2, v30, v2, s[22:23]
	v_lshl_add_u32 v3, v3, 23, v31
	v_cmp_lt_i32_e64 s[24:25], -1, v10
	v_lshl_or_b32 v2, v2, 21, v3
	v_cmp_eq_u32_e64 s[22:23], 0, v30
	v_cndmask_b32_e64 v3, v5, v36, s[24:25]
	v_add_u32_e32 v2, 0x38000000, v2
	v_cndmask_b32_e64 v3, v37, v3, s[22:23]
	v_cndmask_b32_e64 v2, v2, v3, s[20:21]
	v_cmp_ne_u32_e64 s[20:21], s55, v0
	v_bfrev_b32_e32 v0, 1
	v_cndmask_b32_e64 v0, v0, v2, s[20:21]
	v_cmp_lt_u32_e64 s[20:21], s59, v10
	v_cndmask_b32_e64 v0, 0, v0, s[20:21]
	v_mul_f32_e32 v0, v0, v1
	v_and_b32_e32 v1, 0x7f800000, v0
	v_mov_b32_e32 v2, v35
	v_cmp_ne_u64_e64 s[20:21], s[60:61], v[1:2]
	v_and_b32_e32 v34, 0x7fffff, v0
                                        ; implicit-def: $vgpr30
	s_and_saveexec_b64 s[22:23], s[20:21]
	s_xor_b64 s[24:25], exec, s[22:23]
	s_cbranch_execz .LBB4_1408
; %bb.1395:                             ;   in Loop: Header=BB4_1284 Depth=2
	v_and_b32_e32 v1, 0x7fffffff, v0
	v_mov_b32_e32 v2, v35
	v_cmp_gt_u64_e64 s[20:21], s[62:63], v[1:2]
	v_and_b32_sdwa v3, v0, s55 dst_sel:DWORD dst_unused:UNUSED_PAD src0_sel:BYTE_3 src1_sel:DWORD
                                        ; implicit-def: $vgpr30
	s_and_saveexec_b64 s[22:23], s[20:21]
	s_xor_b64 s[92:93], exec, s[22:23]
	s_cbranch_execz .LBB4_1405
; %bb.1396:                             ;   in Loop: Header=BB4_1284 Depth=2
	v_mov_b32_e32 v30, 0
	v_cmp_ne_u32_e64 s[20:21], 0, v0
	s_and_saveexec_b64 s[94:95], s[20:21]
	s_cbranch_execz .LBB4_1404
; %bb.1397:                             ;   in Loop: Header=BB4_1284 Depth=2
	v_bfe_u32 v30, v0, 23, 8
	v_cmp_gt_u32_e64 s[22:23], s64, v30
	v_sub_u32_e32 v0, 0x71, v30
	v_cmp_eq_u32_e64 s[20:21], 0, v30
	v_cndmask_b32_e64 v0, 0, v0, s[22:23]
	v_mov_b32_e32 v2, 0x70
	v_cndmask_b32_e64 v31, v0, v2, s[20:21]
	v_or_b32_e32 v1, 0x800000, v34
	v_add_u32_e32 v0, 21, v31
	v_cndmask_b32_e64 v34, v1, v34, s[20:21]
	v_lshlrev_b64 v[0:1], v0, -1
	v_add_u32_e32 v2, 20, v31
	v_lshlrev_b64 v[48:49], v2, 1
	v_bfi_b32 v1, v1, 0, 0
	v_bfi_b32 v0, v0, 0, v34
	v_cmp_eq_u64_e64 s[22:23], v[0:1], v[48:49]
	v_lshrrev_b64 v[0:1], v31, v[34:35]
	v_mov_b32_e32 v2, v1
	v_mov_b32_e32 v1, v0
	s_and_saveexec_b64 s[30:31], s[22:23]
; %bb.1398:                             ;   in Loop: Header=BB4_1284 Depth=2
	v_bfe_u32 v1, v0, 21, 1
	v_add_co_u32_e64 v1, s[22:23], v0, v1
	v_add_co_u32_e64 v1, s[22:23], -1, v1
; %bb.1399:                             ;   in Loop: Header=BB4_1284 Depth=2
	s_or_b64 exec, exec, s[30:31]
	v_add_u32_e32 v2, 0xffffff81, v30
	v_mov_b32_e32 v30, 0xffffff82
	v_cndmask_b32_e64 v2, v2, v30, s[20:21]
	v_lshrrev_b32_e32 v30, 23, v0
	v_add3_u32 v31, v31, v2, v30
	v_add_u32_e32 v30, 14, v31
	v_and_b32_e32 v1, 0x1fffff, v1
	v_add_u32_e32 v34, v1, v0
	v_cmp_ne_u32_e64 s[20:21], 0, v30
                                        ; implicit-def: $vgpr0_vgpr1
                                        ; implicit-def: $vgpr2
	s_and_saveexec_b64 s[22:23], s[20:21]
	s_xor_b64 s[22:23], exec, s[22:23]
; %bb.1400:                             ;   in Loop: Header=BB4_1284 Depth=2
	v_cmp_lt_u64_e64 s[20:21], s[72:73], v[34:35]
	v_add_u32_e32 v0, 15, v31
	v_cndmask_b32_e64 v2, v30, v0, s[20:21]
	v_cndmask_b32_e64 v0, 0, 1, s[20:21]
	v_lshrrev_b64 v[0:1], v0, v[34:35]
; %bb.1401:                             ;   in Loop: Header=BB4_1284 Depth=2
	s_andn2_saveexec_b64 s[20:21], s[22:23]
; %bb.1402:                             ;   in Loop: Header=BB4_1284 Depth=2
	v_mov_b32_e32 v0, v34
	v_bfe_u32 v2, v34, 23, 1
	v_mov_b32_e32 v1, v35
; %bb.1403:                             ;   in Loop: Header=BB4_1284 Depth=2
	s_or_b64 exec, exec, s[20:21]
	v_lshrrev_b64 v[0:1], 21, v[0:1]
	v_cmp_gt_i32_e64 s[20:21], 32, v2
	v_cndmask_b32_e64 v1, 0, v1, s[20:21]
	v_cndmask_b32_e64 v0, 3, v0, s[20:21]
	v_cmp_eq_u64_e64 s[22:23], 0, v[0:1]
	v_min_i32_e32 v1, 31, v2
	v_lshlrev_b32_e32 v1, 2, v1
	v_cmp_eq_u32_e64 s[20:21], 0, v2
	v_and_b32_e32 v1, 0xfc, v1
	v_and_or_b32 v0, v0, 3, v1
	s_and_b64 s[20:21], s[20:21], s[22:23]
	v_cndmask_b32_e64 v0, v0, 0, s[20:21]
	v_or_b32_e32 v30, v0, v3
.LBB4_1404:                             ;   in Loop: Header=BB4_1284 Depth=2
	s_or_b64 exec, exec, s[94:95]
                                        ; implicit-def: $vgpr3
.LBB4_1405:                             ;   in Loop: Header=BB4_1284 Depth=2
	s_andn2_saveexec_b64 s[20:21], s[92:93]
; %bb.1406:                             ;   in Loop: Header=BB4_1284 Depth=2
	v_or_b32_e32 v30, 0x7b, v3
; %bb.1407:                             ;   in Loop: Header=BB4_1284 Depth=2
	s_or_b64 exec, exec, s[20:21]
                                        ; implicit-def: $vgpr0
.LBB4_1408:                             ;   in Loop: Header=BB4_1284 Depth=2
	s_andn2_saveexec_b64 s[22:23], s[24:25]
	s_cbranch_execz .LBB4_1414
; %bb.1409:                             ;   in Loop: Header=BB4_1284 Depth=2
	v_cmp_ne_u64_e64 s[20:21], 0, v[34:35]
                                        ; implicit-def: $vgpr30
	s_and_saveexec_b64 s[24:25], s[20:21]
	s_xor_b64 s[20:21], exec, s[24:25]
; %bb.1410:                             ;   in Loop: Header=BB4_1284 Depth=2
	v_or_b32_sdwa v30, v0, s65 dst_sel:DWORD dst_unused:UNUSED_PAD src0_sel:BYTE_3 src1_sel:DWORD
                                        ; implicit-def: $vgpr0
; %bb.1411:                             ;   in Loop: Header=BB4_1284 Depth=2
	s_andn2_saveexec_b64 s[24:25], s[20:21]
; %bb.1412:                             ;   in Loop: Header=BB4_1284 Depth=2
	v_cmp_lt_i32_e64 s[20:21], -1, v0
	v_bfrev_b32_e32 v0, 0.5
	v_mov_b32_e32 v1, 0x7c
	v_cndmask_b32_e64 v30, v0, v1, s[20:21]
; %bb.1413:                             ;   in Loop: Header=BB4_1284 Depth=2
	s_or_b64 exec, exec, s[24:25]
.LBB4_1414:                             ;   in Loop: Header=BB4_1284 Depth=2
	s_or_b64 exec, exec, s[22:23]
	v_mov_b32_e32 v34, v15
	v_cmp_ne_u16_sdwa s[20:21], v15, v35 src0_sel:BYTE_0 src1_sel:DWORD
	v_mov_b32_e32 v2, 0
	s_and_saveexec_b64 s[22:23], s[20:21]
	s_cbranch_execz .LBB4_1422
; %bb.1415:                             ;   in Loop: Header=BB4_1284 Depth=2
	v_cmp_ne_u16_sdwa s[20:21], v15, s55 src0_sel:BYTE_0 src1_sel:DWORD
	v_bfrev_b32_e32 v2, 1
	s_and_saveexec_b64 s[24:25], s[20:21]
	s_cbranch_execz .LBB4_1421
; %bb.1416:                             ;   in Loop: Header=BB4_1284 Depth=2
	v_and_b32_e32 v1, 0x7c, v15
	v_and_b32_e32 v0, 3, v15
	v_cmp_ne_u32_e64 s[20:21], s53, v1
                                        ; implicit-def: $vgpr2
	s_and_saveexec_b64 s[92:93], s[20:21]
	s_xor_b64 s[92:93], exec, s[92:93]
	s_cbranch_execz .LBB4_1418
; %bb.1417:                             ;   in Loop: Header=BB4_1284 Depth=2
	v_ffbh_u32_e32 v1, v0
	v_min_u32_e32 v31, 32, v1
	v_subrev_u32_e32 v1, 29, v31
	v_lshlrev_b64 v[1:2], v1, v[34:35]
	v_bfe_u32 v3, v15, 2, 5
	v_and_b32_e32 v1, 3, v1
	v_cmp_eq_u32_e64 s[20:21], 0, v3
	v_sub_u32_e32 v2, 30, v31
	v_cndmask_b32_e64 v0, v0, v1, s[20:21]
	v_lshlrev_b32_e32 v1, 24, v15
	v_cndmask_b32_e64 v2, v3, v2, s[20:21]
	v_and_b32_e32 v1, 0x80000000, v1
	v_lshl_add_u32 v1, v2, 23, v1
	v_lshl_or_b32 v0, v0, 21, v1
	v_add_u32_e32 v2, 0x38000000, v0
                                        ; implicit-def: $vgpr0
.LBB4_1418:                             ;   in Loop: Header=BB4_1284 Depth=2
	s_andn2_saveexec_b64 s[92:93], s[92:93]
; %bb.1419:                             ;   in Loop: Header=BB4_1284 Depth=2
	v_mov_b32_e32 v1, -1
	v_cmp_gt_i16_sdwa s[20:21], sext(v15), v1 src0_sel:BYTE_0 src1_sel:DWORD
	v_cndmask_b32_e64 v1, v5, v36, s[20:21]
	v_cmp_eq_u32_e64 s[20:21], 0, v0
	v_cndmask_b32_e64 v2, v37, v1, s[20:21]
; %bb.1420:                             ;   in Loop: Header=BB4_1284 Depth=2
	s_or_b64 exec, exec, s[92:93]
.LBB4_1421:                             ;   in Loop: Header=BB4_1284 Depth=2
	s_or_b64 exec, exec, s[24:25]
.LBB4_1422:                             ;   in Loop: Header=BB4_1284 Depth=2
	s_or_b64 exec, exec, s[22:23]
	v_cmp_gt_i16_sdwa s[22:23], v11, s65 src0_sel:BYTE_0 src1_sel:DWORD
	s_mov_b64 s[20:21], 0
	s_and_saveexec_b64 s[24:25], s[22:23]
	s_xor_b64 s[22:23], exec, s[24:25]
	s_cbranch_execz .LBB4_1426
; %bb.1423:                             ;   in Loop: Header=BB4_1284 Depth=2
	v_cmp_eq_u16_sdwa s[92:93], v11, s55 src0_sel:BYTE_0 src1_sel:DWORD
	s_mov_b64 s[20:21], -1
	s_and_saveexec_b64 s[24:25], s[92:93]
; %bb.1424:                             ;   in Loop: Header=BB4_1284 Depth=2
	s_xor_b64 s[20:21], exec, -1
; %bb.1425:                             ;   in Loop: Header=BB4_1284 Depth=2
	s_or_b64 exec, exec, s[24:25]
	s_and_b64 s[20:21], s[20:21], exec
.LBB4_1426:                             ;   in Loop: Header=BB4_1284 Depth=2
	s_or_saveexec_b64 s[22:23], s[22:23]
	v_bfrev_b32_e32 v3, 1
	s_xor_b64 exec, exec, s[22:23]
; %bb.1427:                             ;   in Loop: Header=BB4_1284 Depth=2
	v_cmp_ne_u16_sdwa s[24:25], v11, v35 src0_sel:BYTE_0 src1_sel:DWORD
	s_andn2_b64 s[20:21], s[20:21], exec
	s_and_b64 s[24:25], s[24:25], exec
	v_mov_b32_e32 v3, 0
	s_or_b64 s[20:21], s[20:21], s[24:25]
; %bb.1428:                             ;   in Loop: Header=BB4_1284 Depth=2
	s_or_b64 exec, exec, s[22:23]
	v_mov_b32_e32 v0, v11
	v_mov_b32_e32 v1, v35
	s_and_saveexec_b64 s[92:93], s[20:21]
	s_cbranch_execz .LBB4_1430
; %bb.1429:                             ;   in Loop: Header=BB4_1284 Depth=2
	v_and_b32_e32 v3, 3, v11
	v_and_b32_e32 v48, 0x7c, v11
	v_cmp_eq_u32_e64 s[20:21], s53, v48
	v_ffbh_u32_e32 v48, v3
	v_min_u32_e32 v50, 32, v48
	v_subrev_u32_e32 v48, 29, v50
	v_lshlrev_b64 v[48:49], v48, v[0:1]
	v_bfe_u32 v31, v11, 2, 5
	v_cmp_eq_u32_e64 s[22:23], 0, v31
	v_sub_u32_e32 v1, 30, v50
	v_and_b32_e32 v48, 3, v48
	v_cndmask_b32_e64 v1, v31, v1, s[22:23]
	v_cndmask_b32_e64 v31, v3, v48, s[22:23]
	v_lshlrev_b32_e32 v48, 24, v11
	v_and_b32_e32 v48, 0x80000000, v48
	v_cmp_eq_u32_e64 s[22:23], 0, v3
	v_mov_b32_e32 v3, -1
	v_lshl_add_u32 v1, v1, 23, v48
	v_cmp_gt_i16_sdwa s[24:25], sext(v11), v3 src0_sel:BYTE_0 src1_sel:DWORD
	v_lshl_or_b32 v1, v31, 21, v1
	v_cndmask_b32_e64 v3, v5, v36, s[24:25]
	v_add_u32_e32 v1, 0x38000000, v1
	v_cndmask_b32_e64 v3, v37, v3, s[22:23]
	v_cndmask_b32_e64 v3, v1, v3, s[20:21]
.LBB4_1430:                             ;   in Loop: Header=BB4_1284 Depth=2
	s_or_b64 exec, exec, s[92:93]
	v_mul_f32_e32 v3, v2, v3
	v_and_b32_e32 v48, 0x7f800000, v3
	v_mov_b32_e32 v49, v35
	v_cmp_ne_u64_e64 s[20:21], s[60:61], v[48:49]
	v_and_b32_e32 v1, 0x7fffff, v3
	v_mov_b32_e32 v2, v35
                                        ; implicit-def: $vgpr31
	s_and_saveexec_b64 s[22:23], s[20:21]
	s_xor_b64 s[24:25], exec, s[22:23]
	s_cbranch_execz .LBB4_1444
; %bb.1431:                             ;   in Loop: Header=BB4_1284 Depth=2
	v_and_b32_e32 v48, 0x7fffffff, v3
	v_mov_b32_e32 v49, v35
	v_cmp_gt_u64_e64 s[20:21], s[62:63], v[48:49]
	v_and_b32_sdwa v48, v3, s55 dst_sel:DWORD dst_unused:UNUSED_PAD src0_sel:BYTE_3 src1_sel:DWORD
                                        ; implicit-def: $vgpr31
	s_and_saveexec_b64 s[22:23], s[20:21]
	s_xor_b64 s[92:93], exec, s[22:23]
	s_cbranch_execz .LBB4_1441
; %bb.1432:                             ;   in Loop: Header=BB4_1284 Depth=2
	v_mov_b32_e32 v31, 0
	v_cmp_ne_u32_e64 s[20:21], 0, v3
	s_and_saveexec_b64 s[94:95], s[20:21]
	s_cbranch_execz .LBB4_1440
; %bb.1433:                             ;   in Loop: Header=BB4_1284 Depth=2
	v_bfe_u32 v31, v3, 23, 8
	v_cmp_gt_u32_e64 s[22:23], s64, v31
	v_sub_u32_e32 v3, 0x71, v31
	v_cmp_eq_u32_e64 s[20:21], 0, v31
	v_cndmask_b32_e64 v3, 0, v3, s[22:23]
	v_mov_b32_e32 v49, 0x70
	v_cndmask_b32_e64 v49, v3, v49, s[20:21]
	v_or_b32_e32 v50, 0x800000, v1
	v_add_u32_e32 v3, 21, v49
	v_cndmask_b32_e64 v1, v50, v1, s[20:21]
	v_lshlrev_b64 v[50:51], v3, -1
	v_add_u32_e32 v3, 20, v49
	v_bfi_b32 v50, v50, 0, v1
	v_lshlrev_b64 v[52:53], v3, 1
	v_lshrrev_b64 v[1:2], v49, v[1:2]
	v_bfi_b32 v51, v51, 0, 0
	v_cmp_eq_u64_e64 s[22:23], v[50:51], v[52:53]
	v_mov_b32_e32 v3, v2
	v_mov_b32_e32 v2, v1
	s_and_saveexec_b64 s[30:31], s[22:23]
; %bb.1434:                             ;   in Loop: Header=BB4_1284 Depth=2
	v_bfe_u32 v2, v1, 21, 1
	v_add_co_u32_e64 v2, s[22:23], v1, v2
	v_add_co_u32_e64 v2, s[22:23], -1, v2
; %bb.1435:                             ;   in Loop: Header=BB4_1284 Depth=2
	s_or_b64 exec, exec, s[30:31]
	v_add_u32_e32 v3, 0xffffff81, v31
	v_mov_b32_e32 v31, 0xffffff82
	v_cndmask_b32_e64 v3, v3, v31, s[20:21]
	v_lshrrev_b32_e32 v31, 23, v1
	v_add3_u32 v49, v49, v3, v31
	v_add_u32_e32 v31, 14, v49
	v_and_b32_e32 v2, 0x1fffff, v2
	v_add_u32_e32 v1, v2, v1
	v_mov_b32_e32 v2, v35
	v_cmp_ne_u32_e64 s[20:21], 0, v31
                                        ; implicit-def: $vgpr3
	s_and_saveexec_b64 s[22:23], s[20:21]
	s_xor_b64 s[22:23], exec, s[22:23]
; %bb.1436:                             ;   in Loop: Header=BB4_1284 Depth=2
	v_cmp_lt_u64_e64 s[20:21], s[72:73], v[1:2]
	v_add_u32_e32 v3, 15, v49
	v_cndmask_b32_e64 v3, v31, v3, s[20:21]
	v_cndmask_b32_e64 v31, 0, 1, s[20:21]
	v_lshrrev_b64 v[1:2], v31, v[1:2]
; %bb.1437:                             ;   in Loop: Header=BB4_1284 Depth=2
	s_andn2_saveexec_b64 s[20:21], s[22:23]
; %bb.1438:                             ;   in Loop: Header=BB4_1284 Depth=2
	v_bfe_u32 v3, v1, 23, 1
; %bb.1439:                             ;   in Loop: Header=BB4_1284 Depth=2
	s_or_b64 exec, exec, s[20:21]
	v_lshrrev_b64 v[1:2], 21, v[1:2]
	v_cmp_gt_i32_e64 s[20:21], 32, v3
	v_cndmask_b32_e64 v2, 0, v2, s[20:21]
	v_cndmask_b32_e64 v1, 3, v1, s[20:21]
	v_cmp_eq_u64_e64 s[22:23], 0, v[1:2]
	v_min_i32_e32 v2, 31, v3
	v_lshlrev_b32_e32 v2, 2, v2
	v_cmp_eq_u32_e64 s[20:21], 0, v3
	v_and_b32_e32 v2, 0xfc, v2
	v_and_or_b32 v1, v1, 3, v2
	s_and_b64 s[20:21], s[20:21], s[22:23]
	v_cndmask_b32_e64 v1, v1, 0, s[20:21]
	v_or_b32_e32 v31, v1, v48
.LBB4_1440:                             ;   in Loop: Header=BB4_1284 Depth=2
	s_or_b64 exec, exec, s[94:95]
                                        ; implicit-def: $vgpr48
.LBB4_1441:                             ;   in Loop: Header=BB4_1284 Depth=2
	s_andn2_saveexec_b64 s[20:21], s[92:93]
; %bb.1442:                             ;   in Loop: Header=BB4_1284 Depth=2
	v_or_b32_e32 v31, 0x7b, v48
; %bb.1443:                             ;   in Loop: Header=BB4_1284 Depth=2
	s_or_b64 exec, exec, s[20:21]
                                        ; implicit-def: $vgpr3
                                        ; implicit-def: $vgpr1_vgpr2
.LBB4_1444:                             ;   in Loop: Header=BB4_1284 Depth=2
	s_andn2_saveexec_b64 s[22:23], s[24:25]
	s_cbranch_execz .LBB4_1450
; %bb.1445:                             ;   in Loop: Header=BB4_1284 Depth=2
	v_cmp_ne_u64_e64 s[20:21], 0, v[1:2]
                                        ; implicit-def: $vgpr31
	s_and_saveexec_b64 s[24:25], s[20:21]
	s_xor_b64 s[20:21], exec, s[24:25]
; %bb.1446:                             ;   in Loop: Header=BB4_1284 Depth=2
	v_or_b32_sdwa v31, v3, s65 dst_sel:DWORD dst_unused:UNUSED_PAD src0_sel:BYTE_3 src1_sel:DWORD
                                        ; implicit-def: $vgpr3
; %bb.1447:                             ;   in Loop: Header=BB4_1284 Depth=2
	s_andn2_saveexec_b64 s[24:25], s[20:21]
; %bb.1448:                             ;   in Loop: Header=BB4_1284 Depth=2
	v_cmp_lt_i32_e64 s[20:21], -1, v3
	v_bfrev_b32_e32 v1, 0.5
	v_mov_b32_e32 v2, 0x7c
	v_cndmask_b32_e64 v31, v1, v2, s[20:21]
; %bb.1449:                             ;   in Loop: Header=BB4_1284 Depth=2
	s_or_b64 exec, exec, s[24:25]
.LBB4_1450:                             ;   in Loop: Header=BB4_1284 Depth=2
	s_or_b64 exec, exec, s[22:23]
	v_lshrrev_b16_e32 v1, 8, v34
	v_cmp_ne_u16_e64 s[20:21], 0, v1
	v_mov_b32_e32 v2, 0
	s_and_saveexec_b64 s[22:23], s[20:21]
	s_cbranch_execz .LBB4_1458
; %bb.1451:                             ;   in Loop: Header=BB4_1284 Depth=2
	v_cmp_ne_u16_e64 s[20:21], s55, v1
	v_bfrev_b32_e32 v2, 1
	s_and_saveexec_b64 s[24:25], s[20:21]
	s_cbranch_execz .LBB4_1457
; %bb.1452:                             ;   in Loop: Header=BB4_1284 Depth=2
	v_and_b32_e32 v2, 0x7c, v1
	v_and_b32_e32 v3, 3, v1
	v_cmp_ne_u32_e64 s[20:21], s53, v2
                                        ; implicit-def: $vgpr2
	s_and_saveexec_b64 s[92:93], s[20:21]
	s_xor_b64 s[92:93], exec, s[92:93]
	s_cbranch_execz .LBB4_1454
; %bb.1453:                             ;   in Loop: Header=BB4_1284 Depth=2
	v_ffbh_u32_e32 v49, v3
	v_min_u32_e32 v49, 32, v49
	v_mov_b32_e32 v2, v35
	v_subrev_u32_e32 v50, 29, v49
	v_bfe_u32 v48, v1, 2, 5
	v_lshlrev_b64 v[1:2], v50, v[1:2]
	v_cmp_eq_u32_e64 s[20:21], 0, v48
	v_and_b32_e32 v1, 3, v1
	v_sub_u32_e32 v2, 30, v49
	v_cndmask_b32_e64 v1, v3, v1, s[20:21]
	v_lshlrev_b32_e32 v3, 16, v34
	v_cndmask_b32_e64 v2, v48, v2, s[20:21]
	v_and_b32_e32 v3, 0x80000000, v3
	v_lshl_add_u32 v2, v2, 23, v3
	v_lshl_or_b32 v1, v1, 21, v2
	v_add_u32_e32 v2, 0x38000000, v1
                                        ; implicit-def: $vgpr3
.LBB4_1454:                             ;   in Loop: Header=BB4_1284 Depth=2
	s_andn2_saveexec_b64 s[92:93], s[92:93]
; %bb.1455:                             ;   in Loop: Header=BB4_1284 Depth=2
	v_cmp_lt_i16_e64 s[20:21], -1, v34
	v_cndmask_b32_e64 v1, v5, v36, s[20:21]
	v_cmp_eq_u32_e64 s[20:21], 0, v3
	v_cndmask_b32_e64 v2, v37, v1, s[20:21]
; %bb.1456:                             ;   in Loop: Header=BB4_1284 Depth=2
	s_or_b64 exec, exec, s[92:93]
.LBB4_1457:                             ;   in Loop: Header=BB4_1284 Depth=2
	s_or_b64 exec, exec, s[24:25]
.LBB4_1458:                             ;   in Loop: Header=BB4_1284 Depth=2
	s_or_b64 exec, exec, s[22:23]
	v_lshrrev_b16_e32 v34, 8, v0
	v_cmp_lt_i16_e64 s[20:21], s65, v34
	s_mov_b64 s[22:23], 0
	s_and_saveexec_b64 s[24:25], s[20:21]
	s_xor_b64 s[24:25], exec, s[24:25]
	s_cbranch_execz .LBB4_1813
; %bb.1459:                             ;   in Loop: Header=BB4_1284 Depth=2
	v_cmp_eq_u16_e64 s[20:21], s55, v34
	s_mov_b64 s[22:23], -1
	s_and_saveexec_b64 s[92:93], s[20:21]
; %bb.1460:                             ;   in Loop: Header=BB4_1284 Depth=2
	s_xor_b64 s[22:23], exec, -1
; %bb.1461:                             ;   in Loop: Header=BB4_1284 Depth=2
	s_or_b64 exec, exec, s[92:93]
	s_and_b64 s[22:23], s[22:23], exec
	s_or_saveexec_b64 s[24:25], s[24:25]
	v_bfrev_b32_e32 v1, 1
	s_xor_b64 exec, exec, s[24:25]
	s_cbranch_execnz .LBB4_1814
.LBB4_1462:                             ;   in Loop: Header=BB4_1284 Depth=2
	s_or_b64 exec, exec, s[24:25]
	s_and_saveexec_b64 s[92:93], s[22:23]
	s_cbranch_execz .LBB4_1464
.LBB4_1463:                             ;   in Loop: Header=BB4_1284 Depth=2
	v_and_b32_e32 v1, 3, v34
	v_and_b32_e32 v48, 0x7c, v34
	v_cmp_eq_u32_e64 s[20:21], s53, v48
	v_ffbh_u32_e32 v48, v1
	v_min_u32_e32 v50, 32, v48
	v_subrev_u32_e32 v48, 29, v50
	v_bfe_u32 v3, v34, 2, 5
	v_lshlrev_b64 v[48:49], v48, v[34:35]
	v_cmp_eq_u32_e64 s[22:23], 0, v3
	v_sub_u32_e32 v49, 30, v50
	v_lshlrev_b32_e32 v34, 24, v34
	v_and_b32_e32 v48, 3, v48
	v_cndmask_b32_e64 v3, v3, v49, s[22:23]
	v_and_b32_e32 v34, 0x80000000, v34
	v_cndmask_b32_e64 v48, v1, v48, s[22:23]
	v_lshl_add_u32 v3, v3, 23, v34
	v_cmp_lt_i16_e64 s[24:25], -1, v0
	v_lshl_or_b32 v3, v48, 21, v3
	v_cmp_eq_u32_e64 s[22:23], 0, v1
	v_cndmask_b32_e64 v0, v5, v36, s[24:25]
	v_add_u32_e32 v3, 0x38000000, v3
	v_cndmask_b32_e64 v0, v37, v0, s[22:23]
	v_cndmask_b32_e64 v1, v3, v0, s[20:21]
.LBB4_1464:                             ;   in Loop: Header=BB4_1284 Depth=2
	s_or_b64 exec, exec, s[92:93]
	v_mul_f32_e32 v0, v2, v1
	v_and_b32_e32 v1, 0x7f800000, v0
	v_mov_b32_e32 v2, v35
	v_cmp_ne_u64_e64 s[20:21], s[60:61], v[1:2]
	v_and_b32_e32 v34, 0x7fffff, v0
                                        ; implicit-def: $vgpr48
	s_and_saveexec_b64 s[22:23], s[20:21]
	s_xor_b64 s[24:25], exec, s[22:23]
	s_cbranch_execz .LBB4_1478
; %bb.1465:                             ;   in Loop: Header=BB4_1284 Depth=2
	v_and_b32_e32 v1, 0x7fffffff, v0
	v_mov_b32_e32 v2, v35
	v_cmp_gt_u64_e64 s[20:21], s[62:63], v[1:2]
	v_and_b32_sdwa v3, v0, s55 dst_sel:DWORD dst_unused:UNUSED_PAD src0_sel:BYTE_3 src1_sel:DWORD
                                        ; implicit-def: $vgpr48
	s_and_saveexec_b64 s[22:23], s[20:21]
	s_xor_b64 s[92:93], exec, s[22:23]
	s_cbranch_execz .LBB4_1475
; %bb.1466:                             ;   in Loop: Header=BB4_1284 Depth=2
	v_mov_b32_e32 v48, 0
	v_cmp_ne_u32_e64 s[20:21], 0, v0
	s_and_saveexec_b64 s[94:95], s[20:21]
	s_cbranch_execz .LBB4_1474
; %bb.1467:                             ;   in Loop: Header=BB4_1284 Depth=2
	v_bfe_u32 v48, v0, 23, 8
	v_cmp_gt_u32_e64 s[22:23], s64, v48
	v_sub_u32_e32 v0, 0x71, v48
	v_cmp_eq_u32_e64 s[20:21], 0, v48
	v_cndmask_b32_e64 v0, 0, v0, s[22:23]
	v_mov_b32_e32 v2, 0x70
	v_cndmask_b32_e64 v49, v0, v2, s[20:21]
	v_or_b32_e32 v1, 0x800000, v34
	v_add_u32_e32 v0, 21, v49
	v_cndmask_b32_e64 v34, v1, v34, s[20:21]
	v_lshlrev_b64 v[0:1], v0, -1
	v_add_u32_e32 v2, 20, v49
	v_lshlrev_b64 v[50:51], v2, 1
	v_bfi_b32 v1, v1, 0, 0
	v_bfi_b32 v0, v0, 0, v34
	v_cmp_eq_u64_e64 s[22:23], v[0:1], v[50:51]
	v_lshrrev_b64 v[0:1], v49, v[34:35]
	v_mov_b32_e32 v2, v1
	v_mov_b32_e32 v1, v0
	s_and_saveexec_b64 s[30:31], s[22:23]
; %bb.1468:                             ;   in Loop: Header=BB4_1284 Depth=2
	v_bfe_u32 v1, v0, 21, 1
	v_add_co_u32_e64 v1, s[22:23], v0, v1
	v_add_co_u32_e64 v1, s[22:23], -1, v1
; %bb.1469:                             ;   in Loop: Header=BB4_1284 Depth=2
	s_or_b64 exec, exec, s[30:31]
	v_add_u32_e32 v2, 0xffffff81, v48
	v_mov_b32_e32 v34, 0xffffff82
	v_cndmask_b32_e64 v2, v2, v34, s[20:21]
	v_lshrrev_b32_e32 v34, 23, v0
	v_add3_u32 v49, v49, v2, v34
	v_add_u32_e32 v48, 14, v49
	v_and_b32_e32 v1, 0x1fffff, v1
	v_add_u32_e32 v34, v1, v0
	v_cmp_ne_u32_e64 s[20:21], 0, v48
                                        ; implicit-def: $vgpr0_vgpr1
                                        ; implicit-def: $vgpr2
	s_and_saveexec_b64 s[22:23], s[20:21]
	s_xor_b64 s[22:23], exec, s[22:23]
; %bb.1470:                             ;   in Loop: Header=BB4_1284 Depth=2
	v_cmp_lt_u64_e64 s[20:21], s[72:73], v[34:35]
	v_add_u32_e32 v0, 15, v49
	v_cndmask_b32_e64 v2, v48, v0, s[20:21]
	v_cndmask_b32_e64 v0, 0, 1, s[20:21]
	v_lshrrev_b64 v[0:1], v0, v[34:35]
; %bb.1471:                             ;   in Loop: Header=BB4_1284 Depth=2
	s_andn2_saveexec_b64 s[20:21], s[22:23]
; %bb.1472:                             ;   in Loop: Header=BB4_1284 Depth=2
	v_mov_b32_e32 v0, v34
	v_bfe_u32 v2, v34, 23, 1
	v_mov_b32_e32 v1, v35
; %bb.1473:                             ;   in Loop: Header=BB4_1284 Depth=2
	s_or_b64 exec, exec, s[20:21]
	v_lshrrev_b64 v[0:1], 21, v[0:1]
	v_cmp_gt_i32_e64 s[20:21], 32, v2
	v_cndmask_b32_e64 v1, 0, v1, s[20:21]
	v_cndmask_b32_e64 v0, 3, v0, s[20:21]
	v_cmp_eq_u64_e64 s[22:23], 0, v[0:1]
	v_min_i32_e32 v1, 31, v2
	v_lshlrev_b32_e32 v1, 2, v1
	v_cmp_eq_u32_e64 s[20:21], 0, v2
	v_and_b32_e32 v1, 0xfc, v1
	v_and_or_b32 v0, v0, 3, v1
	s_and_b64 s[20:21], s[20:21], s[22:23]
	v_cndmask_b32_e64 v0, v0, 0, s[20:21]
	v_or_b32_e32 v48, v0, v3
.LBB4_1474:                             ;   in Loop: Header=BB4_1284 Depth=2
	s_or_b64 exec, exec, s[94:95]
                                        ; implicit-def: $vgpr3
.LBB4_1475:                             ;   in Loop: Header=BB4_1284 Depth=2
	s_andn2_saveexec_b64 s[20:21], s[92:93]
; %bb.1476:                             ;   in Loop: Header=BB4_1284 Depth=2
	v_or_b32_e32 v48, 0x7b, v3
; %bb.1477:                             ;   in Loop: Header=BB4_1284 Depth=2
	s_or_b64 exec, exec, s[20:21]
                                        ; implicit-def: $vgpr0
.LBB4_1478:                             ;   in Loop: Header=BB4_1284 Depth=2
	s_andn2_saveexec_b64 s[22:23], s[24:25]
	s_cbranch_execz .LBB4_1484
; %bb.1479:                             ;   in Loop: Header=BB4_1284 Depth=2
	v_cmp_ne_u64_e64 s[20:21], 0, v[34:35]
                                        ; implicit-def: $vgpr48
	s_and_saveexec_b64 s[24:25], s[20:21]
	s_xor_b64 s[20:21], exec, s[24:25]
; %bb.1480:                             ;   in Loop: Header=BB4_1284 Depth=2
	v_or_b32_sdwa v48, v0, s65 dst_sel:DWORD dst_unused:UNUSED_PAD src0_sel:BYTE_3 src1_sel:DWORD
                                        ; implicit-def: $vgpr0
; %bb.1481:                             ;   in Loop: Header=BB4_1284 Depth=2
	s_andn2_saveexec_b64 s[24:25], s[20:21]
; %bb.1482:                             ;   in Loop: Header=BB4_1284 Depth=2
	v_cmp_lt_i32_e64 s[20:21], -1, v0
	v_bfrev_b32_e32 v0, 0.5
	v_mov_b32_e32 v1, 0x7c
	v_cndmask_b32_e64 v48, v0, v1, s[20:21]
; %bb.1483:                             ;   in Loop: Header=BB4_1284 Depth=2
	s_or_b64 exec, exec, s[24:25]
.LBB4_1484:                             ;   in Loop: Header=BB4_1284 Depth=2
	s_or_b64 exec, exec, s[22:23]
	v_lshrrev_b32_e32 v0, 16, v15
	v_cmp_ne_u16_sdwa s[20:21], v0, v35 src0_sel:BYTE_0 src1_sel:DWORD
	v_mov_b32_e32 v1, 0
	s_and_saveexec_b64 s[22:23], s[20:21]
	s_cbranch_execz .LBB4_1492
; %bb.1485:                             ;   in Loop: Header=BB4_1284 Depth=2
	v_cmp_ne_u16_sdwa s[20:21], v0, s55 src0_sel:BYTE_0 src1_sel:DWORD
	v_bfrev_b32_e32 v1, 1
	s_and_saveexec_b64 s[24:25], s[20:21]
	s_cbranch_execz .LBB4_1491
; %bb.1486:                             ;   in Loop: Header=BB4_1284 Depth=2
	v_and_b32_e32 v1, 0x7c0000, v15
	v_bfe_u32 v2, v15, 16, 2
	v_cmp_ne_u32_e64 s[20:21], s66, v1
                                        ; implicit-def: $vgpr1
	s_and_saveexec_b64 s[92:93], s[20:21]
	s_xor_b64 s[92:93], exec, s[92:93]
	s_cbranch_execz .LBB4_1488
; %bb.1487:                             ;   in Loop: Header=BB4_1284 Depth=2
	v_ffbh_u32_e32 v1, v2
	v_min_u32_e32 v34, 32, v1
	v_subrev_u32_e32 v1, 29, v34
	v_lshlrev_b64 v[0:1], v1, v[0:1]
	v_bfe_u32 v3, v15, 18, 5
	v_and_b32_e32 v0, 3, v0
	v_cmp_eq_u32_e64 s[20:21], 0, v3
	v_sub_u32_e32 v1, 30, v34
	v_cndmask_b32_e64 v0, v2, v0, s[20:21]
	v_lshlrev_b32_e32 v2, 8, v15
	v_cndmask_b32_e64 v1, v3, v1, s[20:21]
	v_and_b32_e32 v2, 0x80000000, v2
	v_lshl_add_u32 v1, v1, 23, v2
	v_lshl_or_b32 v0, v0, 21, v1
	v_add_u32_e32 v1, 0x38000000, v0
                                        ; implicit-def: $vgpr2
                                        ; implicit-def: $vgpr0
.LBB4_1488:                             ;   in Loop: Header=BB4_1284 Depth=2
	s_andn2_saveexec_b64 s[92:93], s[92:93]
; %bb.1489:                             ;   in Loop: Header=BB4_1284 Depth=2
	v_mov_b32_e32 v1, -1
	v_cmp_gt_i16_sdwa s[20:21], sext(v0), v1 src0_sel:BYTE_0 src1_sel:DWORD
	v_cndmask_b32_e64 v0, v5, v36, s[20:21]
	v_cmp_eq_u32_e64 s[20:21], 0, v2
	v_cndmask_b32_e64 v1, v37, v0, s[20:21]
; %bb.1490:                             ;   in Loop: Header=BB4_1284 Depth=2
	s_or_b64 exec, exec, s[92:93]
.LBB4_1491:                             ;   in Loop: Header=BB4_1284 Depth=2
	s_or_b64 exec, exec, s[24:25]
.LBB4_1492:                             ;   in Loop: Header=BB4_1284 Depth=2
	s_or_b64 exec, exec, s[22:23]
	v_lshrrev_b32_e32 v0, 16, v11
	v_cmp_gt_i16_sdwa s[22:23], v0, s65 src0_sel:BYTE_0 src1_sel:DWORD
	s_mov_b64 s[20:21], 0
	s_and_saveexec_b64 s[24:25], s[22:23]
	s_xor_b64 s[22:23], exec, s[24:25]
	s_cbranch_execz .LBB4_1815
; %bb.1493:                             ;   in Loop: Header=BB4_1284 Depth=2
	v_cmp_eq_u16_sdwa s[92:93], v0, s55 src0_sel:BYTE_0 src1_sel:DWORD
	s_mov_b64 s[20:21], -1
	s_and_saveexec_b64 s[24:25], s[92:93]
; %bb.1494:                             ;   in Loop: Header=BB4_1284 Depth=2
	s_xor_b64 s[20:21], exec, -1
; %bb.1495:                             ;   in Loop: Header=BB4_1284 Depth=2
	s_or_b64 exec, exec, s[24:25]
	s_and_b64 s[20:21], s[20:21], exec
	s_or_saveexec_b64 s[22:23], s[22:23]
	v_bfrev_b32_e32 v2, 1
	s_xor_b64 exec, exec, s[22:23]
	s_cbranch_execnz .LBB4_1816
.LBB4_1496:                             ;   in Loop: Header=BB4_1284 Depth=2
	s_or_b64 exec, exec, s[22:23]
	s_and_saveexec_b64 s[92:93], s[20:21]
	s_cbranch_execz .LBB4_1498
.LBB4_1497:                             ;   in Loop: Header=BB4_1284 Depth=2
	v_and_b32_e32 v34, 3, v0
	v_and_b32_e32 v2, 0x7c0000, v11
	v_cmp_eq_u32_e64 s[20:21], s66, v2
	v_ffbh_u32_e32 v2, v34
	v_min_u32_e32 v50, 32, v2
	v_subrev_u32_e32 v2, 29, v50
	v_bfe_u32 v49, v11, 18, 5
	v_lshlrev_b64 v[2:3], v2, v[0:1]
	v_cmp_eq_u32_e64 s[22:23], 0, v49
	v_sub_u32_e32 v3, 30, v50
	v_cndmask_b32_e64 v3, v49, v3, s[22:23]
	v_lshlrev_b32_e32 v49, 24, v0
	v_and_b32_e32 v2, 3, v2
	v_and_b32_e32 v49, 0x80000000, v49
	v_cndmask_b32_e64 v2, v34, v2, s[22:23]
	v_lshl_add_u32 v3, v3, 23, v49
	v_lshl_or_b32 v2, v2, 21, v3
	v_mov_b32_e32 v3, -1
	v_cmp_gt_i16_sdwa s[24:25], sext(v0), v3 src0_sel:BYTE_0 src1_sel:DWORD
	v_cmp_eq_u32_e64 s[22:23], 0, v34
	v_cndmask_b32_e64 v0, v5, v36, s[24:25]
	v_add_u32_e32 v2, 0x38000000, v2
	v_cndmask_b32_e64 v0, v37, v0, s[22:23]
	v_cndmask_b32_e64 v2, v2, v0, s[20:21]
.LBB4_1498:                             ;   in Loop: Header=BB4_1284 Depth=2
	s_or_b64 exec, exec, s[92:93]
	v_mul_f32_e32 v0, v1, v2
	v_and_b32_e32 v1, 0x7f800000, v0
	v_mov_b32_e32 v2, v35
	v_cmp_ne_u64_e64 s[20:21], s[60:61], v[1:2]
	v_and_b32_e32 v34, 0x7fffff, v0
                                        ; implicit-def: $vgpr49
	s_and_saveexec_b64 s[22:23], s[20:21]
	s_xor_b64 s[24:25], exec, s[22:23]
	s_cbranch_execz .LBB4_1512
; %bb.1499:                             ;   in Loop: Header=BB4_1284 Depth=2
	v_and_b32_e32 v1, 0x7fffffff, v0
	v_mov_b32_e32 v2, v35
	v_cmp_gt_u64_e64 s[20:21], s[62:63], v[1:2]
	v_and_b32_sdwa v3, v0, s55 dst_sel:DWORD dst_unused:UNUSED_PAD src0_sel:BYTE_3 src1_sel:DWORD
                                        ; implicit-def: $vgpr49
	s_and_saveexec_b64 s[22:23], s[20:21]
	s_xor_b64 s[92:93], exec, s[22:23]
	s_cbranch_execz .LBB4_1509
; %bb.1500:                             ;   in Loop: Header=BB4_1284 Depth=2
	v_mov_b32_e32 v49, 0
	v_cmp_ne_u32_e64 s[20:21], 0, v0
	s_and_saveexec_b64 s[94:95], s[20:21]
	s_cbranch_execz .LBB4_1508
; %bb.1501:                             ;   in Loop: Header=BB4_1284 Depth=2
	v_bfe_u32 v49, v0, 23, 8
	v_cmp_gt_u32_e64 s[22:23], s64, v49
	v_sub_u32_e32 v0, 0x71, v49
	v_cmp_eq_u32_e64 s[20:21], 0, v49
	v_cndmask_b32_e64 v0, 0, v0, s[22:23]
	v_mov_b32_e32 v2, 0x70
	v_cndmask_b32_e64 v50, v0, v2, s[20:21]
	v_or_b32_e32 v1, 0x800000, v34
	v_add_u32_e32 v0, 21, v50
	v_cndmask_b32_e64 v34, v1, v34, s[20:21]
	v_lshlrev_b64 v[0:1], v0, -1
	v_add_u32_e32 v2, 20, v50
	v_lshlrev_b64 v[51:52], v2, 1
	v_bfi_b32 v1, v1, 0, 0
	v_bfi_b32 v0, v0, 0, v34
	v_cmp_eq_u64_e64 s[22:23], v[0:1], v[51:52]
	v_lshrrev_b64 v[0:1], v50, v[34:35]
	v_mov_b32_e32 v2, v1
	v_mov_b32_e32 v1, v0
	s_and_saveexec_b64 s[30:31], s[22:23]
; %bb.1502:                             ;   in Loop: Header=BB4_1284 Depth=2
	v_bfe_u32 v1, v0, 21, 1
	v_add_co_u32_e64 v1, s[22:23], v0, v1
	v_add_co_u32_e64 v1, s[22:23], -1, v1
; %bb.1503:                             ;   in Loop: Header=BB4_1284 Depth=2
	s_or_b64 exec, exec, s[30:31]
	v_add_u32_e32 v2, 0xffffff81, v49
	v_mov_b32_e32 v34, 0xffffff82
	v_cndmask_b32_e64 v2, v2, v34, s[20:21]
	v_lshrrev_b32_e32 v34, 23, v0
	v_add3_u32 v50, v50, v2, v34
	v_add_u32_e32 v49, 14, v50
	v_and_b32_e32 v1, 0x1fffff, v1
	v_add_u32_e32 v34, v1, v0
	v_cmp_ne_u32_e64 s[20:21], 0, v49
                                        ; implicit-def: $vgpr0_vgpr1
                                        ; implicit-def: $vgpr2
	s_and_saveexec_b64 s[22:23], s[20:21]
	s_xor_b64 s[22:23], exec, s[22:23]
; %bb.1504:                             ;   in Loop: Header=BB4_1284 Depth=2
	v_cmp_lt_u64_e64 s[20:21], s[72:73], v[34:35]
	v_add_u32_e32 v0, 15, v50
	v_cndmask_b32_e64 v2, v49, v0, s[20:21]
	v_cndmask_b32_e64 v0, 0, 1, s[20:21]
	v_lshrrev_b64 v[0:1], v0, v[34:35]
; %bb.1505:                             ;   in Loop: Header=BB4_1284 Depth=2
	s_andn2_saveexec_b64 s[20:21], s[22:23]
; %bb.1506:                             ;   in Loop: Header=BB4_1284 Depth=2
	v_mov_b32_e32 v0, v34
	v_bfe_u32 v2, v34, 23, 1
	v_mov_b32_e32 v1, v35
; %bb.1507:                             ;   in Loop: Header=BB4_1284 Depth=2
	s_or_b64 exec, exec, s[20:21]
	v_lshrrev_b64 v[0:1], 21, v[0:1]
	v_cmp_gt_i32_e64 s[20:21], 32, v2
	v_cndmask_b32_e64 v1, 0, v1, s[20:21]
	v_cndmask_b32_e64 v0, 3, v0, s[20:21]
	v_cmp_eq_u64_e64 s[22:23], 0, v[0:1]
	v_min_i32_e32 v1, 31, v2
	v_lshlrev_b32_e32 v1, 2, v1
	v_cmp_eq_u32_e64 s[20:21], 0, v2
	v_and_b32_e32 v1, 0xfc, v1
	v_and_or_b32 v0, v0, 3, v1
	s_and_b64 s[20:21], s[20:21], s[22:23]
	v_cndmask_b32_e64 v0, v0, 0, s[20:21]
	v_or_b32_e32 v49, v0, v3
.LBB4_1508:                             ;   in Loop: Header=BB4_1284 Depth=2
	s_or_b64 exec, exec, s[94:95]
                                        ; implicit-def: $vgpr3
.LBB4_1509:                             ;   in Loop: Header=BB4_1284 Depth=2
	s_andn2_saveexec_b64 s[20:21], s[92:93]
; %bb.1510:                             ;   in Loop: Header=BB4_1284 Depth=2
	v_or_b32_e32 v49, 0x7b, v3
; %bb.1511:                             ;   in Loop: Header=BB4_1284 Depth=2
	s_or_b64 exec, exec, s[20:21]
                                        ; implicit-def: $vgpr0
.LBB4_1512:                             ;   in Loop: Header=BB4_1284 Depth=2
	s_andn2_saveexec_b64 s[22:23], s[24:25]
	s_cbranch_execz .LBB4_1518
; %bb.1513:                             ;   in Loop: Header=BB4_1284 Depth=2
	v_cmp_ne_u64_e64 s[20:21], 0, v[34:35]
                                        ; implicit-def: $vgpr49
	s_and_saveexec_b64 s[24:25], s[20:21]
	s_xor_b64 s[20:21], exec, s[24:25]
; %bb.1514:                             ;   in Loop: Header=BB4_1284 Depth=2
	v_or_b32_sdwa v49, v0, s65 dst_sel:DWORD dst_unused:UNUSED_PAD src0_sel:BYTE_3 src1_sel:DWORD
                                        ; implicit-def: $vgpr0
; %bb.1515:                             ;   in Loop: Header=BB4_1284 Depth=2
	s_andn2_saveexec_b64 s[24:25], s[20:21]
; %bb.1516:                             ;   in Loop: Header=BB4_1284 Depth=2
	v_cmp_lt_i32_e64 s[20:21], -1, v0
	v_bfrev_b32_e32 v0, 0.5
	v_mov_b32_e32 v1, 0x7c
	v_cndmask_b32_e64 v49, v0, v1, s[20:21]
; %bb.1517:                             ;   in Loop: Header=BB4_1284 Depth=2
	s_or_b64 exec, exec, s[24:25]
.LBB4_1518:                             ;   in Loop: Header=BB4_1284 Depth=2
	s_or_b64 exec, exec, s[22:23]
	v_cmp_lt_u64_e64 s[20:21], s[58:59], v[14:15]
	v_mov_b32_e32 v1, 0
	s_and_saveexec_b64 s[22:23], s[20:21]
	s_cbranch_execz .LBB4_1526
; %bb.1519:                             ;   in Loop: Header=BB4_1284 Depth=2
	v_lshrrev_b32_e32 v0, 24, v15
	v_cmp_ne_u32_e64 s[20:21], s55, v0
	v_bfrev_b32_e32 v1, 1
	s_and_saveexec_b64 s[24:25], s[20:21]
	s_cbranch_execz .LBB4_1525
; %bb.1520:                             ;   in Loop: Header=BB4_1284 Depth=2
	v_and_b32_e32 v1, 0x7c000000, v15
	v_bfe_u32 v2, v15, 24, 2
	v_cmp_ne_u32_e64 s[20:21], s67, v1
                                        ; implicit-def: $vgpr1
	s_and_saveexec_b64 s[92:93], s[20:21]
	s_xor_b64 s[92:93], exec, s[92:93]
	s_cbranch_execz .LBB4_1522
; %bb.1521:                             ;   in Loop: Header=BB4_1284 Depth=2
	v_ffbh_u32_e32 v1, v2
	v_min_u32_e32 v34, 32, v1
	v_subrev_u32_e32 v1, 29, v34
	v_lshlrev_b64 v[0:1], v1, v[0:1]
	v_bfe_u32 v3, v15, 26, 5
	v_sub_u32_e32 v1, 30, v34
	v_and_b32_e32 v0, 3, v0
	v_cmp_eq_u32_e64 s[20:21], 0, v3
	v_cndmask_b32_e64 v1, v3, v1, s[20:21]
	v_cndmask_b32_e64 v0, v2, v0, s[20:21]
	v_and_b32_e32 v2, 0x80000000, v15
	v_lshl_add_u32 v1, v1, 23, v2
	v_lshl_or_b32 v0, v0, 21, v1
	v_add_u32_e32 v1, 0x38000000, v0
                                        ; implicit-def: $vgpr2
.LBB4_1522:                             ;   in Loop: Header=BB4_1284 Depth=2
	s_andn2_saveexec_b64 s[92:93], s[92:93]
; %bb.1523:                             ;   in Loop: Header=BB4_1284 Depth=2
	v_cmp_lt_i64_e64 s[20:21], -1, v[14:15]
	v_cndmask_b32_e64 v0, v5, v36, s[20:21]
	v_cmp_eq_u32_e64 s[20:21], 0, v2
	v_cndmask_b32_e64 v1, v37, v0, s[20:21]
; %bb.1524:                             ;   in Loop: Header=BB4_1284 Depth=2
	s_or_b64 exec, exec, s[92:93]
.LBB4_1525:                             ;   in Loop: Header=BB4_1284 Depth=2
	s_or_b64 exec, exec, s[24:25]
.LBB4_1526:                             ;   in Loop: Header=BB4_1284 Depth=2
	s_or_b64 exec, exec, s[22:23]
	v_bfe_u32 v14, v11, 24, 2
	v_and_b32_e32 v2, 0x7c000000, v11
	v_cmp_eq_u32_e64 s[20:21], s67, v2
	v_ffbh_u32_e32 v2, v14
	v_min_u32_e32 v34, 32, v2
	v_lshrrev_b32_e32 v0, 24, v11
	v_subrev_u32_e32 v2, 29, v34
	v_bfe_u32 v15, v11, 26, 5
	v_lshlrev_b64 v[2:3], v2, v[0:1]
	v_cmp_eq_u32_e64 s[22:23], 0, v15
	v_sub_u32_e32 v3, 30, v34
	v_and_b32_e32 v2, 3, v2
	v_cndmask_b32_e64 v3, v15, v3, s[22:23]
	v_and_b32_e32 v15, 0x80000000, v11
	v_cmp_lt_i64_e64 s[24:25], -1, v[10:11]
	v_cndmask_b32_e64 v2, v14, v2, s[22:23]
	v_lshl_add_u32 v3, v3, 23, v15
	v_lshl_or_b32 v2, v2, 21, v3
	v_cmp_eq_u32_e64 s[22:23], 0, v14
	v_cndmask_b32_e64 v3, v5, v36, s[24:25]
	v_add_u32_e32 v2, 0x38000000, v2
	v_cndmask_b32_e64 v3, v37, v3, s[22:23]
	v_cndmask_b32_e64 v2, v2, v3, s[20:21]
	v_cmp_ne_u32_e64 s[20:21], s55, v0
	v_bfrev_b32_e32 v0, 1
	v_cndmask_b32_e64 v0, v0, v2, s[20:21]
	v_cmp_lt_u64_e64 s[20:21], s[58:59], v[10:11]
	v_mov_b32_e32 v2, v35
	v_cndmask_b32_e64 v0, 0, v0, s[20:21]
	v_mul_f32_e32 v0, v0, v1
	v_and_b32_e32 v1, 0x7f800000, v0
	v_cmp_ne_u64_e64 s[20:21], s[60:61], v[1:2]
	v_and_b32_e32 v34, 0x7fffff, v0
                                        ; implicit-def: $vgpr10
	s_and_saveexec_b64 s[22:23], s[20:21]
	s_xor_b64 s[24:25], exec, s[22:23]
	s_cbranch_execz .LBB4_1540
; %bb.1527:                             ;   in Loop: Header=BB4_1284 Depth=2
	v_and_b32_e32 v1, 0x7fffffff, v0
	v_mov_b32_e32 v2, v35
	v_cmp_gt_u64_e64 s[20:21], s[62:63], v[1:2]
	v_and_b32_sdwa v3, v0, s55 dst_sel:DWORD dst_unused:UNUSED_PAD src0_sel:BYTE_3 src1_sel:DWORD
                                        ; implicit-def: $vgpr10
	s_and_saveexec_b64 s[22:23], s[20:21]
	s_xor_b64 s[92:93], exec, s[22:23]
	s_cbranch_execz .LBB4_1537
; %bb.1528:                             ;   in Loop: Header=BB4_1284 Depth=2
	v_mov_b32_e32 v10, 0
	v_cmp_ne_u32_e64 s[20:21], 0, v0
	s_and_saveexec_b64 s[94:95], s[20:21]
	s_cbranch_execz .LBB4_1536
; %bb.1529:                             ;   in Loop: Header=BB4_1284 Depth=2
	v_bfe_u32 v10, v0, 23, 8
	v_cmp_gt_u32_e64 s[22:23], s64, v10
	v_sub_u32_e32 v0, 0x71, v10
	v_cmp_eq_u32_e64 s[20:21], 0, v10
	v_cndmask_b32_e64 v0, 0, v0, s[22:23]
	v_mov_b32_e32 v2, 0x70
	v_cndmask_b32_e64 v11, v0, v2, s[20:21]
	v_or_b32_e32 v1, 0x800000, v34
	v_add_u32_e32 v0, 21, v11
	v_cndmask_b32_e64 v34, v1, v34, s[20:21]
	v_lshlrev_b64 v[0:1], v0, -1
	v_add_u32_e32 v2, 20, v11
	v_lshlrev_b64 v[14:15], v2, 1
	v_bfi_b32 v1, v1, 0, 0
	v_bfi_b32 v0, v0, 0, v34
	v_cmp_eq_u64_e64 s[22:23], v[0:1], v[14:15]
	v_lshrrev_b64 v[0:1], v11, v[34:35]
	v_mov_b32_e32 v2, v1
	v_mov_b32_e32 v1, v0
	s_and_saveexec_b64 s[30:31], s[22:23]
; %bb.1530:                             ;   in Loop: Header=BB4_1284 Depth=2
	v_bfe_u32 v1, v0, 21, 1
	v_add_co_u32_e64 v1, s[22:23], v0, v1
	v_add_co_u32_e64 v1, s[22:23], -1, v1
; %bb.1531:                             ;   in Loop: Header=BB4_1284 Depth=2
	s_or_b64 exec, exec, s[30:31]
	v_add_u32_e32 v2, 0xffffff81, v10
	v_mov_b32_e32 v10, 0xffffff82
	v_cndmask_b32_e64 v2, v2, v10, s[20:21]
	v_lshrrev_b32_e32 v10, 23, v0
	v_add3_u32 v11, v11, v2, v10
	v_add_u32_e32 v10, 14, v11
	v_and_b32_e32 v1, 0x1fffff, v1
	v_add_u32_e32 v34, v1, v0
	v_cmp_ne_u32_e64 s[20:21], 0, v10
                                        ; implicit-def: $vgpr0_vgpr1
                                        ; implicit-def: $vgpr2
	s_and_saveexec_b64 s[22:23], s[20:21]
	s_xor_b64 s[22:23], exec, s[22:23]
; %bb.1532:                             ;   in Loop: Header=BB4_1284 Depth=2
	v_cmp_lt_u64_e64 s[20:21], s[72:73], v[34:35]
	v_add_u32_e32 v0, 15, v11
	v_cndmask_b32_e64 v2, v10, v0, s[20:21]
	v_cndmask_b32_e64 v0, 0, 1, s[20:21]
	v_lshrrev_b64 v[0:1], v0, v[34:35]
; %bb.1533:                             ;   in Loop: Header=BB4_1284 Depth=2
	s_andn2_saveexec_b64 s[20:21], s[22:23]
; %bb.1534:                             ;   in Loop: Header=BB4_1284 Depth=2
	v_mov_b32_e32 v0, v34
	v_bfe_u32 v2, v34, 23, 1
	v_mov_b32_e32 v1, v35
; %bb.1535:                             ;   in Loop: Header=BB4_1284 Depth=2
	s_or_b64 exec, exec, s[20:21]
	v_lshrrev_b64 v[0:1], 21, v[0:1]
	v_cmp_gt_i32_e64 s[20:21], 32, v2
	v_cndmask_b32_e64 v1, 0, v1, s[20:21]
	v_cndmask_b32_e64 v0, 3, v0, s[20:21]
	v_cmp_eq_u64_e64 s[22:23], 0, v[0:1]
	v_min_i32_e32 v1, 31, v2
	v_lshlrev_b32_e32 v1, 2, v1
	v_cmp_eq_u32_e64 s[20:21], 0, v2
	v_and_b32_e32 v1, 0xfc, v1
	v_and_or_b32 v0, v0, 3, v1
	s_and_b64 s[20:21], s[20:21], s[22:23]
	v_cndmask_b32_e64 v0, v0, 0, s[20:21]
	v_or_b32_e32 v10, v0, v3
.LBB4_1536:                             ;   in Loop: Header=BB4_1284 Depth=2
	s_or_b64 exec, exec, s[94:95]
                                        ; implicit-def: $vgpr3
.LBB4_1537:                             ;   in Loop: Header=BB4_1284 Depth=2
	s_andn2_saveexec_b64 s[20:21], s[92:93]
; %bb.1538:                             ;   in Loop: Header=BB4_1284 Depth=2
	v_or_b32_e32 v10, 0x7b, v3
; %bb.1539:                             ;   in Loop: Header=BB4_1284 Depth=2
	s_or_b64 exec, exec, s[20:21]
                                        ; implicit-def: $vgpr0
.LBB4_1540:                             ;   in Loop: Header=BB4_1284 Depth=2
	s_andn2_saveexec_b64 s[22:23], s[24:25]
	s_cbranch_execz .LBB4_1546
; %bb.1541:                             ;   in Loop: Header=BB4_1284 Depth=2
	v_cmp_ne_u64_e64 s[20:21], 0, v[34:35]
                                        ; implicit-def: $vgpr10
	s_and_saveexec_b64 s[24:25], s[20:21]
	s_xor_b64 s[20:21], exec, s[24:25]
; %bb.1542:                             ;   in Loop: Header=BB4_1284 Depth=2
	v_or_b32_sdwa v10, v0, s65 dst_sel:DWORD dst_unused:UNUSED_PAD src0_sel:BYTE_3 src1_sel:DWORD
                                        ; implicit-def: $vgpr0
; %bb.1543:                             ;   in Loop: Header=BB4_1284 Depth=2
	s_andn2_saveexec_b64 s[24:25], s[20:21]
; %bb.1544:                             ;   in Loop: Header=BB4_1284 Depth=2
	v_cmp_lt_i32_e64 s[20:21], -1, v0
	v_bfrev_b32_e32 v0, 0.5
	v_mov_b32_e32 v1, 0x7c
	v_cndmask_b32_e64 v10, v0, v1, s[20:21]
; %bb.1545:                             ;   in Loop: Header=BB4_1284 Depth=2
	s_or_b64 exec, exec, s[24:25]
.LBB4_1546:                             ;   in Loop: Header=BB4_1284 Depth=2
	s_or_b64 exec, exec, s[22:23]
	v_cmp_ne_u16_sdwa s[20:21], v16, v35 src0_sel:BYTE_0 src1_sel:DWORD
	v_mov_b32_e32 v0, 0
	s_and_saveexec_b64 s[22:23], s[20:21]
	s_cbranch_execz .LBB4_1554
; %bb.1547:                             ;   in Loop: Header=BB4_1284 Depth=2
	v_cmp_ne_u16_sdwa s[20:21], sext(v16), s52 src0_sel:BYTE_0 src1_sel:DWORD
	v_bfrev_b32_e32 v0, 1
	s_and_saveexec_b64 s[24:25], s[20:21]
	s_cbranch_execz .LBB4_1553
; %bb.1548:                             ;   in Loop: Header=BB4_1284 Depth=2
	v_and_b32_e32 v0, 0x7c, v16
	v_and_b32_e32 v1, 3, v16
	v_cmp_ne_u32_e64 s[20:21], s53, v0
                                        ; implicit-def: $vgpr0
	s_and_saveexec_b64 s[92:93], s[20:21]
	s_xor_b64 s[92:93], exec, s[92:93]
	s_cbranch_execz .LBB4_1550
; %bb.1549:                             ;   in Loop: Header=BB4_1284 Depth=2
	v_ffbh_u32_e32 v2, v1
	v_min_u32_e32 v11, 32, v2
	v_subrev_u32_e32 v2, 29, v11
	v_lshlrev_b64 v[2:3], v2, v[16:17]
	v_bfe_u32 v0, v16, 2, 5
	v_and_b32_e32 v2, 3, v2
	v_cmp_eq_u32_e64 s[20:21], 0, v0
	v_sub_u32_e32 v3, 30, v11
	v_cndmask_b32_e64 v1, v1, v2, s[20:21]
	v_lshlrev_b32_e32 v2, 24, v16
	v_cndmask_b32_e64 v0, v0, v3, s[20:21]
	v_and_b32_e32 v2, 0x80000000, v2
	v_lshl_add_u32 v0, v0, 23, v2
	v_lshl_or_b32 v0, v1, 21, v0
	v_add_u32_e32 v0, 0x38000000, v0
                                        ; implicit-def: $vgpr1
.LBB4_1550:                             ;   in Loop: Header=BB4_1284 Depth=2
	s_andn2_saveexec_b64 s[92:93], s[92:93]
; %bb.1551:                             ;   in Loop: Header=BB4_1284 Depth=2
	v_mov_b32_e32 v0, -1
	v_cmp_gt_i16_sdwa s[20:21], sext(v16), v0 src0_sel:BYTE_0 src1_sel:DWORD
	v_cndmask_b32_e64 v0, v5, v36, s[20:21]
	v_cmp_eq_u32_e64 s[20:21], 0, v1
	v_cndmask_b32_e64 v0, v37, v0, s[20:21]
; %bb.1552:                             ;   in Loop: Header=BB4_1284 Depth=2
	s_or_b64 exec, exec, s[92:93]
.LBB4_1553:                             ;   in Loop: Header=BB4_1284 Depth=2
	s_or_b64 exec, exec, s[24:25]
.LBB4_1554:                             ;   in Loop: Header=BB4_1284 Depth=2
	s_or_b64 exec, exec, s[22:23]
	v_cmp_gt_i16_sdwa s[22:23], v12, s65 src0_sel:BYTE_0 src1_sel:DWORD
	s_mov_b64 s[20:21], 0
	s_and_saveexec_b64 s[24:25], s[22:23]
	s_xor_b64 s[22:23], exec, s[24:25]
	s_cbranch_execz .LBB4_1817
; %bb.1555:                             ;   in Loop: Header=BB4_1284 Depth=2
	v_cmp_eq_u16_sdwa s[92:93], v12, s55 src0_sel:BYTE_0 src1_sel:DWORD
	s_mov_b64 s[20:21], -1
	s_and_saveexec_b64 s[24:25], s[92:93]
; %bb.1556:                             ;   in Loop: Header=BB4_1284 Depth=2
	s_xor_b64 s[20:21], exec, -1
; %bb.1557:                             ;   in Loop: Header=BB4_1284 Depth=2
	s_or_b64 exec, exec, s[24:25]
	s_and_b64 s[20:21], s[20:21], exec
	s_or_saveexec_b64 s[22:23], s[22:23]
	v_bfrev_b32_e32 v1, 1
	s_xor_b64 exec, exec, s[22:23]
	s_cbranch_execnz .LBB4_1818
.LBB4_1558:                             ;   in Loop: Header=BB4_1284 Depth=2
	s_or_b64 exec, exec, s[22:23]
	s_and_saveexec_b64 s[92:93], s[20:21]
	s_cbranch_execz .LBB4_1560
.LBB4_1559:                             ;   in Loop: Header=BB4_1284 Depth=2
	v_and_b32_e32 v3, 3, v12
	v_and_b32_e32 v1, 0x7c, v12
	v_cmp_eq_u32_e64 s[20:21], s53, v1
	v_ffbh_u32_e32 v1, v3
	v_min_u32_e32 v14, 32, v1
	v_subrev_u32_e32 v1, 29, v14
	v_bfe_u32 v11, v12, 2, 5
	v_lshlrev_b64 v[1:2], v1, v[12:13]
	v_cmp_eq_u32_e64 s[22:23], 0, v11
	v_sub_u32_e32 v2, 30, v14
	v_cndmask_b32_e64 v2, v11, v2, s[22:23]
	v_lshlrev_b32_e32 v11, 24, v12
	v_and_b32_e32 v1, 3, v1
	v_and_b32_e32 v11, 0x80000000, v11
	v_cndmask_b32_e64 v1, v3, v1, s[22:23]
	v_lshl_add_u32 v2, v2, 23, v11
	v_lshl_or_b32 v1, v1, 21, v2
	v_mov_b32_e32 v2, -1
	v_cmp_gt_i16_sdwa s[24:25], sext(v12), v2 src0_sel:BYTE_0 src1_sel:DWORD
	v_cmp_eq_u32_e64 s[22:23], 0, v3
	v_cndmask_b32_e64 v2, v5, v36, s[24:25]
	v_add_u32_e32 v1, 0x38000000, v1
	v_cndmask_b32_e64 v2, v37, v2, s[22:23]
	v_cndmask_b32_e64 v1, v1, v2, s[20:21]
.LBB4_1560:                             ;   in Loop: Header=BB4_1284 Depth=2
	s_or_b64 exec, exec, s[92:93]
	v_mul_f32_e32 v0, v0, v1
	v_and_b32_e32 v1, 0x7f800000, v0
	v_mov_b32_e32 v2, v35
	v_cmp_ne_u64_e64 s[20:21], s[60:61], v[1:2]
	v_and_b32_e32 v34, 0x7fffff, v0
                                        ; implicit-def: $vgpr11
	s_and_saveexec_b64 s[22:23], s[20:21]
	s_xor_b64 s[24:25], exec, s[22:23]
	s_cbranch_execz .LBB4_1574
; %bb.1561:                             ;   in Loop: Header=BB4_1284 Depth=2
	v_and_b32_e32 v1, 0x7fffffff, v0
	v_mov_b32_e32 v2, v35
	v_cmp_gt_u64_e64 s[20:21], s[62:63], v[1:2]
	v_and_b32_sdwa v3, v0, s55 dst_sel:DWORD dst_unused:UNUSED_PAD src0_sel:BYTE_3 src1_sel:DWORD
                                        ; implicit-def: $vgpr11
	s_and_saveexec_b64 s[22:23], s[20:21]
	s_xor_b64 s[92:93], exec, s[22:23]
	s_cbranch_execz .LBB4_1571
; %bb.1562:                             ;   in Loop: Header=BB4_1284 Depth=2
	v_mov_b32_e32 v11, 0
	v_cmp_ne_u32_e64 s[20:21], 0, v0
	s_and_saveexec_b64 s[94:95], s[20:21]
	s_cbranch_execz .LBB4_1570
; %bb.1563:                             ;   in Loop: Header=BB4_1284 Depth=2
	v_bfe_u32 v11, v0, 23, 8
	v_cmp_gt_u32_e64 s[22:23], s64, v11
	v_sub_u32_e32 v0, 0x71, v11
	v_cmp_eq_u32_e64 s[20:21], 0, v11
	v_cndmask_b32_e64 v0, 0, v0, s[22:23]
	v_mov_b32_e32 v2, 0x70
	v_cndmask_b32_e64 v14, v0, v2, s[20:21]
	v_or_b32_e32 v1, 0x800000, v34
	v_add_u32_e32 v0, 21, v14
	v_cndmask_b32_e64 v34, v1, v34, s[20:21]
	v_lshlrev_b64 v[0:1], v0, -1
	v_add_u32_e32 v2, 20, v14
	v_lshlrev_b64 v[50:51], v2, 1
	v_bfi_b32 v1, v1, 0, 0
	v_bfi_b32 v0, v0, 0, v34
	v_cmp_eq_u64_e64 s[22:23], v[0:1], v[50:51]
	v_lshrrev_b64 v[0:1], v14, v[34:35]
	v_mov_b32_e32 v2, v1
	v_mov_b32_e32 v1, v0
	s_and_saveexec_b64 s[30:31], s[22:23]
; %bb.1564:                             ;   in Loop: Header=BB4_1284 Depth=2
	v_bfe_u32 v1, v0, 21, 1
	v_add_co_u32_e64 v1, s[22:23], v0, v1
	v_add_co_u32_e64 v1, s[22:23], -1, v1
; %bb.1565:                             ;   in Loop: Header=BB4_1284 Depth=2
	s_or_b64 exec, exec, s[30:31]
	v_add_u32_e32 v2, 0xffffff81, v11
	v_mov_b32_e32 v11, 0xffffff82
	v_cndmask_b32_e64 v2, v2, v11, s[20:21]
	v_lshrrev_b32_e32 v11, 23, v0
	v_add3_u32 v14, v14, v2, v11
	v_add_u32_e32 v11, 14, v14
	v_and_b32_e32 v1, 0x1fffff, v1
	v_add_u32_e32 v34, v1, v0
	v_cmp_ne_u32_e64 s[20:21], 0, v11
                                        ; implicit-def: $vgpr0_vgpr1
                                        ; implicit-def: $vgpr2
	s_and_saveexec_b64 s[22:23], s[20:21]
	s_xor_b64 s[22:23], exec, s[22:23]
; %bb.1566:                             ;   in Loop: Header=BB4_1284 Depth=2
	v_cmp_lt_u64_e64 s[20:21], s[72:73], v[34:35]
	v_add_u32_e32 v0, 15, v14
	v_cndmask_b32_e64 v2, v11, v0, s[20:21]
	v_cndmask_b32_e64 v0, 0, 1, s[20:21]
	v_lshrrev_b64 v[0:1], v0, v[34:35]
; %bb.1567:                             ;   in Loop: Header=BB4_1284 Depth=2
	s_andn2_saveexec_b64 s[20:21], s[22:23]
; %bb.1568:                             ;   in Loop: Header=BB4_1284 Depth=2
	v_mov_b32_e32 v0, v34
	v_bfe_u32 v2, v34, 23, 1
	v_mov_b32_e32 v1, v35
; %bb.1569:                             ;   in Loop: Header=BB4_1284 Depth=2
	s_or_b64 exec, exec, s[20:21]
	v_lshrrev_b64 v[0:1], 21, v[0:1]
	v_cmp_gt_i32_e64 s[20:21], 32, v2
	v_cndmask_b32_e64 v1, 0, v1, s[20:21]
	v_cndmask_b32_e64 v0, 3, v0, s[20:21]
	v_cmp_eq_u64_e64 s[22:23], 0, v[0:1]
	v_min_i32_e32 v1, 31, v2
	v_lshlrev_b32_e32 v1, 2, v1
	v_cmp_eq_u32_e64 s[20:21], 0, v2
	v_and_b32_e32 v1, 0xfc, v1
	v_and_or_b32 v0, v0, 3, v1
	s_and_b64 s[20:21], s[20:21], s[22:23]
	v_cndmask_b32_e64 v0, v0, 0, s[20:21]
	v_or_b32_e32 v11, v0, v3
.LBB4_1570:                             ;   in Loop: Header=BB4_1284 Depth=2
	s_or_b64 exec, exec, s[94:95]
                                        ; implicit-def: $vgpr3
.LBB4_1571:                             ;   in Loop: Header=BB4_1284 Depth=2
	s_andn2_saveexec_b64 s[20:21], s[92:93]
; %bb.1572:                             ;   in Loop: Header=BB4_1284 Depth=2
	v_or_b32_e32 v11, 0x7b, v3
; %bb.1573:                             ;   in Loop: Header=BB4_1284 Depth=2
	s_or_b64 exec, exec, s[20:21]
                                        ; implicit-def: $vgpr0
.LBB4_1574:                             ;   in Loop: Header=BB4_1284 Depth=2
	s_andn2_saveexec_b64 s[22:23], s[24:25]
	s_cbranch_execz .LBB4_1580
; %bb.1575:                             ;   in Loop: Header=BB4_1284 Depth=2
	v_cmp_ne_u64_e64 s[20:21], 0, v[34:35]
                                        ; implicit-def: $vgpr11
	s_and_saveexec_b64 s[24:25], s[20:21]
	s_xor_b64 s[20:21], exec, s[24:25]
; %bb.1576:                             ;   in Loop: Header=BB4_1284 Depth=2
	v_or_b32_sdwa v11, v0, s65 dst_sel:DWORD dst_unused:UNUSED_PAD src0_sel:BYTE_3 src1_sel:DWORD
                                        ; implicit-def: $vgpr0
; %bb.1577:                             ;   in Loop: Header=BB4_1284 Depth=2
	s_andn2_saveexec_b64 s[24:25], s[20:21]
; %bb.1578:                             ;   in Loop: Header=BB4_1284 Depth=2
	v_cmp_lt_i32_e64 s[20:21], -1, v0
	v_bfrev_b32_e32 v0, 0.5
	v_mov_b32_e32 v1, 0x7c
	v_cndmask_b32_e64 v11, v0, v1, s[20:21]
; %bb.1579:                             ;   in Loop: Header=BB4_1284 Depth=2
	s_or_b64 exec, exec, s[24:25]
.LBB4_1580:                             ;   in Loop: Header=BB4_1284 Depth=2
	s_or_b64 exec, exec, s[22:23]
	v_lshrrev_b16_e32 v34, 8, v16
	v_cmp_ne_u16_e64 s[20:21], 0, v34
	v_mov_b32_e32 v0, 0
	s_and_saveexec_b64 s[22:23], s[20:21]
	s_cbranch_execz .LBB4_1588
; %bb.1581:                             ;   in Loop: Header=BB4_1284 Depth=2
	v_cmp_ne_u16_e64 s[20:21], s55, v34
	v_bfrev_b32_e32 v0, 1
	s_and_saveexec_b64 s[24:25], s[20:21]
	s_cbranch_execz .LBB4_1587
; %bb.1582:                             ;   in Loop: Header=BB4_1284 Depth=2
	v_and_b32_e32 v0, 0x7c, v34
	v_and_b32_e32 v1, 3, v34
	v_cmp_ne_u32_e64 s[20:21], s53, v0
                                        ; implicit-def: $vgpr0
	s_and_saveexec_b64 s[92:93], s[20:21]
	s_xor_b64 s[92:93], exec, s[92:93]
	s_cbranch_execz .LBB4_1584
; %bb.1583:                             ;   in Loop: Header=BB4_1284 Depth=2
	v_ffbh_u32_e32 v2, v1
	v_min_u32_e32 v14, 32, v2
	v_subrev_u32_e32 v2, 29, v14
	v_lshlrev_b64 v[2:3], v2, v[34:35]
	v_bfe_u32 v0, v34, 2, 5
	v_and_b32_e32 v2, 3, v2
	v_cmp_eq_u32_e64 s[20:21], 0, v0
	v_sub_u32_e32 v3, 30, v14
	v_cndmask_b32_e64 v1, v1, v2, s[20:21]
	v_lshlrev_b32_e32 v2, 16, v16
	v_cndmask_b32_e64 v0, v0, v3, s[20:21]
	v_and_b32_e32 v2, 0x80000000, v2
	v_lshl_add_u32 v0, v0, 23, v2
	v_lshl_or_b32 v0, v1, 21, v0
	v_add_u32_e32 v0, 0x38000000, v0
                                        ; implicit-def: $vgpr1
.LBB4_1584:                             ;   in Loop: Header=BB4_1284 Depth=2
	s_andn2_saveexec_b64 s[92:93], s[92:93]
; %bb.1585:                             ;   in Loop: Header=BB4_1284 Depth=2
	v_cmp_lt_i16_e64 s[20:21], -1, v16
	v_cndmask_b32_e64 v0, v5, v36, s[20:21]
	v_cmp_eq_u32_e64 s[20:21], 0, v1
	v_cndmask_b32_e64 v0, v37, v0, s[20:21]
; %bb.1586:                             ;   in Loop: Header=BB4_1284 Depth=2
	s_or_b64 exec, exec, s[92:93]
.LBB4_1587:                             ;   in Loop: Header=BB4_1284 Depth=2
	s_or_b64 exec, exec, s[24:25]
.LBB4_1588:                             ;   in Loop: Header=BB4_1284 Depth=2
	s_or_b64 exec, exec, s[22:23]
	v_lshrrev_b16_e32 v34, 8, v12
	v_cmp_lt_i16_e64 s[20:21], s65, v34
	s_mov_b64 s[22:23], 0
	s_and_saveexec_b64 s[24:25], s[20:21]
	s_xor_b64 s[24:25], exec, s[24:25]
	s_cbranch_execz .LBB4_1819
; %bb.1589:                             ;   in Loop: Header=BB4_1284 Depth=2
	v_cmp_eq_u16_e64 s[20:21], s55, v34
	s_mov_b64 s[22:23], -1
	s_and_saveexec_b64 s[92:93], s[20:21]
; %bb.1590:                             ;   in Loop: Header=BB4_1284 Depth=2
	s_xor_b64 s[22:23], exec, -1
; %bb.1591:                             ;   in Loop: Header=BB4_1284 Depth=2
	s_or_b64 exec, exec, s[92:93]
	s_and_b64 s[22:23], s[22:23], exec
	s_or_saveexec_b64 s[24:25], s[24:25]
	v_bfrev_b32_e32 v1, 1
	s_xor_b64 exec, exec, s[24:25]
	s_cbranch_execnz .LBB4_1820
.LBB4_1592:                             ;   in Loop: Header=BB4_1284 Depth=2
	s_or_b64 exec, exec, s[24:25]
	s_and_saveexec_b64 s[92:93], s[22:23]
	s_cbranch_execz .LBB4_1594
.LBB4_1593:                             ;   in Loop: Header=BB4_1284 Depth=2
	v_and_b32_e32 v3, 3, v34
	v_and_b32_e32 v1, 0x7c, v34
	v_cmp_eq_u32_e64 s[20:21], s53, v1
	v_ffbh_u32_e32 v1, v3
	v_min_u32_e32 v15, 32, v1
	v_subrev_u32_e32 v1, 29, v15
	v_bfe_u32 v14, v34, 2, 5
	v_lshlrev_b64 v[1:2], v1, v[34:35]
	v_cmp_eq_u32_e64 s[22:23], 0, v14
	v_sub_u32_e32 v2, 30, v15
	v_cndmask_b32_e64 v2, v14, v2, s[22:23]
	v_lshlrev_b32_e32 v14, 24, v34
	v_and_b32_e32 v1, 3, v1
	v_and_b32_e32 v14, 0x80000000, v14
	v_cndmask_b32_e64 v1, v3, v1, s[22:23]
	v_lshl_add_u32 v2, v2, 23, v14
	v_cmp_lt_i16_e64 s[24:25], -1, v12
	v_lshl_or_b32 v1, v1, 21, v2
	v_cmp_eq_u32_e64 s[22:23], 0, v3
	v_cndmask_b32_e64 v2, v5, v36, s[24:25]
	v_add_u32_e32 v1, 0x38000000, v1
	v_cndmask_b32_e64 v2, v37, v2, s[22:23]
	v_cndmask_b32_e64 v1, v1, v2, s[20:21]
.LBB4_1594:                             ;   in Loop: Header=BB4_1284 Depth=2
	s_or_b64 exec, exec, s[92:93]
	v_mul_f32_e32 v0, v0, v1
	v_and_b32_e32 v1, 0x7f800000, v0
	v_mov_b32_e32 v2, v35
	v_cmp_ne_u64_e64 s[20:21], s[60:61], v[1:2]
	v_and_b32_e32 v34, 0x7fffff, v0
                                        ; implicit-def: $vgpr14
	s_and_saveexec_b64 s[22:23], s[20:21]
	s_xor_b64 s[24:25], exec, s[22:23]
	s_cbranch_execz .LBB4_1608
; %bb.1595:                             ;   in Loop: Header=BB4_1284 Depth=2
	v_and_b32_e32 v1, 0x7fffffff, v0
	v_mov_b32_e32 v2, v35
	v_cmp_gt_u64_e64 s[20:21], s[62:63], v[1:2]
	v_and_b32_sdwa v3, v0, s55 dst_sel:DWORD dst_unused:UNUSED_PAD src0_sel:BYTE_3 src1_sel:DWORD
                                        ; implicit-def: $vgpr14
	s_and_saveexec_b64 s[22:23], s[20:21]
	s_xor_b64 s[92:93], exec, s[22:23]
	s_cbranch_execz .LBB4_1605
; %bb.1596:                             ;   in Loop: Header=BB4_1284 Depth=2
	v_mov_b32_e32 v14, 0
	v_cmp_ne_u32_e64 s[20:21], 0, v0
	s_and_saveexec_b64 s[94:95], s[20:21]
	s_cbranch_execz .LBB4_1604
; %bb.1597:                             ;   in Loop: Header=BB4_1284 Depth=2
	v_bfe_u32 v14, v0, 23, 8
	v_cmp_gt_u32_e64 s[22:23], s64, v14
	v_sub_u32_e32 v0, 0x71, v14
	v_cmp_eq_u32_e64 s[20:21], 0, v14
	v_cndmask_b32_e64 v0, 0, v0, s[22:23]
	v_mov_b32_e32 v2, 0x70
	v_cndmask_b32_e64 v15, v0, v2, s[20:21]
	v_or_b32_e32 v1, 0x800000, v34
	v_add_u32_e32 v0, 21, v15
	v_cndmask_b32_e64 v34, v1, v34, s[20:21]
	v_lshlrev_b64 v[0:1], v0, -1
	v_add_u32_e32 v2, 20, v15
	v_lshlrev_b64 v[50:51], v2, 1
	v_bfi_b32 v1, v1, 0, 0
	v_bfi_b32 v0, v0, 0, v34
	v_cmp_eq_u64_e64 s[22:23], v[0:1], v[50:51]
	v_lshrrev_b64 v[0:1], v15, v[34:35]
	v_mov_b32_e32 v2, v1
	v_mov_b32_e32 v1, v0
	s_and_saveexec_b64 s[30:31], s[22:23]
; %bb.1598:                             ;   in Loop: Header=BB4_1284 Depth=2
	v_bfe_u32 v1, v0, 21, 1
	v_add_co_u32_e64 v1, s[22:23], v0, v1
	v_add_co_u32_e64 v1, s[22:23], -1, v1
; %bb.1599:                             ;   in Loop: Header=BB4_1284 Depth=2
	s_or_b64 exec, exec, s[30:31]
	v_add_u32_e32 v2, 0xffffff81, v14
	v_mov_b32_e32 v14, 0xffffff82
	v_cndmask_b32_e64 v2, v2, v14, s[20:21]
	v_lshrrev_b32_e32 v14, 23, v0
	v_add3_u32 v15, v15, v2, v14
	v_add_u32_e32 v14, 14, v15
	v_and_b32_e32 v1, 0x1fffff, v1
	v_add_u32_e32 v34, v1, v0
	v_cmp_ne_u32_e64 s[20:21], 0, v14
                                        ; implicit-def: $vgpr0_vgpr1
                                        ; implicit-def: $vgpr2
	s_and_saveexec_b64 s[22:23], s[20:21]
	s_xor_b64 s[22:23], exec, s[22:23]
; %bb.1600:                             ;   in Loop: Header=BB4_1284 Depth=2
	v_cmp_lt_u64_e64 s[20:21], s[72:73], v[34:35]
	v_add_u32_e32 v0, 15, v15
	v_cndmask_b32_e64 v2, v14, v0, s[20:21]
	v_cndmask_b32_e64 v0, 0, 1, s[20:21]
	v_lshrrev_b64 v[0:1], v0, v[34:35]
; %bb.1601:                             ;   in Loop: Header=BB4_1284 Depth=2
	s_andn2_saveexec_b64 s[20:21], s[22:23]
; %bb.1602:                             ;   in Loop: Header=BB4_1284 Depth=2
	v_mov_b32_e32 v0, v34
	v_bfe_u32 v2, v34, 23, 1
	v_mov_b32_e32 v1, v35
; %bb.1603:                             ;   in Loop: Header=BB4_1284 Depth=2
	s_or_b64 exec, exec, s[20:21]
	v_lshrrev_b64 v[0:1], 21, v[0:1]
	v_cmp_gt_i32_e64 s[20:21], 32, v2
	v_cndmask_b32_e64 v1, 0, v1, s[20:21]
	v_cndmask_b32_e64 v0, 3, v0, s[20:21]
	v_cmp_eq_u64_e64 s[22:23], 0, v[0:1]
	v_min_i32_e32 v1, 31, v2
	v_lshlrev_b32_e32 v1, 2, v1
	v_cmp_eq_u32_e64 s[20:21], 0, v2
	v_and_b32_e32 v1, 0xfc, v1
	v_and_or_b32 v0, v0, 3, v1
	s_and_b64 s[20:21], s[20:21], s[22:23]
	v_cndmask_b32_e64 v0, v0, 0, s[20:21]
	v_or_b32_e32 v14, v0, v3
.LBB4_1604:                             ;   in Loop: Header=BB4_1284 Depth=2
	s_or_b64 exec, exec, s[94:95]
                                        ; implicit-def: $vgpr3
.LBB4_1605:                             ;   in Loop: Header=BB4_1284 Depth=2
	s_andn2_saveexec_b64 s[20:21], s[92:93]
; %bb.1606:                             ;   in Loop: Header=BB4_1284 Depth=2
	v_or_b32_e32 v14, 0x7b, v3
; %bb.1607:                             ;   in Loop: Header=BB4_1284 Depth=2
	s_or_b64 exec, exec, s[20:21]
                                        ; implicit-def: $vgpr0
.LBB4_1608:                             ;   in Loop: Header=BB4_1284 Depth=2
	s_andn2_saveexec_b64 s[22:23], s[24:25]
	s_cbranch_execz .LBB4_1614
; %bb.1609:                             ;   in Loop: Header=BB4_1284 Depth=2
	v_cmp_ne_u64_e64 s[20:21], 0, v[34:35]
                                        ; implicit-def: $vgpr14
	s_and_saveexec_b64 s[24:25], s[20:21]
	s_xor_b64 s[20:21], exec, s[24:25]
; %bb.1610:                             ;   in Loop: Header=BB4_1284 Depth=2
	v_or_b32_sdwa v14, v0, s65 dst_sel:DWORD dst_unused:UNUSED_PAD src0_sel:BYTE_3 src1_sel:DWORD
                                        ; implicit-def: $vgpr0
; %bb.1611:                             ;   in Loop: Header=BB4_1284 Depth=2
	s_andn2_saveexec_b64 s[24:25], s[20:21]
; %bb.1612:                             ;   in Loop: Header=BB4_1284 Depth=2
	v_cmp_lt_i32_e64 s[20:21], -1, v0
	v_bfrev_b32_e32 v0, 0.5
	v_mov_b32_e32 v1, 0x7c
	v_cndmask_b32_e64 v14, v0, v1, s[20:21]
; %bb.1613:                             ;   in Loop: Header=BB4_1284 Depth=2
	s_or_b64 exec, exec, s[24:25]
.LBB4_1614:                             ;   in Loop: Header=BB4_1284 Depth=2
	s_or_b64 exec, exec, s[22:23]
	v_lshrrev_b32_e32 v0, 16, v16
	v_cmp_ne_u16_sdwa s[20:21], v0, v35 src0_sel:BYTE_0 src1_sel:DWORD
	v_mov_b32_e32 v1, 0
	s_and_saveexec_b64 s[22:23], s[20:21]
	s_cbranch_execz .LBB4_1622
; %bb.1615:                             ;   in Loop: Header=BB4_1284 Depth=2
	v_cmp_ne_u16_sdwa s[20:21], v0, s55 src0_sel:BYTE_0 src1_sel:DWORD
	v_bfrev_b32_e32 v1, 1
	s_and_saveexec_b64 s[24:25], s[20:21]
	s_cbranch_execz .LBB4_1621
; %bb.1616:                             ;   in Loop: Header=BB4_1284 Depth=2
	v_and_b32_e32 v1, 0x7c0000, v16
	v_bfe_u32 v2, v16, 16, 2
	v_cmp_ne_u32_e64 s[20:21], s66, v1
                                        ; implicit-def: $vgpr1
	s_and_saveexec_b64 s[92:93], s[20:21]
	s_xor_b64 s[92:93], exec, s[92:93]
	s_cbranch_execz .LBB4_1618
; %bb.1617:                             ;   in Loop: Header=BB4_1284 Depth=2
	v_ffbh_u32_e32 v1, v2
	v_min_u32_e32 v15, 32, v1
	v_subrev_u32_e32 v1, 29, v15
	v_lshlrev_b64 v[0:1], v1, v[0:1]
	v_bfe_u32 v3, v16, 18, 5
	v_and_b32_e32 v0, 3, v0
	v_cmp_eq_u32_e64 s[20:21], 0, v3
	v_sub_u32_e32 v1, 30, v15
	v_cndmask_b32_e64 v0, v2, v0, s[20:21]
	v_lshlrev_b32_e32 v2, 8, v16
	v_cndmask_b32_e64 v1, v3, v1, s[20:21]
	v_and_b32_e32 v2, 0x80000000, v2
	v_lshl_add_u32 v1, v1, 23, v2
	v_lshl_or_b32 v0, v0, 21, v1
	v_add_u32_e32 v1, 0x38000000, v0
                                        ; implicit-def: $vgpr2
                                        ; implicit-def: $vgpr0
.LBB4_1618:                             ;   in Loop: Header=BB4_1284 Depth=2
	s_andn2_saveexec_b64 s[92:93], s[92:93]
; %bb.1619:                             ;   in Loop: Header=BB4_1284 Depth=2
	v_mov_b32_e32 v1, -1
	v_cmp_gt_i16_sdwa s[20:21], sext(v0), v1 src0_sel:BYTE_0 src1_sel:DWORD
	v_cndmask_b32_e64 v0, v5, v36, s[20:21]
	v_cmp_eq_u32_e64 s[20:21], 0, v2
	v_cndmask_b32_e64 v1, v37, v0, s[20:21]
; %bb.1620:                             ;   in Loop: Header=BB4_1284 Depth=2
	s_or_b64 exec, exec, s[92:93]
.LBB4_1621:                             ;   in Loop: Header=BB4_1284 Depth=2
	s_or_b64 exec, exec, s[24:25]
.LBB4_1622:                             ;   in Loop: Header=BB4_1284 Depth=2
	s_or_b64 exec, exec, s[22:23]
	v_lshrrev_b32_e32 v0, 16, v12
	v_cmp_gt_i16_sdwa s[22:23], v0, s65 src0_sel:BYTE_0 src1_sel:DWORD
	s_mov_b64 s[20:21], 0
	s_and_saveexec_b64 s[24:25], s[22:23]
	s_xor_b64 s[22:23], exec, s[24:25]
	s_cbranch_execz .LBB4_1821
; %bb.1623:                             ;   in Loop: Header=BB4_1284 Depth=2
	v_cmp_eq_u16_sdwa s[92:93], v0, s55 src0_sel:BYTE_0 src1_sel:DWORD
	s_mov_b64 s[20:21], -1
	s_and_saveexec_b64 s[24:25], s[92:93]
; %bb.1624:                             ;   in Loop: Header=BB4_1284 Depth=2
	s_xor_b64 s[20:21], exec, -1
; %bb.1625:                             ;   in Loop: Header=BB4_1284 Depth=2
	s_or_b64 exec, exec, s[24:25]
	s_and_b64 s[20:21], s[20:21], exec
	s_or_saveexec_b64 s[22:23], s[22:23]
	v_bfrev_b32_e32 v2, 1
	s_xor_b64 exec, exec, s[22:23]
	s_cbranch_execnz .LBB4_1822
.LBB4_1626:                             ;   in Loop: Header=BB4_1284 Depth=2
	s_or_b64 exec, exec, s[22:23]
	s_and_saveexec_b64 s[92:93], s[20:21]
	s_cbranch_execz .LBB4_1628
.LBB4_1627:                             ;   in Loop: Header=BB4_1284 Depth=2
	v_and_b32_e32 v15, 3, v0
	v_and_b32_e32 v2, 0x7c0000, v12
	v_cmp_eq_u32_e64 s[20:21], s66, v2
	v_ffbh_u32_e32 v2, v15
	v_min_u32_e32 v50, 32, v2
	v_subrev_u32_e32 v2, 29, v50
	v_bfe_u32 v34, v12, 18, 5
	v_lshlrev_b64 v[2:3], v2, v[0:1]
	v_cmp_eq_u32_e64 s[22:23], 0, v34
	v_sub_u32_e32 v3, 30, v50
	v_cndmask_b32_e64 v3, v34, v3, s[22:23]
	v_lshlrev_b32_e32 v34, 24, v0
	v_and_b32_e32 v2, 3, v2
	v_and_b32_e32 v34, 0x80000000, v34
	v_cndmask_b32_e64 v2, v15, v2, s[22:23]
	v_lshl_add_u32 v3, v3, 23, v34
	v_lshl_or_b32 v2, v2, 21, v3
	v_mov_b32_e32 v3, -1
	v_cmp_gt_i16_sdwa s[24:25], sext(v0), v3 src0_sel:BYTE_0 src1_sel:DWORD
	v_cmp_eq_u32_e64 s[22:23], 0, v15
	v_cndmask_b32_e64 v0, v5, v36, s[24:25]
	v_add_u32_e32 v2, 0x38000000, v2
	v_cndmask_b32_e64 v0, v37, v0, s[22:23]
	v_cndmask_b32_e64 v2, v2, v0, s[20:21]
.LBB4_1628:                             ;   in Loop: Header=BB4_1284 Depth=2
	s_or_b64 exec, exec, s[92:93]
	v_mul_f32_e32 v0, v1, v2
	v_and_b32_e32 v1, 0x7f800000, v0
	v_mov_b32_e32 v2, v35
	v_cmp_ne_u64_e64 s[20:21], s[60:61], v[1:2]
	v_and_b32_e32 v34, 0x7fffff, v0
                                        ; implicit-def: $vgpr15
	s_and_saveexec_b64 s[22:23], s[20:21]
	s_xor_b64 s[24:25], exec, s[22:23]
	s_cbranch_execz .LBB4_1642
; %bb.1629:                             ;   in Loop: Header=BB4_1284 Depth=2
	v_and_b32_e32 v1, 0x7fffffff, v0
	v_mov_b32_e32 v2, v35
	v_cmp_gt_u64_e64 s[20:21], s[62:63], v[1:2]
	v_and_b32_sdwa v3, v0, s55 dst_sel:DWORD dst_unused:UNUSED_PAD src0_sel:BYTE_3 src1_sel:DWORD
                                        ; implicit-def: $vgpr15
	s_and_saveexec_b64 s[22:23], s[20:21]
	s_xor_b64 s[92:93], exec, s[22:23]
	s_cbranch_execz .LBB4_1639
; %bb.1630:                             ;   in Loop: Header=BB4_1284 Depth=2
	v_mov_b32_e32 v15, 0
	v_cmp_ne_u32_e64 s[20:21], 0, v0
	s_and_saveexec_b64 s[94:95], s[20:21]
	s_cbranch_execz .LBB4_1638
; %bb.1631:                             ;   in Loop: Header=BB4_1284 Depth=2
	v_bfe_u32 v15, v0, 23, 8
	v_cmp_gt_u32_e64 s[22:23], s64, v15
	v_sub_u32_e32 v0, 0x71, v15
	v_cmp_eq_u32_e64 s[20:21], 0, v15
	v_cndmask_b32_e64 v0, 0, v0, s[22:23]
	v_mov_b32_e32 v2, 0x70
	v_cndmask_b32_e64 v50, v0, v2, s[20:21]
	v_or_b32_e32 v1, 0x800000, v34
	v_add_u32_e32 v0, 21, v50
	v_cndmask_b32_e64 v34, v1, v34, s[20:21]
	v_lshlrev_b64 v[0:1], v0, -1
	v_add_u32_e32 v2, 20, v50
	v_lshlrev_b64 v[51:52], v2, 1
	v_bfi_b32 v1, v1, 0, 0
	v_bfi_b32 v0, v0, 0, v34
	v_cmp_eq_u64_e64 s[22:23], v[0:1], v[51:52]
	v_lshrrev_b64 v[0:1], v50, v[34:35]
	v_mov_b32_e32 v2, v1
	v_mov_b32_e32 v1, v0
	s_and_saveexec_b64 s[30:31], s[22:23]
; %bb.1632:                             ;   in Loop: Header=BB4_1284 Depth=2
	v_bfe_u32 v1, v0, 21, 1
	v_add_co_u32_e64 v1, s[22:23], v0, v1
	v_add_co_u32_e64 v1, s[22:23], -1, v1
; %bb.1633:                             ;   in Loop: Header=BB4_1284 Depth=2
	s_or_b64 exec, exec, s[30:31]
	v_add_u32_e32 v2, 0xffffff81, v15
	v_mov_b32_e32 v15, 0xffffff82
	v_cndmask_b32_e64 v2, v2, v15, s[20:21]
	v_lshrrev_b32_e32 v15, 23, v0
	v_add3_u32 v50, v50, v2, v15
	v_add_u32_e32 v15, 14, v50
	v_and_b32_e32 v1, 0x1fffff, v1
	v_add_u32_e32 v34, v1, v0
	v_cmp_ne_u32_e64 s[20:21], 0, v15
                                        ; implicit-def: $vgpr0_vgpr1
                                        ; implicit-def: $vgpr2
	s_and_saveexec_b64 s[22:23], s[20:21]
	s_xor_b64 s[22:23], exec, s[22:23]
; %bb.1634:                             ;   in Loop: Header=BB4_1284 Depth=2
	v_cmp_lt_u64_e64 s[20:21], s[72:73], v[34:35]
	v_add_u32_e32 v0, 15, v50
	v_cndmask_b32_e64 v2, v15, v0, s[20:21]
	v_cndmask_b32_e64 v0, 0, 1, s[20:21]
	v_lshrrev_b64 v[0:1], v0, v[34:35]
; %bb.1635:                             ;   in Loop: Header=BB4_1284 Depth=2
	s_andn2_saveexec_b64 s[20:21], s[22:23]
; %bb.1636:                             ;   in Loop: Header=BB4_1284 Depth=2
	v_mov_b32_e32 v0, v34
	v_bfe_u32 v2, v34, 23, 1
	v_mov_b32_e32 v1, v35
; %bb.1637:                             ;   in Loop: Header=BB4_1284 Depth=2
	s_or_b64 exec, exec, s[20:21]
	v_lshrrev_b64 v[0:1], 21, v[0:1]
	v_cmp_gt_i32_e64 s[20:21], 32, v2
	v_cndmask_b32_e64 v1, 0, v1, s[20:21]
	v_cndmask_b32_e64 v0, 3, v0, s[20:21]
	v_cmp_eq_u64_e64 s[22:23], 0, v[0:1]
	v_min_i32_e32 v1, 31, v2
	v_lshlrev_b32_e32 v1, 2, v1
	v_cmp_eq_u32_e64 s[20:21], 0, v2
	v_and_b32_e32 v1, 0xfc, v1
	v_and_or_b32 v0, v0, 3, v1
	s_and_b64 s[20:21], s[20:21], s[22:23]
	v_cndmask_b32_e64 v0, v0, 0, s[20:21]
	v_or_b32_e32 v15, v0, v3
.LBB4_1638:                             ;   in Loop: Header=BB4_1284 Depth=2
	s_or_b64 exec, exec, s[94:95]
                                        ; implicit-def: $vgpr3
.LBB4_1639:                             ;   in Loop: Header=BB4_1284 Depth=2
	s_andn2_saveexec_b64 s[20:21], s[92:93]
; %bb.1640:                             ;   in Loop: Header=BB4_1284 Depth=2
	v_or_b32_e32 v15, 0x7b, v3
; %bb.1641:                             ;   in Loop: Header=BB4_1284 Depth=2
	s_or_b64 exec, exec, s[20:21]
                                        ; implicit-def: $vgpr0
.LBB4_1642:                             ;   in Loop: Header=BB4_1284 Depth=2
	s_andn2_saveexec_b64 s[22:23], s[24:25]
	s_cbranch_execz .LBB4_1648
; %bb.1643:                             ;   in Loop: Header=BB4_1284 Depth=2
	v_cmp_ne_u64_e64 s[20:21], 0, v[34:35]
                                        ; implicit-def: $vgpr15
	s_and_saveexec_b64 s[24:25], s[20:21]
	s_xor_b64 s[20:21], exec, s[24:25]
; %bb.1644:                             ;   in Loop: Header=BB4_1284 Depth=2
	v_or_b32_sdwa v15, v0, s65 dst_sel:DWORD dst_unused:UNUSED_PAD src0_sel:BYTE_3 src1_sel:DWORD
                                        ; implicit-def: $vgpr0
; %bb.1645:                             ;   in Loop: Header=BB4_1284 Depth=2
	s_andn2_saveexec_b64 s[24:25], s[20:21]
; %bb.1646:                             ;   in Loop: Header=BB4_1284 Depth=2
	v_cmp_lt_i32_e64 s[20:21], -1, v0
	v_bfrev_b32_e32 v0, 0.5
	v_mov_b32_e32 v1, 0x7c
	v_cndmask_b32_e64 v15, v0, v1, s[20:21]
; %bb.1647:                             ;   in Loop: Header=BB4_1284 Depth=2
	s_or_b64 exec, exec, s[24:25]
.LBB4_1648:                             ;   in Loop: Header=BB4_1284 Depth=2
	s_or_b64 exec, exec, s[22:23]
	v_cmp_lt_u32_e64 s[20:21], s59, v16
	v_mov_b32_e32 v1, 0
	s_and_saveexec_b64 s[22:23], s[20:21]
	s_cbranch_execz .LBB4_1656
; %bb.1649:                             ;   in Loop: Header=BB4_1284 Depth=2
	v_lshrrev_b32_e32 v0, 24, v16
	v_cmp_ne_u32_e64 s[20:21], s55, v0
	v_bfrev_b32_e32 v1, 1
	s_and_saveexec_b64 s[24:25], s[20:21]
	s_cbranch_execz .LBB4_1655
; %bb.1650:                             ;   in Loop: Header=BB4_1284 Depth=2
	v_and_b32_e32 v1, 0x7c000000, v16
	v_bfe_u32 v2, v16, 24, 2
	v_cmp_ne_u32_e64 s[20:21], s67, v1
                                        ; implicit-def: $vgpr1
	s_and_saveexec_b64 s[92:93], s[20:21]
	s_xor_b64 s[92:93], exec, s[92:93]
	s_cbranch_execz .LBB4_1652
; %bb.1651:                             ;   in Loop: Header=BB4_1284 Depth=2
	v_ffbh_u32_e32 v1, v2
	v_min_u32_e32 v34, 32, v1
	v_subrev_u32_e32 v1, 29, v34
	v_lshlrev_b64 v[0:1], v1, v[0:1]
	v_bfe_u32 v3, v16, 26, 5
	v_sub_u32_e32 v1, 30, v34
	v_and_b32_e32 v0, 3, v0
	v_cmp_eq_u32_e64 s[20:21], 0, v3
	v_cndmask_b32_e64 v1, v3, v1, s[20:21]
	v_cndmask_b32_e64 v0, v2, v0, s[20:21]
	v_and_b32_e32 v2, 0x80000000, v16
	v_lshl_add_u32 v1, v1, 23, v2
	v_lshl_or_b32 v0, v0, 21, v1
	v_add_u32_e32 v1, 0x38000000, v0
                                        ; implicit-def: $vgpr2
.LBB4_1652:                             ;   in Loop: Header=BB4_1284 Depth=2
	s_andn2_saveexec_b64 s[92:93], s[92:93]
; %bb.1653:                             ;   in Loop: Header=BB4_1284 Depth=2
	v_cmp_lt_i32_e64 s[20:21], -1, v16
	v_cndmask_b32_e64 v0, v5, v36, s[20:21]
	v_cmp_eq_u32_e64 s[20:21], 0, v2
	v_cndmask_b32_e64 v1, v37, v0, s[20:21]
; %bb.1654:                             ;   in Loop: Header=BB4_1284 Depth=2
	s_or_b64 exec, exec, s[92:93]
.LBB4_1655:                             ;   in Loop: Header=BB4_1284 Depth=2
	s_or_b64 exec, exec, s[24:25]
.LBB4_1656:                             ;   in Loop: Header=BB4_1284 Depth=2
	s_or_b64 exec, exec, s[22:23]
	v_bfe_u32 v34, v12, 24, 2
	v_and_b32_e32 v2, 0x7c000000, v12
	v_cmp_eq_u32_e64 s[20:21], s67, v2
	v_ffbh_u32_e32 v2, v34
	v_min_u32_e32 v51, 32, v2
	v_lshrrev_b32_e32 v0, 24, v12
	v_subrev_u32_e32 v2, 29, v51
	v_bfe_u32 v50, v12, 26, 5
	v_lshlrev_b64 v[2:3], v2, v[0:1]
	v_cmp_eq_u32_e64 s[22:23], 0, v50
	v_sub_u32_e32 v3, 30, v51
	v_and_b32_e32 v2, 3, v2
	v_cndmask_b32_e64 v3, v50, v3, s[22:23]
	v_and_b32_e32 v50, 0x80000000, v12
	v_cndmask_b32_e64 v2, v34, v2, s[22:23]
	v_lshl_add_u32 v3, v3, 23, v50
	v_cmp_lt_i32_e64 s[24:25], -1, v12
	v_lshl_or_b32 v2, v2, 21, v3
	v_cmp_eq_u32_e64 s[22:23], 0, v34
	v_cndmask_b32_e64 v3, v5, v36, s[24:25]
	v_add_u32_e32 v2, 0x38000000, v2
	v_cndmask_b32_e64 v3, v37, v3, s[22:23]
	v_cndmask_b32_e64 v2, v2, v3, s[20:21]
	v_cmp_ne_u32_e64 s[20:21], s55, v0
	v_bfrev_b32_e32 v0, 1
	v_cndmask_b32_e64 v0, v0, v2, s[20:21]
	v_cmp_lt_u32_e64 s[20:21], s59, v12
	v_cndmask_b32_e64 v0, 0, v0, s[20:21]
	v_mul_f32_e32 v0, v0, v1
	v_and_b32_e32 v1, 0x7f800000, v0
	v_mov_b32_e32 v2, v35
	v_cmp_ne_u64_e64 s[20:21], s[60:61], v[1:2]
	v_and_b32_e32 v34, 0x7fffff, v0
                                        ; implicit-def: $vgpr50
	s_and_saveexec_b64 s[22:23], s[20:21]
	s_xor_b64 s[24:25], exec, s[22:23]
	s_cbranch_execz .LBB4_1670
; %bb.1657:                             ;   in Loop: Header=BB4_1284 Depth=2
	v_and_b32_e32 v1, 0x7fffffff, v0
	v_mov_b32_e32 v2, v35
	v_cmp_gt_u64_e64 s[20:21], s[62:63], v[1:2]
	v_and_b32_sdwa v3, v0, s55 dst_sel:DWORD dst_unused:UNUSED_PAD src0_sel:BYTE_3 src1_sel:DWORD
                                        ; implicit-def: $vgpr50
	s_and_saveexec_b64 s[22:23], s[20:21]
	s_xor_b64 s[92:93], exec, s[22:23]
	s_cbranch_execz .LBB4_1667
; %bb.1658:                             ;   in Loop: Header=BB4_1284 Depth=2
	v_mov_b32_e32 v50, 0
	v_cmp_ne_u32_e64 s[20:21], 0, v0
	s_and_saveexec_b64 s[94:95], s[20:21]
	s_cbranch_execz .LBB4_1666
; %bb.1659:                             ;   in Loop: Header=BB4_1284 Depth=2
	v_bfe_u32 v50, v0, 23, 8
	v_cmp_gt_u32_e64 s[22:23], s64, v50
	v_sub_u32_e32 v0, 0x71, v50
	v_cmp_eq_u32_e64 s[20:21], 0, v50
	v_cndmask_b32_e64 v0, 0, v0, s[22:23]
	v_mov_b32_e32 v2, 0x70
	v_cndmask_b32_e64 v51, v0, v2, s[20:21]
	v_or_b32_e32 v1, 0x800000, v34
	v_add_u32_e32 v0, 21, v51
	v_cndmask_b32_e64 v34, v1, v34, s[20:21]
	v_lshlrev_b64 v[0:1], v0, -1
	v_add_u32_e32 v2, 20, v51
	v_lshlrev_b64 v[52:53], v2, 1
	v_bfi_b32 v1, v1, 0, 0
	v_bfi_b32 v0, v0, 0, v34
	v_cmp_eq_u64_e64 s[22:23], v[0:1], v[52:53]
	v_lshrrev_b64 v[0:1], v51, v[34:35]
	v_mov_b32_e32 v2, v1
	v_mov_b32_e32 v1, v0
	s_and_saveexec_b64 s[30:31], s[22:23]
; %bb.1660:                             ;   in Loop: Header=BB4_1284 Depth=2
	v_bfe_u32 v1, v0, 21, 1
	v_add_co_u32_e64 v1, s[22:23], v0, v1
	v_add_co_u32_e64 v1, s[22:23], -1, v1
; %bb.1661:                             ;   in Loop: Header=BB4_1284 Depth=2
	s_or_b64 exec, exec, s[30:31]
	v_add_u32_e32 v2, 0xffffff81, v50
	v_mov_b32_e32 v34, 0xffffff82
	v_cndmask_b32_e64 v2, v2, v34, s[20:21]
	v_lshrrev_b32_e32 v34, 23, v0
	v_add3_u32 v51, v51, v2, v34
	v_add_u32_e32 v50, 14, v51
	v_and_b32_e32 v1, 0x1fffff, v1
	v_add_u32_e32 v34, v1, v0
	v_cmp_ne_u32_e64 s[20:21], 0, v50
                                        ; implicit-def: $vgpr0_vgpr1
                                        ; implicit-def: $vgpr2
	s_and_saveexec_b64 s[22:23], s[20:21]
	s_xor_b64 s[22:23], exec, s[22:23]
; %bb.1662:                             ;   in Loop: Header=BB4_1284 Depth=2
	v_cmp_lt_u64_e64 s[20:21], s[72:73], v[34:35]
	v_add_u32_e32 v0, 15, v51
	v_cndmask_b32_e64 v2, v50, v0, s[20:21]
	v_cndmask_b32_e64 v0, 0, 1, s[20:21]
	v_lshrrev_b64 v[0:1], v0, v[34:35]
; %bb.1663:                             ;   in Loop: Header=BB4_1284 Depth=2
	s_andn2_saveexec_b64 s[20:21], s[22:23]
; %bb.1664:                             ;   in Loop: Header=BB4_1284 Depth=2
	v_mov_b32_e32 v0, v34
	v_bfe_u32 v2, v34, 23, 1
	v_mov_b32_e32 v1, v35
; %bb.1665:                             ;   in Loop: Header=BB4_1284 Depth=2
	s_or_b64 exec, exec, s[20:21]
	v_lshrrev_b64 v[0:1], 21, v[0:1]
	v_cmp_gt_i32_e64 s[20:21], 32, v2
	v_cndmask_b32_e64 v1, 0, v1, s[20:21]
	v_cndmask_b32_e64 v0, 3, v0, s[20:21]
	v_cmp_eq_u64_e64 s[22:23], 0, v[0:1]
	v_min_i32_e32 v1, 31, v2
	v_lshlrev_b32_e32 v1, 2, v1
	v_cmp_eq_u32_e64 s[20:21], 0, v2
	v_and_b32_e32 v1, 0xfc, v1
	v_and_or_b32 v0, v0, 3, v1
	s_and_b64 s[20:21], s[20:21], s[22:23]
	v_cndmask_b32_e64 v0, v0, 0, s[20:21]
	v_or_b32_e32 v50, v0, v3
.LBB4_1666:                             ;   in Loop: Header=BB4_1284 Depth=2
	s_or_b64 exec, exec, s[94:95]
                                        ; implicit-def: $vgpr3
.LBB4_1667:                             ;   in Loop: Header=BB4_1284 Depth=2
	s_andn2_saveexec_b64 s[20:21], s[92:93]
; %bb.1668:                             ;   in Loop: Header=BB4_1284 Depth=2
	v_or_b32_e32 v50, 0x7b, v3
; %bb.1669:                             ;   in Loop: Header=BB4_1284 Depth=2
	s_or_b64 exec, exec, s[20:21]
                                        ; implicit-def: $vgpr0
.LBB4_1670:                             ;   in Loop: Header=BB4_1284 Depth=2
	s_andn2_saveexec_b64 s[22:23], s[24:25]
	s_cbranch_execz .LBB4_1676
; %bb.1671:                             ;   in Loop: Header=BB4_1284 Depth=2
	v_cmp_ne_u64_e64 s[20:21], 0, v[34:35]
                                        ; implicit-def: $vgpr50
	s_and_saveexec_b64 s[24:25], s[20:21]
	s_xor_b64 s[20:21], exec, s[24:25]
; %bb.1672:                             ;   in Loop: Header=BB4_1284 Depth=2
	v_or_b32_sdwa v50, v0, s65 dst_sel:DWORD dst_unused:UNUSED_PAD src0_sel:BYTE_3 src1_sel:DWORD
                                        ; implicit-def: $vgpr0
; %bb.1673:                             ;   in Loop: Header=BB4_1284 Depth=2
	s_andn2_saveexec_b64 s[24:25], s[20:21]
; %bb.1674:                             ;   in Loop: Header=BB4_1284 Depth=2
	v_cmp_lt_i32_e64 s[20:21], -1, v0
	v_bfrev_b32_e32 v0, 0.5
	v_mov_b32_e32 v1, 0x7c
	v_cndmask_b32_e64 v50, v0, v1, s[20:21]
; %bb.1675:                             ;   in Loop: Header=BB4_1284 Depth=2
	s_or_b64 exec, exec, s[24:25]
.LBB4_1676:                             ;   in Loop: Header=BB4_1284 Depth=2
	s_or_b64 exec, exec, s[22:23]
	v_mov_b32_e32 v34, v17
	v_cmp_ne_u16_sdwa s[20:21], v17, v35 src0_sel:BYTE_0 src1_sel:DWORD
	v_mov_b32_e32 v2, 0
	s_and_saveexec_b64 s[22:23], s[20:21]
	s_cbranch_execz .LBB4_1684
; %bb.1677:                             ;   in Loop: Header=BB4_1284 Depth=2
	v_cmp_ne_u16_sdwa s[20:21], v17, s55 src0_sel:BYTE_0 src1_sel:DWORD
	v_bfrev_b32_e32 v2, 1
	s_and_saveexec_b64 s[24:25], s[20:21]
	s_cbranch_execz .LBB4_1683
; %bb.1678:                             ;   in Loop: Header=BB4_1284 Depth=2
	v_and_b32_e32 v1, 0x7c, v17
	v_and_b32_e32 v0, 3, v17
	v_cmp_ne_u32_e64 s[20:21], s53, v1
                                        ; implicit-def: $vgpr2
	s_and_saveexec_b64 s[92:93], s[20:21]
	s_xor_b64 s[92:93], exec, s[92:93]
	s_cbranch_execz .LBB4_1680
; %bb.1679:                             ;   in Loop: Header=BB4_1284 Depth=2
	v_ffbh_u32_e32 v1, v0
	v_min_u32_e32 v51, 32, v1
	v_subrev_u32_e32 v1, 29, v51
	v_lshlrev_b64 v[1:2], v1, v[34:35]
	v_bfe_u32 v3, v17, 2, 5
	v_and_b32_e32 v1, 3, v1
	v_cmp_eq_u32_e64 s[20:21], 0, v3
	v_sub_u32_e32 v2, 30, v51
	v_cndmask_b32_e64 v0, v0, v1, s[20:21]
	v_lshlrev_b32_e32 v1, 24, v17
	v_cndmask_b32_e64 v2, v3, v2, s[20:21]
	v_and_b32_e32 v1, 0x80000000, v1
	v_lshl_add_u32 v1, v2, 23, v1
	v_lshl_or_b32 v0, v0, 21, v1
	v_add_u32_e32 v2, 0x38000000, v0
                                        ; implicit-def: $vgpr0
.LBB4_1680:                             ;   in Loop: Header=BB4_1284 Depth=2
	s_andn2_saveexec_b64 s[92:93], s[92:93]
; %bb.1681:                             ;   in Loop: Header=BB4_1284 Depth=2
	v_mov_b32_e32 v1, -1
	v_cmp_gt_i16_sdwa s[20:21], sext(v17), v1 src0_sel:BYTE_0 src1_sel:DWORD
	v_cndmask_b32_e64 v1, v5, v36, s[20:21]
	v_cmp_eq_u32_e64 s[20:21], 0, v0
	v_cndmask_b32_e64 v2, v37, v1, s[20:21]
; %bb.1682:                             ;   in Loop: Header=BB4_1284 Depth=2
	s_or_b64 exec, exec, s[92:93]
.LBB4_1683:                             ;   in Loop: Header=BB4_1284 Depth=2
	s_or_b64 exec, exec, s[24:25]
.LBB4_1684:                             ;   in Loop: Header=BB4_1284 Depth=2
	s_or_b64 exec, exec, s[22:23]
	v_cmp_gt_i16_sdwa s[22:23], v13, s65 src0_sel:BYTE_0 src1_sel:DWORD
	s_mov_b64 s[20:21], 0
	s_and_saveexec_b64 s[24:25], s[22:23]
	s_xor_b64 s[22:23], exec, s[24:25]
	s_cbranch_execz .LBB4_1688
; %bb.1685:                             ;   in Loop: Header=BB4_1284 Depth=2
	v_cmp_eq_u16_sdwa s[92:93], v13, s55 src0_sel:BYTE_0 src1_sel:DWORD
	s_mov_b64 s[20:21], -1
	s_and_saveexec_b64 s[24:25], s[92:93]
; %bb.1686:                             ;   in Loop: Header=BB4_1284 Depth=2
	s_xor_b64 s[20:21], exec, -1
; %bb.1687:                             ;   in Loop: Header=BB4_1284 Depth=2
	s_or_b64 exec, exec, s[24:25]
	s_and_b64 s[20:21], s[20:21], exec
.LBB4_1688:                             ;   in Loop: Header=BB4_1284 Depth=2
	s_or_saveexec_b64 s[22:23], s[22:23]
	v_bfrev_b32_e32 v3, 1
	s_xor_b64 exec, exec, s[22:23]
; %bb.1689:                             ;   in Loop: Header=BB4_1284 Depth=2
	v_cmp_ne_u16_sdwa s[24:25], v13, v35 src0_sel:BYTE_0 src1_sel:DWORD
	s_andn2_b64 s[20:21], s[20:21], exec
	s_and_b64 s[24:25], s[24:25], exec
	v_mov_b32_e32 v3, 0
	s_or_b64 s[20:21], s[20:21], s[24:25]
; %bb.1690:                             ;   in Loop: Header=BB4_1284 Depth=2
	s_or_b64 exec, exec, s[22:23]
	v_mov_b32_e32 v0, v13
	v_mov_b32_e32 v1, v35
	s_and_saveexec_b64 s[92:93], s[20:21]
	s_cbranch_execz .LBB4_1692
; %bb.1691:                             ;   in Loop: Header=BB4_1284 Depth=2
	v_and_b32_e32 v3, 3, v13
	v_and_b32_e32 v51, 0x7c, v13
	v_cmp_eq_u32_e64 s[20:21], s53, v51
	v_ffbh_u32_e32 v51, v3
	v_min_u32_e32 v40, 32, v51
	v_subrev_u32_e32 v51, 29, v40
	v_lshlrev_b64 v[51:52], v51, v[0:1]
	v_bfe_u32 v53, v13, 2, 5
	v_cmp_eq_u32_e64 s[22:23], 0, v53
	v_sub_u32_e32 v1, 30, v40
	v_and_b32_e32 v51, 3, v51
	v_lshlrev_b32_e32 v52, 24, v13
	v_cndmask_b32_e64 v1, v53, v1, s[22:23]
	v_cndmask_b32_e64 v51, v3, v51, s[22:23]
	v_and_b32_e32 v52, 0x80000000, v52
	v_cmp_eq_u32_e64 s[22:23], 0, v3
	v_mov_b32_e32 v3, -1
	v_lshl_add_u32 v1, v1, 23, v52
	v_cmp_gt_i16_sdwa s[24:25], sext(v13), v3 src0_sel:BYTE_0 src1_sel:DWORD
	v_lshl_or_b32 v1, v51, 21, v1
	v_cndmask_b32_e64 v3, v5, v36, s[24:25]
	v_add_u32_e32 v1, 0x38000000, v1
	v_cndmask_b32_e64 v3, v37, v3, s[22:23]
	v_cndmask_b32_e64 v3, v1, v3, s[20:21]
.LBB4_1692:                             ;   in Loop: Header=BB4_1284 Depth=2
	s_or_b64 exec, exec, s[92:93]
	v_mul_f32_e32 v52, v2, v3
	v_and_b32_e32 v2, 0x7f800000, v52
	v_mov_b32_e32 v3, v35
	v_cmp_ne_u64_e64 s[20:21], s[60:61], v[2:3]
	v_and_b32_e32 v1, 0x7fffff, v52
	v_mov_b32_e32 v2, v35
                                        ; implicit-def: $vgpr3
	s_and_saveexec_b64 s[22:23], s[20:21]
	s_xor_b64 s[24:25], exec, s[22:23]
	s_cbranch_execz .LBB4_1706
; %bb.1693:                             ;   in Loop: Header=BB4_1284 Depth=2
	v_and_b32_e32 v40, 0x7fffffff, v52
	v_mov_b32_e32 v41, v35
	v_cmp_gt_u64_e64 s[20:21], s[62:63], v[40:41]
	v_and_b32_sdwa v51, v52, s55 dst_sel:DWORD dst_unused:UNUSED_PAD src0_sel:BYTE_3 src1_sel:DWORD
                                        ; implicit-def: $vgpr3
	s_and_saveexec_b64 s[22:23], s[20:21]
	s_xor_b64 s[92:93], exec, s[22:23]
	s_cbranch_execz .LBB4_1703
; %bb.1694:                             ;   in Loop: Header=BB4_1284 Depth=2
	v_mov_b32_e32 v3, 0
	v_cmp_ne_u32_e64 s[20:21], 0, v52
	s_and_saveexec_b64 s[94:95], s[20:21]
	s_cbranch_execz .LBB4_1702
; %bb.1695:                             ;   in Loop: Header=BB4_1284 Depth=2
	v_bfe_u32 v52, v52, 23, 8
	v_cmp_gt_u32_e64 s[22:23], s64, v52
	v_sub_u32_e32 v3, 0x71, v52
	v_cmp_eq_u32_e64 s[20:21], 0, v52
	v_cndmask_b32_e64 v3, 0, v3, s[22:23]
	v_mov_b32_e32 v53, 0x70
	v_cndmask_b32_e64 v53, v3, v53, s[20:21]
	v_or_b32_e32 v40, 0x800000, v1
	v_add_u32_e32 v3, 21, v53
	v_cndmask_b32_e64 v1, v40, v1, s[20:21]
	v_lshlrev_b64 v[40:41], v3, -1
	v_add_u32_e32 v3, 20, v53
	v_bfi_b32 v40, v40, 0, v1
	v_lshlrev_b64 v[42:43], v3, 1
	v_lshrrev_b64 v[1:2], v53, v[1:2]
	v_bfi_b32 v41, v41, 0, 0
	v_cmp_eq_u64_e64 s[22:23], v[40:41], v[42:43]
	v_mov_b32_e32 v3, v2
	v_mov_b32_e32 v2, v1
	s_and_saveexec_b64 s[30:31], s[22:23]
; %bb.1696:                             ;   in Loop: Header=BB4_1284 Depth=2
	v_bfe_u32 v2, v1, 21, 1
	v_add_co_u32_e64 v2, s[22:23], v1, v2
	v_add_co_u32_e64 v2, s[22:23], -1, v2
; %bb.1697:                             ;   in Loop: Header=BB4_1284 Depth=2
	s_or_b64 exec, exec, s[30:31]
	v_add_u32_e32 v3, 0xffffff81, v52
	v_mov_b32_e32 v52, 0xffffff82
	v_cndmask_b32_e64 v3, v3, v52, s[20:21]
	v_lshrrev_b32_e32 v52, 23, v1
	v_add3_u32 v53, v53, v3, v52
	v_add_u32_e32 v52, 14, v53
	v_and_b32_e32 v2, 0x1fffff, v2
	v_add_u32_e32 v1, v2, v1
	v_mov_b32_e32 v2, v35
	v_cmp_ne_u32_e64 s[20:21], 0, v52
                                        ; implicit-def: $vgpr3
	s_and_saveexec_b64 s[22:23], s[20:21]
	s_xor_b64 s[22:23], exec, s[22:23]
; %bb.1698:                             ;   in Loop: Header=BB4_1284 Depth=2
	v_cmp_lt_u64_e64 s[20:21], s[72:73], v[1:2]
	v_add_u32_e32 v3, 15, v53
	v_cndmask_b32_e64 v3, v52, v3, s[20:21]
	v_cndmask_b32_e64 v52, 0, 1, s[20:21]
	v_lshrrev_b64 v[1:2], v52, v[1:2]
; %bb.1699:                             ;   in Loop: Header=BB4_1284 Depth=2
	s_andn2_saveexec_b64 s[20:21], s[22:23]
; %bb.1700:                             ;   in Loop: Header=BB4_1284 Depth=2
	v_bfe_u32 v3, v1, 23, 1
; %bb.1701:                             ;   in Loop: Header=BB4_1284 Depth=2
	s_or_b64 exec, exec, s[20:21]
	v_lshrrev_b64 v[1:2], 21, v[1:2]
	v_cmp_gt_i32_e64 s[20:21], 32, v3
	v_cndmask_b32_e64 v2, 0, v2, s[20:21]
	v_cndmask_b32_e64 v1, 3, v1, s[20:21]
	v_cmp_eq_u64_e64 s[22:23], 0, v[1:2]
	v_min_i32_e32 v2, 31, v3
	v_lshlrev_b32_e32 v2, 2, v2
	v_cmp_eq_u32_e64 s[20:21], 0, v3
	v_and_b32_e32 v2, 0xfc, v2
	v_and_or_b32 v1, v1, 3, v2
	s_and_b64 s[20:21], s[20:21], s[22:23]
	v_cndmask_b32_e64 v1, v1, 0, s[20:21]
	v_or_b32_e32 v3, v1, v51
.LBB4_1702:                             ;   in Loop: Header=BB4_1284 Depth=2
	s_or_b64 exec, exec, s[94:95]
                                        ; implicit-def: $vgpr51
.LBB4_1703:                             ;   in Loop: Header=BB4_1284 Depth=2
	s_andn2_saveexec_b64 s[20:21], s[92:93]
; %bb.1704:                             ;   in Loop: Header=BB4_1284 Depth=2
	v_or_b32_e32 v3, 0x7b, v51
; %bb.1705:                             ;   in Loop: Header=BB4_1284 Depth=2
	s_or_b64 exec, exec, s[20:21]
                                        ; implicit-def: $vgpr52
                                        ; implicit-def: $vgpr1_vgpr2
.LBB4_1706:                             ;   in Loop: Header=BB4_1284 Depth=2
	s_andn2_saveexec_b64 s[22:23], s[24:25]
	s_cbranch_execz .LBB4_1712
; %bb.1707:                             ;   in Loop: Header=BB4_1284 Depth=2
	v_cmp_ne_u64_e64 s[20:21], 0, v[1:2]
                                        ; implicit-def: $vgpr3
	s_and_saveexec_b64 s[24:25], s[20:21]
	s_xor_b64 s[20:21], exec, s[24:25]
; %bb.1708:                             ;   in Loop: Header=BB4_1284 Depth=2
	v_or_b32_sdwa v3, v52, s65 dst_sel:DWORD dst_unused:UNUSED_PAD src0_sel:BYTE_3 src1_sel:DWORD
                                        ; implicit-def: $vgpr52
; %bb.1709:                             ;   in Loop: Header=BB4_1284 Depth=2
	s_andn2_saveexec_b64 s[24:25], s[20:21]
; %bb.1710:                             ;   in Loop: Header=BB4_1284 Depth=2
	v_cmp_lt_i32_e64 s[20:21], -1, v52
	v_bfrev_b32_e32 v1, 0.5
	v_mov_b32_e32 v2, 0x7c
	v_cndmask_b32_e64 v3, v1, v2, s[20:21]
; %bb.1711:                             ;   in Loop: Header=BB4_1284 Depth=2
	s_or_b64 exec, exec, s[24:25]
.LBB4_1712:                             ;   in Loop: Header=BB4_1284 Depth=2
	s_or_b64 exec, exec, s[22:23]
	v_lshrrev_b16_e32 v1, 8, v34
	v_cmp_ne_u16_e64 s[20:21], 0, v1
	v_mov_b32_e32 v2, 0
	s_and_saveexec_b64 s[22:23], s[20:21]
	s_cbranch_execz .LBB4_1720
; %bb.1713:                             ;   in Loop: Header=BB4_1284 Depth=2
	v_cmp_ne_u16_e64 s[20:21], s55, v1
	v_bfrev_b32_e32 v2, 1
	s_and_saveexec_b64 s[24:25], s[20:21]
	s_cbranch_execz .LBB4_1719
; %bb.1714:                             ;   in Loop: Header=BB4_1284 Depth=2
	v_and_b32_e32 v2, 0x7c, v1
	v_and_b32_e32 v51, 3, v1
	v_cmp_ne_u32_e64 s[20:21], s53, v2
                                        ; implicit-def: $vgpr2
	s_and_saveexec_b64 s[92:93], s[20:21]
	s_xor_b64 s[92:93], exec, s[92:93]
	s_cbranch_execz .LBB4_1716
; %bb.1715:                             ;   in Loop: Header=BB4_1284 Depth=2
	v_ffbh_u32_e32 v53, v51
	v_min_u32_e32 v53, 32, v53
	v_mov_b32_e32 v2, v35
	v_subrev_u32_e32 v40, 29, v53
	v_bfe_u32 v52, v1, 2, 5
	v_lshlrev_b64 v[1:2], v40, v[1:2]
	v_sub_u32_e32 v2, 30, v53
	v_cmp_eq_u32_e64 s[20:21], 0, v52
	v_lshlrev_b32_e32 v34, 16, v34
	v_and_b32_e32 v1, 3, v1
	v_cndmask_b32_e64 v2, v52, v2, s[20:21]
	v_and_b32_e32 v34, 0x80000000, v34
	v_cndmask_b32_e64 v1, v51, v1, s[20:21]
	v_lshl_add_u32 v2, v2, 23, v34
	v_lshl_or_b32 v1, v1, 21, v2
	v_add_u32_e32 v2, 0x38000000, v1
                                        ; implicit-def: $vgpr51
.LBB4_1716:                             ;   in Loop: Header=BB4_1284 Depth=2
	s_andn2_saveexec_b64 s[92:93], s[92:93]
; %bb.1717:                             ;   in Loop: Header=BB4_1284 Depth=2
	v_cmp_lt_i16_e64 s[20:21], -1, v34
	v_cndmask_b32_e64 v1, v5, v36, s[20:21]
	v_cmp_eq_u32_e64 s[20:21], 0, v51
	v_cndmask_b32_e64 v2, v37, v1, s[20:21]
; %bb.1718:                             ;   in Loop: Header=BB4_1284 Depth=2
	s_or_b64 exec, exec, s[92:93]
.LBB4_1719:                             ;   in Loop: Header=BB4_1284 Depth=2
	s_or_b64 exec, exec, s[24:25]
.LBB4_1720:                             ;   in Loop: Header=BB4_1284 Depth=2
	s_or_b64 exec, exec, s[22:23]
	v_lshrrev_b16_e32 v34, 8, v0
	v_cmp_lt_i16_e64 s[20:21], s65, v34
	s_mov_b64 s[22:23], 0
	s_and_saveexec_b64 s[24:25], s[20:21]
	s_xor_b64 s[24:25], exec, s[24:25]
	s_cbranch_execz .LBB4_1823
; %bb.1721:                             ;   in Loop: Header=BB4_1284 Depth=2
	v_cmp_eq_u16_e64 s[20:21], s55, v34
	s_mov_b64 s[22:23], -1
	s_and_saveexec_b64 s[92:93], s[20:21]
; %bb.1722:                             ;   in Loop: Header=BB4_1284 Depth=2
	s_xor_b64 s[22:23], exec, -1
; %bb.1723:                             ;   in Loop: Header=BB4_1284 Depth=2
	s_or_b64 exec, exec, s[92:93]
	s_and_b64 s[22:23], s[22:23], exec
	s_or_saveexec_b64 s[24:25], s[24:25]
	v_bfrev_b32_e32 v1, 1
	s_xor_b64 exec, exec, s[24:25]
	s_cbranch_execnz .LBB4_1824
.LBB4_1724:                             ;   in Loop: Header=BB4_1284 Depth=2
	s_or_b64 exec, exec, s[24:25]
	s_and_saveexec_b64 s[92:93], s[22:23]
	s_cbranch_execz .LBB4_1726
.LBB4_1725:                             ;   in Loop: Header=BB4_1284 Depth=2
	v_and_b32_e32 v1, 3, v34
	v_and_b32_e32 v51, 0x7c, v34
	v_cmp_eq_u32_e64 s[20:21], s53, v51
	v_ffbh_u32_e32 v51, v1
	v_min_u32_e32 v40, 32, v51
	v_subrev_u32_e32 v51, 29, v40
	v_bfe_u32 v53, v34, 2, 5
	v_lshlrev_b64 v[51:52], v51, v[34:35]
	v_cmp_eq_u32_e64 s[22:23], 0, v53
	v_sub_u32_e32 v52, 30, v40
	v_lshlrev_b32_e32 v34, 24, v34
	v_and_b32_e32 v51, 3, v51
	v_cndmask_b32_e64 v52, v53, v52, s[22:23]
	v_and_b32_e32 v34, 0x80000000, v34
	v_cndmask_b32_e64 v51, v1, v51, s[22:23]
	v_lshl_add_u32 v34, v52, 23, v34
	v_cmp_lt_i16_e64 s[24:25], -1, v0
	v_lshl_or_b32 v34, v51, 21, v34
	v_cmp_eq_u32_e64 s[22:23], 0, v1
	v_cndmask_b32_e64 v0, v5, v36, s[24:25]
	v_add_u32_e32 v34, 0x38000000, v34
	v_cndmask_b32_e64 v0, v37, v0, s[22:23]
	v_cndmask_b32_e64 v1, v34, v0, s[20:21]
.LBB4_1726:                             ;   in Loop: Header=BB4_1284 Depth=2
	s_or_b64 exec, exec, s[92:93]
	v_mul_f32_e32 v0, v2, v1
	v_and_b32_e32 v1, 0x7f800000, v0
	v_mov_b32_e32 v2, v35
	v_cmp_ne_u64_e64 s[20:21], s[60:61], v[1:2]
	v_and_b32_e32 v34, 0x7fffff, v0
                                        ; implicit-def: $vgpr51
	s_and_saveexec_b64 s[22:23], s[20:21]
	s_xor_b64 s[24:25], exec, s[22:23]
	s_cbranch_execz .LBB4_1740
; %bb.1727:                             ;   in Loop: Header=BB4_1284 Depth=2
	v_and_b32_e32 v1, 0x7fffffff, v0
	v_mov_b32_e32 v2, v35
	v_cmp_gt_u64_e64 s[20:21], s[62:63], v[1:2]
	v_and_b32_sdwa v52, v0, s55 dst_sel:DWORD dst_unused:UNUSED_PAD src0_sel:BYTE_3 src1_sel:DWORD
                                        ; implicit-def: $vgpr51
	s_and_saveexec_b64 s[22:23], s[20:21]
	s_xor_b64 s[92:93], exec, s[22:23]
	s_cbranch_execz .LBB4_1737
; %bb.1728:                             ;   in Loop: Header=BB4_1284 Depth=2
	v_mov_b32_e32 v51, 0
	v_cmp_ne_u32_e64 s[20:21], 0, v0
	s_and_saveexec_b64 s[94:95], s[20:21]
	s_cbranch_execz .LBB4_1736
; %bb.1729:                             ;   in Loop: Header=BB4_1284 Depth=2
	v_bfe_u32 v51, v0, 23, 8
	v_cmp_gt_u32_e64 s[22:23], s64, v51
	v_sub_u32_e32 v0, 0x71, v51
	v_cmp_eq_u32_e64 s[20:21], 0, v51
	v_cndmask_b32_e64 v0, 0, v0, s[22:23]
	v_mov_b32_e32 v2, 0x70
	v_cndmask_b32_e64 v53, v0, v2, s[20:21]
	v_or_b32_e32 v1, 0x800000, v34
	v_add_u32_e32 v0, 21, v53
	v_cndmask_b32_e64 v34, v1, v34, s[20:21]
	v_lshlrev_b64 v[0:1], v0, -1
	v_add_u32_e32 v2, 20, v53
	v_lshlrev_b64 v[40:41], v2, 1
	v_bfi_b32 v1, v1, 0, 0
	v_bfi_b32 v0, v0, 0, v34
	v_cmp_eq_u64_e64 s[22:23], v[0:1], v[40:41]
	v_lshrrev_b64 v[0:1], v53, v[34:35]
	v_mov_b32_e32 v2, v1
	v_mov_b32_e32 v1, v0
	s_and_saveexec_b64 s[30:31], s[22:23]
; %bb.1730:                             ;   in Loop: Header=BB4_1284 Depth=2
	v_bfe_u32 v1, v0, 21, 1
	v_add_co_u32_e64 v1, s[22:23], v0, v1
	v_add_co_u32_e64 v1, s[22:23], -1, v1
; %bb.1731:                             ;   in Loop: Header=BB4_1284 Depth=2
	s_or_b64 exec, exec, s[30:31]
	v_add_u32_e32 v2, 0xffffff81, v51
	v_mov_b32_e32 v34, 0xffffff82
	v_cndmask_b32_e64 v2, v2, v34, s[20:21]
	v_lshrrev_b32_e32 v34, 23, v0
	v_add3_u32 v53, v53, v2, v34
	v_add_u32_e32 v51, 14, v53
	v_and_b32_e32 v1, 0x1fffff, v1
	v_add_u32_e32 v34, v1, v0
	v_cmp_ne_u32_e64 s[20:21], 0, v51
                                        ; implicit-def: $vgpr0_vgpr1
                                        ; implicit-def: $vgpr2
	s_and_saveexec_b64 s[22:23], s[20:21]
	s_xor_b64 s[22:23], exec, s[22:23]
; %bb.1732:                             ;   in Loop: Header=BB4_1284 Depth=2
	v_cmp_lt_u64_e64 s[20:21], s[72:73], v[34:35]
	v_add_u32_e32 v0, 15, v53
	v_cndmask_b32_e64 v2, v51, v0, s[20:21]
	v_cndmask_b32_e64 v0, 0, 1, s[20:21]
	v_lshrrev_b64 v[0:1], v0, v[34:35]
; %bb.1733:                             ;   in Loop: Header=BB4_1284 Depth=2
	s_andn2_saveexec_b64 s[20:21], s[22:23]
; %bb.1734:                             ;   in Loop: Header=BB4_1284 Depth=2
	v_mov_b32_e32 v0, v34
	v_bfe_u32 v2, v34, 23, 1
	v_mov_b32_e32 v1, v35
; %bb.1735:                             ;   in Loop: Header=BB4_1284 Depth=2
	s_or_b64 exec, exec, s[20:21]
	v_lshrrev_b64 v[0:1], 21, v[0:1]
	v_cmp_gt_i32_e64 s[20:21], 32, v2
	v_cndmask_b32_e64 v1, 0, v1, s[20:21]
	v_cndmask_b32_e64 v0, 3, v0, s[20:21]
	v_cmp_eq_u64_e64 s[22:23], 0, v[0:1]
	v_min_i32_e32 v1, 31, v2
	v_lshlrev_b32_e32 v1, 2, v1
	v_cmp_eq_u32_e64 s[20:21], 0, v2
	v_and_b32_e32 v1, 0xfc, v1
	v_and_or_b32 v0, v0, 3, v1
	s_and_b64 s[20:21], s[20:21], s[22:23]
	v_cndmask_b32_e64 v0, v0, 0, s[20:21]
	v_or_b32_e32 v51, v0, v52
.LBB4_1736:                             ;   in Loop: Header=BB4_1284 Depth=2
	s_or_b64 exec, exec, s[94:95]
                                        ; implicit-def: $vgpr52
.LBB4_1737:                             ;   in Loop: Header=BB4_1284 Depth=2
	s_andn2_saveexec_b64 s[20:21], s[92:93]
; %bb.1738:                             ;   in Loop: Header=BB4_1284 Depth=2
	v_or_b32_e32 v51, 0x7b, v52
; %bb.1739:                             ;   in Loop: Header=BB4_1284 Depth=2
	s_or_b64 exec, exec, s[20:21]
                                        ; implicit-def: $vgpr0
.LBB4_1740:                             ;   in Loop: Header=BB4_1284 Depth=2
	s_andn2_saveexec_b64 s[22:23], s[24:25]
	s_cbranch_execz .LBB4_1746
; %bb.1741:                             ;   in Loop: Header=BB4_1284 Depth=2
	v_cmp_ne_u64_e64 s[20:21], 0, v[34:35]
                                        ; implicit-def: $vgpr51
	s_and_saveexec_b64 s[24:25], s[20:21]
	s_xor_b64 s[20:21], exec, s[24:25]
; %bb.1742:                             ;   in Loop: Header=BB4_1284 Depth=2
	v_or_b32_sdwa v51, v0, s65 dst_sel:DWORD dst_unused:UNUSED_PAD src0_sel:BYTE_3 src1_sel:DWORD
                                        ; implicit-def: $vgpr0
; %bb.1743:                             ;   in Loop: Header=BB4_1284 Depth=2
	s_andn2_saveexec_b64 s[24:25], s[20:21]
; %bb.1744:                             ;   in Loop: Header=BB4_1284 Depth=2
	v_cmp_lt_i32_e64 s[20:21], -1, v0
	v_bfrev_b32_e32 v0, 0.5
	v_mov_b32_e32 v1, 0x7c
	v_cndmask_b32_e64 v51, v0, v1, s[20:21]
; %bb.1745:                             ;   in Loop: Header=BB4_1284 Depth=2
	s_or_b64 exec, exec, s[24:25]
.LBB4_1746:                             ;   in Loop: Header=BB4_1284 Depth=2
	s_or_b64 exec, exec, s[22:23]
	v_lshrrev_b32_e32 v0, 16, v17
	v_cmp_ne_u16_sdwa s[20:21], v0, v35 src0_sel:BYTE_0 src1_sel:DWORD
	v_mov_b32_e32 v1, 0
	s_and_saveexec_b64 s[22:23], s[20:21]
	s_cbranch_execz .LBB4_1754
; %bb.1747:                             ;   in Loop: Header=BB4_1284 Depth=2
	v_cmp_ne_u16_sdwa s[20:21], v0, s55 src0_sel:BYTE_0 src1_sel:DWORD
	v_bfrev_b32_e32 v1, 1
	s_and_saveexec_b64 s[24:25], s[20:21]
	s_cbranch_execz .LBB4_1753
; %bb.1748:                             ;   in Loop: Header=BB4_1284 Depth=2
	v_and_b32_e32 v1, 0x7c0000, v17
	v_bfe_u32 v2, v17, 16, 2
	v_cmp_ne_u32_e64 s[20:21], s66, v1
                                        ; implicit-def: $vgpr1
	s_and_saveexec_b64 s[92:93], s[20:21]
	s_xor_b64 s[92:93], exec, s[92:93]
	s_cbranch_execz .LBB4_1750
; %bb.1749:                             ;   in Loop: Header=BB4_1284 Depth=2
	v_ffbh_u32_e32 v1, v2
	v_min_u32_e32 v52, 32, v1
	v_subrev_u32_e32 v1, 29, v52
	v_lshlrev_b64 v[0:1], v1, v[0:1]
	v_bfe_u32 v34, v17, 18, 5
	v_and_b32_e32 v0, 3, v0
	v_cmp_eq_u32_e64 s[20:21], 0, v34
	v_sub_u32_e32 v1, 30, v52
	v_cndmask_b32_e64 v0, v2, v0, s[20:21]
	v_lshlrev_b32_e32 v2, 8, v17
	v_cndmask_b32_e64 v1, v34, v1, s[20:21]
	v_and_b32_e32 v2, 0x80000000, v2
	v_lshl_add_u32 v1, v1, 23, v2
	v_lshl_or_b32 v0, v0, 21, v1
	v_add_u32_e32 v1, 0x38000000, v0
                                        ; implicit-def: $vgpr2
                                        ; implicit-def: $vgpr0
.LBB4_1750:                             ;   in Loop: Header=BB4_1284 Depth=2
	s_andn2_saveexec_b64 s[92:93], s[92:93]
; %bb.1751:                             ;   in Loop: Header=BB4_1284 Depth=2
	v_mov_b32_e32 v1, -1
	v_cmp_gt_i16_sdwa s[20:21], sext(v0), v1 src0_sel:BYTE_0 src1_sel:DWORD
	v_cndmask_b32_e64 v0, v5, v36, s[20:21]
	v_cmp_eq_u32_e64 s[20:21], 0, v2
	v_cndmask_b32_e64 v1, v37, v0, s[20:21]
; %bb.1752:                             ;   in Loop: Header=BB4_1284 Depth=2
	s_or_b64 exec, exec, s[92:93]
.LBB4_1753:                             ;   in Loop: Header=BB4_1284 Depth=2
	s_or_b64 exec, exec, s[24:25]
.LBB4_1754:                             ;   in Loop: Header=BB4_1284 Depth=2
	s_or_b64 exec, exec, s[22:23]
	v_lshrrev_b32_e32 v0, 16, v13
	v_cmp_gt_i16_sdwa s[22:23], v0, s65 src0_sel:BYTE_0 src1_sel:DWORD
	s_mov_b64 s[20:21], 0
	s_and_saveexec_b64 s[24:25], s[22:23]
	s_xor_b64 s[22:23], exec, s[24:25]
	s_cbranch_execz .LBB4_1825
; %bb.1755:                             ;   in Loop: Header=BB4_1284 Depth=2
	v_cmp_eq_u16_sdwa s[92:93], v0, s55 src0_sel:BYTE_0 src1_sel:DWORD
	s_mov_b64 s[20:21], -1
	s_and_saveexec_b64 s[24:25], s[92:93]
; %bb.1756:                             ;   in Loop: Header=BB4_1284 Depth=2
	s_xor_b64 s[20:21], exec, -1
; %bb.1757:                             ;   in Loop: Header=BB4_1284 Depth=2
	s_or_b64 exec, exec, s[24:25]
	s_and_b64 s[20:21], s[20:21], exec
	s_or_saveexec_b64 s[22:23], s[22:23]
	v_bfrev_b32_e32 v2, 1
	s_xor_b64 exec, exec, s[22:23]
	s_cbranch_execnz .LBB4_1826
.LBB4_1758:                             ;   in Loop: Header=BB4_1284 Depth=2
	s_or_b64 exec, exec, s[22:23]
	s_and_saveexec_b64 s[92:93], s[20:21]
	s_cbranch_execz .LBB4_1760
.LBB4_1759:                             ;   in Loop: Header=BB4_1284 Depth=2
	v_and_b32_e32 v2, 3, v0
	v_and_b32_e32 v52, 0x7c0000, v13
	v_cmp_eq_u32_e64 s[20:21], s66, v52
	v_ffbh_u32_e32 v52, v2
	v_min_u32_e32 v40, 32, v52
	v_subrev_u32_e32 v52, 29, v40
	v_bfe_u32 v34, v13, 18, 5
	v_lshlrev_b64 v[52:53], v52, v[0:1]
	v_cmp_eq_u32_e64 s[22:23], 0, v34
	v_sub_u32_e32 v53, 30, v40
	v_and_b32_e32 v52, 3, v52
	v_cndmask_b32_e64 v34, v34, v53, s[22:23]
	v_lshlrev_b32_e32 v53, 24, v0
	v_cndmask_b32_e64 v52, v2, v52, s[22:23]
	v_and_b32_e32 v53, 0x80000000, v53
	v_cmp_eq_u32_e64 s[22:23], 0, v2
	v_mov_b32_e32 v2, -1
	v_lshl_add_u32 v34, v34, 23, v53
	v_cmp_gt_i16_sdwa s[24:25], sext(v0), v2 src0_sel:BYTE_0 src1_sel:DWORD
	v_lshl_or_b32 v34, v52, 21, v34
	v_cndmask_b32_e64 v0, v5, v36, s[24:25]
	v_add_u32_e32 v34, 0x38000000, v34
	v_cndmask_b32_e64 v0, v37, v0, s[22:23]
	v_cndmask_b32_e64 v2, v34, v0, s[20:21]
.LBB4_1760:                             ;   in Loop: Header=BB4_1284 Depth=2
	s_or_b64 exec, exec, s[92:93]
	v_mul_f32_e32 v0, v1, v2
	v_and_b32_e32 v1, 0x7f800000, v0
	v_mov_b32_e32 v2, v35
	v_cmp_ne_u64_e64 s[20:21], s[60:61], v[1:2]
	v_and_b32_e32 v34, 0x7fffff, v0
                                        ; implicit-def: $vgpr52
	s_and_saveexec_b64 s[22:23], s[20:21]
	s_xor_b64 s[24:25], exec, s[22:23]
	s_cbranch_execz .LBB4_1774
; %bb.1761:                             ;   in Loop: Header=BB4_1284 Depth=2
	v_and_b32_e32 v1, 0x7fffffff, v0
	v_mov_b32_e32 v2, v35
	v_cmp_gt_u64_e64 s[20:21], s[62:63], v[1:2]
	v_and_b32_sdwa v53, v0, s55 dst_sel:DWORD dst_unused:UNUSED_PAD src0_sel:BYTE_3 src1_sel:DWORD
                                        ; implicit-def: $vgpr52
	s_and_saveexec_b64 s[22:23], s[20:21]
	s_xor_b64 s[92:93], exec, s[22:23]
	s_cbranch_execz .LBB4_1771
; %bb.1762:                             ;   in Loop: Header=BB4_1284 Depth=2
	v_mov_b32_e32 v52, 0
	v_cmp_ne_u32_e64 s[20:21], 0, v0
	s_and_saveexec_b64 s[94:95], s[20:21]
	s_cbranch_execz .LBB4_1770
; %bb.1763:                             ;   in Loop: Header=BB4_1284 Depth=2
	v_bfe_u32 v52, v0, 23, 8
	v_cmp_gt_u32_e64 s[22:23], s64, v52
	v_sub_u32_e32 v0, 0x71, v52
	v_cmp_eq_u32_e64 s[20:21], 0, v52
	v_cndmask_b32_e64 v0, 0, v0, s[22:23]
	v_mov_b32_e32 v2, 0x70
	v_cndmask_b32_e64 v40, v0, v2, s[20:21]
	v_or_b32_e32 v1, 0x800000, v34
	v_add_u32_e32 v0, 21, v40
	v_cndmask_b32_e64 v34, v1, v34, s[20:21]
	v_lshlrev_b64 v[0:1], v0, -1
	v_add_u32_e32 v2, 20, v40
	v_lshlrev_b64 v[41:42], v2, 1
	v_bfi_b32 v1, v1, 0, 0
	v_bfi_b32 v0, v0, 0, v34
	v_cmp_eq_u64_e64 s[22:23], v[0:1], v[41:42]
	v_lshrrev_b64 v[0:1], v40, v[34:35]
	v_mov_b32_e32 v2, v1
	v_mov_b32_e32 v1, v0
	s_and_saveexec_b64 s[30:31], s[22:23]
; %bb.1764:                             ;   in Loop: Header=BB4_1284 Depth=2
	v_bfe_u32 v1, v0, 21, 1
	v_add_co_u32_e64 v1, s[22:23], v0, v1
	v_add_co_u32_e64 v1, s[22:23], -1, v1
; %bb.1765:                             ;   in Loop: Header=BB4_1284 Depth=2
	s_or_b64 exec, exec, s[30:31]
	v_add_u32_e32 v2, 0xffffff81, v52
	v_mov_b32_e32 v34, 0xffffff82
	v_cndmask_b32_e64 v2, v2, v34, s[20:21]
	v_lshrrev_b32_e32 v34, 23, v0
	v_add3_u32 v40, v40, v2, v34
	v_add_u32_e32 v52, 14, v40
	v_and_b32_e32 v1, 0x1fffff, v1
	v_add_u32_e32 v34, v1, v0
	v_cmp_ne_u32_e64 s[20:21], 0, v52
                                        ; implicit-def: $vgpr0_vgpr1
                                        ; implicit-def: $vgpr2
	s_and_saveexec_b64 s[22:23], s[20:21]
	s_xor_b64 s[22:23], exec, s[22:23]
; %bb.1766:                             ;   in Loop: Header=BB4_1284 Depth=2
	v_cmp_lt_u64_e64 s[20:21], s[72:73], v[34:35]
	v_add_u32_e32 v0, 15, v40
	v_cndmask_b32_e64 v2, v52, v0, s[20:21]
	v_cndmask_b32_e64 v0, 0, 1, s[20:21]
	v_lshrrev_b64 v[0:1], v0, v[34:35]
; %bb.1767:                             ;   in Loop: Header=BB4_1284 Depth=2
	s_andn2_saveexec_b64 s[20:21], s[22:23]
; %bb.1768:                             ;   in Loop: Header=BB4_1284 Depth=2
	v_mov_b32_e32 v0, v34
	v_bfe_u32 v2, v34, 23, 1
	v_mov_b32_e32 v1, v35
; %bb.1769:                             ;   in Loop: Header=BB4_1284 Depth=2
	s_or_b64 exec, exec, s[20:21]
	v_lshrrev_b64 v[0:1], 21, v[0:1]
	v_cmp_gt_i32_e64 s[20:21], 32, v2
	v_cndmask_b32_e64 v1, 0, v1, s[20:21]
	v_cndmask_b32_e64 v0, 3, v0, s[20:21]
	v_cmp_eq_u64_e64 s[22:23], 0, v[0:1]
	v_min_i32_e32 v1, 31, v2
	v_lshlrev_b32_e32 v1, 2, v1
	v_cmp_eq_u32_e64 s[20:21], 0, v2
	v_and_b32_e32 v1, 0xfc, v1
	v_and_or_b32 v0, v0, 3, v1
	s_and_b64 s[20:21], s[20:21], s[22:23]
	v_cndmask_b32_e64 v0, v0, 0, s[20:21]
	v_or_b32_e32 v52, v0, v53
.LBB4_1770:                             ;   in Loop: Header=BB4_1284 Depth=2
	s_or_b64 exec, exec, s[94:95]
                                        ; implicit-def: $vgpr53
.LBB4_1771:                             ;   in Loop: Header=BB4_1284 Depth=2
	s_andn2_saveexec_b64 s[20:21], s[92:93]
; %bb.1772:                             ;   in Loop: Header=BB4_1284 Depth=2
	v_or_b32_e32 v52, 0x7b, v53
; %bb.1773:                             ;   in Loop: Header=BB4_1284 Depth=2
	s_or_b64 exec, exec, s[20:21]
                                        ; implicit-def: $vgpr0
.LBB4_1774:                             ;   in Loop: Header=BB4_1284 Depth=2
	s_andn2_saveexec_b64 s[22:23], s[24:25]
	s_cbranch_execz .LBB4_1780
; %bb.1775:                             ;   in Loop: Header=BB4_1284 Depth=2
	v_cmp_ne_u64_e64 s[20:21], 0, v[34:35]
                                        ; implicit-def: $vgpr52
	s_and_saveexec_b64 s[24:25], s[20:21]
	s_xor_b64 s[20:21], exec, s[24:25]
; %bb.1776:                             ;   in Loop: Header=BB4_1284 Depth=2
	v_or_b32_sdwa v52, v0, s65 dst_sel:DWORD dst_unused:UNUSED_PAD src0_sel:BYTE_3 src1_sel:DWORD
                                        ; implicit-def: $vgpr0
; %bb.1777:                             ;   in Loop: Header=BB4_1284 Depth=2
	s_andn2_saveexec_b64 s[24:25], s[20:21]
; %bb.1778:                             ;   in Loop: Header=BB4_1284 Depth=2
	v_cmp_lt_i32_e64 s[20:21], -1, v0
	v_bfrev_b32_e32 v0, 0.5
	v_mov_b32_e32 v1, 0x7c
	v_cndmask_b32_e64 v52, v0, v1, s[20:21]
; %bb.1779:                             ;   in Loop: Header=BB4_1284 Depth=2
	s_or_b64 exec, exec, s[24:25]
.LBB4_1780:                             ;   in Loop: Header=BB4_1284 Depth=2
	s_or_b64 exec, exec, s[22:23]
	v_cmp_lt_u64_e64 s[20:21], s[58:59], v[16:17]
	v_mov_b32_e32 v1, 0
	s_and_saveexec_b64 s[22:23], s[20:21]
	s_cbranch_execz .LBB4_1788
; %bb.1781:                             ;   in Loop: Header=BB4_1284 Depth=2
	v_lshrrev_b32_e32 v0, 24, v17
	v_cmp_ne_u32_e64 s[20:21], s55, v0
	v_bfrev_b32_e32 v1, 1
	s_and_saveexec_b64 s[24:25], s[20:21]
	s_cbranch_execz .LBB4_1787
; %bb.1782:                             ;   in Loop: Header=BB4_1284 Depth=2
	v_and_b32_e32 v1, 0x7c000000, v17
	v_bfe_u32 v2, v17, 24, 2
	v_cmp_ne_u32_e64 s[20:21], s67, v1
                                        ; implicit-def: $vgpr1
	s_and_saveexec_b64 s[92:93], s[20:21]
	s_xor_b64 s[92:93], exec, s[92:93]
	s_cbranch_execz .LBB4_1784
; %bb.1783:                             ;   in Loop: Header=BB4_1284 Depth=2
	v_ffbh_u32_e32 v1, v2
	v_min_u32_e32 v34, 32, v1
	v_subrev_u32_e32 v1, 29, v34
	v_lshlrev_b64 v[0:1], v1, v[0:1]
	v_bfe_u32 v16, v17, 26, 5
	v_sub_u32_e32 v1, 30, v34
	v_and_b32_e32 v0, 3, v0
	v_cmp_eq_u32_e64 s[20:21], 0, v16
	v_cndmask_b32_e64 v1, v16, v1, s[20:21]
	v_cndmask_b32_e64 v0, v2, v0, s[20:21]
	v_and_b32_e32 v2, 0x80000000, v17
	v_lshl_add_u32 v1, v1, 23, v2
	v_lshl_or_b32 v0, v0, 21, v1
	v_add_u32_e32 v1, 0x38000000, v0
                                        ; implicit-def: $vgpr2
                                        ; implicit-def: $vgpr16_vgpr17
.LBB4_1784:                             ;   in Loop: Header=BB4_1284 Depth=2
	s_andn2_saveexec_b64 s[92:93], s[92:93]
; %bb.1785:                             ;   in Loop: Header=BB4_1284 Depth=2
	v_cmp_lt_i64_e64 s[20:21], -1, v[16:17]
	v_cndmask_b32_e64 v0, v5, v36, s[20:21]
	v_cmp_eq_u32_e64 s[20:21], 0, v2
	v_cndmask_b32_e64 v1, v37, v0, s[20:21]
; %bb.1786:                             ;   in Loop: Header=BB4_1284 Depth=2
	s_or_b64 exec, exec, s[92:93]
.LBB4_1787:                             ;   in Loop: Header=BB4_1284 Depth=2
	s_or_b64 exec, exec, s[24:25]
.LBB4_1788:                             ;   in Loop: Header=BB4_1284 Depth=2
	s_or_b64 exec, exec, s[22:23]
	v_bfe_u32 v2, v13, 24, 2
	v_and_b32_e32 v16, 0x7c000000, v13
	v_cmp_eq_u32_e64 s[20:21], s67, v16
	v_ffbh_u32_e32 v16, v2
	v_min_u32_e32 v53, 32, v16
	v_lshrrev_b32_e32 v0, 24, v13
	v_subrev_u32_e32 v16, 29, v53
	v_bfe_u32 v34, v13, 26, 5
	v_lshlrev_b64 v[16:17], v16, v[0:1]
	v_cmp_eq_u32_e64 s[22:23], 0, v34
	v_sub_u32_e32 v17, 30, v53
	v_and_b32_e32 v16, 3, v16
	v_cndmask_b32_e64 v17, v34, v17, s[22:23]
	v_and_b32_e32 v34, 0x80000000, v13
	v_cmp_lt_i64_e64 s[24:25], -1, v[12:13]
	v_cndmask_b32_e64 v16, v2, v16, s[22:23]
	v_lshl_add_u32 v17, v17, 23, v34
	v_lshl_or_b32 v16, v16, 21, v17
	v_cmp_eq_u32_e64 s[22:23], 0, v2
	v_cndmask_b32_e64 v2, v5, v36, s[24:25]
	v_add_u32_e32 v16, 0x38000000, v16
	v_cndmask_b32_e64 v2, v37, v2, s[22:23]
	v_cndmask_b32_e64 v2, v16, v2, s[20:21]
	v_cmp_ne_u32_e64 s[20:21], s55, v0
	v_bfrev_b32_e32 v0, 1
	v_cndmask_b32_e64 v0, v0, v2, s[20:21]
	v_cmp_lt_u64_e64 s[20:21], s[58:59], v[12:13]
	v_mov_b32_e32 v13, v35
	v_cndmask_b32_e64 v0, 0, v0, s[20:21]
	v_mul_f32_e32 v1, v0, v1
	v_and_b32_e32 v12, 0x7f800000, v1
	v_cmp_ne_u64_e64 s[20:21], s[60:61], v[12:13]
	v_and_b32_e32 v34, 0x7fffff, v1
                                        ; implicit-def: $vgpr0
	s_and_saveexec_b64 s[22:23], s[20:21]
	s_xor_b64 s[24:25], exec, s[22:23]
	s_cbranch_execz .LBB4_1802
; %bb.1789:                             ;   in Loop: Header=BB4_1284 Depth=2
	v_and_b32_e32 v12, 0x7fffffff, v1
	v_mov_b32_e32 v13, v35
	v_cmp_gt_u64_e64 s[20:21], s[62:63], v[12:13]
	v_and_b32_sdwa v12, v1, s55 dst_sel:DWORD dst_unused:UNUSED_PAD src0_sel:BYTE_3 src1_sel:DWORD
                                        ; implicit-def: $vgpr0
	s_and_saveexec_b64 s[22:23], s[20:21]
	s_xor_b64 s[92:93], exec, s[22:23]
	s_cbranch_execz .LBB4_1799
; %bb.1790:                             ;   in Loop: Header=BB4_1284 Depth=2
	v_mov_b32_e32 v0, 0
	v_cmp_ne_u32_e64 s[20:21], 0, v1
	s_and_saveexec_b64 s[94:95], s[20:21]
	s_cbranch_execz .LBB4_1798
; %bb.1791:                             ;   in Loop: Header=BB4_1284 Depth=2
	v_bfe_u32 v13, v1, 23, 8
	v_cmp_gt_u32_e64 s[22:23], s64, v13
	v_sub_u32_e32 v0, 0x71, v13
	v_cmp_eq_u32_e64 s[20:21], 0, v13
	v_cndmask_b32_e64 v0, 0, v0, s[22:23]
	v_mov_b32_e32 v2, 0x70
	v_cndmask_b32_e64 v16, v0, v2, s[20:21]
	v_or_b32_e32 v1, 0x800000, v34
	v_add_u32_e32 v0, 21, v16
	v_cndmask_b32_e64 v34, v1, v34, s[20:21]
	v_lshlrev_b64 v[0:1], v0, -1
	v_add_u32_e32 v2, 20, v16
	v_lshlrev_b64 v[40:41], v2, 1
	v_bfi_b32 v1, v1, 0, 0
	v_bfi_b32 v0, v0, 0, v34
	v_cmp_eq_u64_e64 s[22:23], v[0:1], v[40:41]
	v_lshrrev_b64 v[0:1], v16, v[34:35]
	v_mov_b32_e32 v2, v1
	v_mov_b32_e32 v1, v0
	s_and_saveexec_b64 s[30:31], s[22:23]
; %bb.1792:                             ;   in Loop: Header=BB4_1284 Depth=2
	v_bfe_u32 v1, v0, 21, 1
	v_add_co_u32_e64 v1, s[22:23], v0, v1
	v_add_co_u32_e64 v1, s[22:23], -1, v1
; %bb.1793:                             ;   in Loop: Header=BB4_1284 Depth=2
	s_or_b64 exec, exec, s[30:31]
	v_add_u32_e32 v2, 0xffffff81, v13
	v_mov_b32_e32 v13, 0xffffff82
	v_cndmask_b32_e64 v2, v2, v13, s[20:21]
	v_lshrrev_b32_e32 v13, 23, v0
	v_add3_u32 v16, v16, v2, v13
	v_add_u32_e32 v13, 14, v16
	v_and_b32_e32 v1, 0x1fffff, v1
	v_add_u32_e32 v34, v1, v0
	v_cmp_ne_u32_e64 s[20:21], 0, v13
                                        ; implicit-def: $vgpr0_vgpr1
                                        ; implicit-def: $vgpr2
	s_and_saveexec_b64 s[22:23], s[20:21]
	s_xor_b64 s[22:23], exec, s[22:23]
; %bb.1794:                             ;   in Loop: Header=BB4_1284 Depth=2
	v_cmp_lt_u64_e64 s[20:21], s[72:73], v[34:35]
	v_add_u32_e32 v0, 15, v16
	v_cndmask_b32_e64 v2, v13, v0, s[20:21]
	v_cndmask_b32_e64 v0, 0, 1, s[20:21]
	v_lshrrev_b64 v[0:1], v0, v[34:35]
; %bb.1795:                             ;   in Loop: Header=BB4_1284 Depth=2
	s_andn2_saveexec_b64 s[20:21], s[22:23]
; %bb.1796:                             ;   in Loop: Header=BB4_1284 Depth=2
	v_mov_b32_e32 v0, v34
	v_bfe_u32 v2, v34, 23, 1
	v_mov_b32_e32 v1, v35
; %bb.1797:                             ;   in Loop: Header=BB4_1284 Depth=2
	s_or_b64 exec, exec, s[20:21]
	v_lshrrev_b64 v[0:1], 21, v[0:1]
	v_cmp_gt_i32_e64 s[20:21], 32, v2
	v_cndmask_b32_e64 v1, 0, v1, s[20:21]
	v_cndmask_b32_e64 v0, 3, v0, s[20:21]
	v_cmp_eq_u64_e64 s[22:23], 0, v[0:1]
	v_min_i32_e32 v1, 31, v2
	v_lshlrev_b32_e32 v1, 2, v1
	v_cmp_eq_u32_e64 s[20:21], 0, v2
	v_and_b32_e32 v1, 0xfc, v1
	v_and_or_b32 v0, v0, 3, v1
	s_and_b64 s[20:21], s[20:21], s[22:23]
	v_cndmask_b32_e64 v0, v0, 0, s[20:21]
	v_or_b32_e32 v0, v0, v12
.LBB4_1798:                             ;   in Loop: Header=BB4_1284 Depth=2
	s_or_b64 exec, exec, s[94:95]
                                        ; implicit-def: $vgpr12
.LBB4_1799:                             ;   in Loop: Header=BB4_1284 Depth=2
	s_andn2_saveexec_b64 s[20:21], s[92:93]
; %bb.1800:                             ;   in Loop: Header=BB4_1284 Depth=2
	v_or_b32_e32 v0, 0x7b, v12
; %bb.1801:                             ;   in Loop: Header=BB4_1284 Depth=2
	s_or_b64 exec, exec, s[20:21]
                                        ; implicit-def: $vgpr1
.LBB4_1802:                             ;   in Loop: Header=BB4_1284 Depth=2
	s_andn2_saveexec_b64 s[22:23], s[24:25]
	s_cbranch_execz .LBB4_1283
; %bb.1803:                             ;   in Loop: Header=BB4_1284 Depth=2
	v_cmp_ne_u64_e64 s[20:21], 0, v[34:35]
                                        ; implicit-def: $vgpr0
	s_and_saveexec_b64 s[24:25], s[20:21]
	s_xor_b64 s[20:21], exec, s[24:25]
; %bb.1804:                             ;   in Loop: Header=BB4_1284 Depth=2
	v_or_b32_sdwa v0, v1, s65 dst_sel:DWORD dst_unused:UNUSED_PAD src0_sel:BYTE_3 src1_sel:DWORD
                                        ; implicit-def: $vgpr1
; %bb.1805:                             ;   in Loop: Header=BB4_1284 Depth=2
	s_andn2_saveexec_b64 s[24:25], s[20:21]
	s_cbranch_execz .LBB4_1282
; %bb.1806:                             ;   in Loop: Header=BB4_1284 Depth=2
	v_cmp_lt_i32_e64 s[20:21], -1, v1
	v_bfrev_b32_e32 v0, 0.5
	v_mov_b32_e32 v1, 0x7c
	v_cndmask_b32_e64 v0, v0, v1, s[20:21]
	s_branch .LBB4_1282
.LBB4_1807:                             ;   in Loop: Header=BB4_1284 Depth=2
	s_or_saveexec_b64 s[22:23], s[22:23]
	v_bfrev_b32_e32 v1, 1
	s_xor_b64 exec, exec, s[22:23]
	s_cbranch_execz .LBB4_1296
.LBB4_1808:                             ;   in Loop: Header=BB4_1284 Depth=2
	v_cmp_ne_u16_sdwa s[24:25], v10, v35 src0_sel:BYTE_0 src1_sel:DWORD
	s_andn2_b64 s[20:21], s[20:21], exec
	s_and_b64 s[24:25], s[24:25], exec
	v_mov_b32_e32 v1, 0
	s_or_b64 s[20:21], s[20:21], s[24:25]
	s_or_b64 exec, exec, s[22:23]
	s_and_saveexec_b64 s[92:93], s[20:21]
	s_cbranch_execnz .LBB4_1297
	s_branch .LBB4_1298
.LBB4_1809:                             ;   in Loop: Header=BB4_1284 Depth=2
	s_or_saveexec_b64 s[24:25], s[24:25]
	v_bfrev_b32_e32 v1, 1
	s_xor_b64 exec, exec, s[24:25]
	s_cbranch_execz .LBB4_1330
.LBB4_1810:                             ;   in Loop: Header=BB4_1284 Depth=2
	v_cmp_ne_u16_e64 s[20:21], 0, v34
	s_andn2_b64 s[22:23], s[22:23], exec
	s_and_b64 s[20:21], s[20:21], exec
	v_mov_b32_e32 v1, 0
	s_or_b64 s[22:23], s[22:23], s[20:21]
	s_or_b64 exec, exec, s[24:25]
	s_and_saveexec_b64 s[92:93], s[22:23]
	s_cbranch_execnz .LBB4_1331
	s_branch .LBB4_1332
.LBB4_1811:                             ;   in Loop: Header=BB4_1284 Depth=2
	s_or_saveexec_b64 s[22:23], s[22:23]
	v_bfrev_b32_e32 v2, 1
	s_xor_b64 exec, exec, s[22:23]
	s_cbranch_execz .LBB4_1364
.LBB4_1812:                             ;   in Loop: Header=BB4_1284 Depth=2
	v_cmp_ne_u16_sdwa s[24:25], v0, v35 src0_sel:BYTE_0 src1_sel:DWORD
	s_andn2_b64 s[20:21], s[20:21], exec
	s_and_b64 s[24:25], s[24:25], exec
	v_mov_b32_e32 v2, 0
	s_or_b64 s[20:21], s[20:21], s[24:25]
	s_or_b64 exec, exec, s[22:23]
	s_and_saveexec_b64 s[92:93], s[20:21]
	s_cbranch_execnz .LBB4_1365
	s_branch .LBB4_1366
.LBB4_1813:                             ;   in Loop: Header=BB4_1284 Depth=2
	s_or_saveexec_b64 s[24:25], s[24:25]
	v_bfrev_b32_e32 v1, 1
	s_xor_b64 exec, exec, s[24:25]
	s_cbranch_execz .LBB4_1462
.LBB4_1814:                             ;   in Loop: Header=BB4_1284 Depth=2
	v_cmp_ne_u16_e64 s[20:21], 0, v34
	s_andn2_b64 s[22:23], s[22:23], exec
	s_and_b64 s[20:21], s[20:21], exec
	v_mov_b32_e32 v1, 0
	s_or_b64 s[22:23], s[22:23], s[20:21]
	s_or_b64 exec, exec, s[24:25]
	s_and_saveexec_b64 s[92:93], s[22:23]
	s_cbranch_execnz .LBB4_1463
	s_branch .LBB4_1464
.LBB4_1815:                             ;   in Loop: Header=BB4_1284 Depth=2
	s_or_saveexec_b64 s[22:23], s[22:23]
	v_bfrev_b32_e32 v2, 1
	s_xor_b64 exec, exec, s[22:23]
	s_cbranch_execz .LBB4_1496
.LBB4_1816:                             ;   in Loop: Header=BB4_1284 Depth=2
	v_cmp_ne_u16_sdwa s[24:25], v0, v35 src0_sel:BYTE_0 src1_sel:DWORD
	s_andn2_b64 s[20:21], s[20:21], exec
	s_and_b64 s[24:25], s[24:25], exec
	v_mov_b32_e32 v2, 0
	s_or_b64 s[20:21], s[20:21], s[24:25]
	s_or_b64 exec, exec, s[22:23]
	s_and_saveexec_b64 s[92:93], s[20:21]
	s_cbranch_execnz .LBB4_1497
	s_branch .LBB4_1498
.LBB4_1817:                             ;   in Loop: Header=BB4_1284 Depth=2
	s_or_saveexec_b64 s[22:23], s[22:23]
	v_bfrev_b32_e32 v1, 1
	s_xor_b64 exec, exec, s[22:23]
	s_cbranch_execz .LBB4_1558
.LBB4_1818:                             ;   in Loop: Header=BB4_1284 Depth=2
	v_cmp_ne_u16_sdwa s[24:25], v12, v35 src0_sel:BYTE_0 src1_sel:DWORD
	s_andn2_b64 s[20:21], s[20:21], exec
	s_and_b64 s[24:25], s[24:25], exec
	v_mov_b32_e32 v1, 0
	s_or_b64 s[20:21], s[20:21], s[24:25]
	s_or_b64 exec, exec, s[22:23]
	s_and_saveexec_b64 s[92:93], s[20:21]
	s_cbranch_execnz .LBB4_1559
	s_branch .LBB4_1560
.LBB4_1819:                             ;   in Loop: Header=BB4_1284 Depth=2
	s_or_saveexec_b64 s[24:25], s[24:25]
	v_bfrev_b32_e32 v1, 1
	s_xor_b64 exec, exec, s[24:25]
	s_cbranch_execz .LBB4_1592
.LBB4_1820:                             ;   in Loop: Header=BB4_1284 Depth=2
	v_cmp_ne_u16_e64 s[20:21], 0, v34
	s_andn2_b64 s[22:23], s[22:23], exec
	s_and_b64 s[20:21], s[20:21], exec
	v_mov_b32_e32 v1, 0
	s_or_b64 s[22:23], s[22:23], s[20:21]
	s_or_b64 exec, exec, s[24:25]
	s_and_saveexec_b64 s[92:93], s[22:23]
	s_cbranch_execnz .LBB4_1593
	s_branch .LBB4_1594
.LBB4_1821:                             ;   in Loop: Header=BB4_1284 Depth=2
	s_or_saveexec_b64 s[22:23], s[22:23]
	v_bfrev_b32_e32 v2, 1
	s_xor_b64 exec, exec, s[22:23]
	s_cbranch_execz .LBB4_1626
.LBB4_1822:                             ;   in Loop: Header=BB4_1284 Depth=2
	v_cmp_ne_u16_sdwa s[24:25], v0, v35 src0_sel:BYTE_0 src1_sel:DWORD
	s_andn2_b64 s[20:21], s[20:21], exec
	s_and_b64 s[24:25], s[24:25], exec
	v_mov_b32_e32 v2, 0
	s_or_b64 s[20:21], s[20:21], s[24:25]
	s_or_b64 exec, exec, s[22:23]
	s_and_saveexec_b64 s[92:93], s[20:21]
	s_cbranch_execnz .LBB4_1627
	s_branch .LBB4_1628
.LBB4_1823:                             ;   in Loop: Header=BB4_1284 Depth=2
	s_or_saveexec_b64 s[24:25], s[24:25]
	v_bfrev_b32_e32 v1, 1
	s_xor_b64 exec, exec, s[24:25]
	s_cbranch_execz .LBB4_1724
.LBB4_1824:                             ;   in Loop: Header=BB4_1284 Depth=2
	v_cmp_ne_u16_e64 s[20:21], 0, v34
	s_andn2_b64 s[22:23], s[22:23], exec
	s_and_b64 s[20:21], s[20:21], exec
	v_mov_b32_e32 v1, 0
	s_or_b64 s[22:23], s[22:23], s[20:21]
	s_or_b64 exec, exec, s[24:25]
	s_and_saveexec_b64 s[92:93], s[22:23]
	s_cbranch_execnz .LBB4_1725
	s_branch .LBB4_1726
.LBB4_1825:                             ;   in Loop: Header=BB4_1284 Depth=2
	s_or_saveexec_b64 s[22:23], s[22:23]
	v_bfrev_b32_e32 v2, 1
	s_xor_b64 exec, exec, s[22:23]
	s_cbranch_execz .LBB4_1758
.LBB4_1826:                             ;   in Loop: Header=BB4_1284 Depth=2
	v_cmp_ne_u16_sdwa s[24:25], v0, v35 src0_sel:BYTE_0 src1_sel:DWORD
	s_andn2_b64 s[20:21], s[20:21], exec
	s_and_b64 s[24:25], s[24:25], exec
	v_mov_b32_e32 v2, 0
	s_or_b64 s[20:21], s[20:21], s[24:25]
	s_or_b64 exec, exec, s[22:23]
	s_and_saveexec_b64 s[92:93], s[20:21]
	s_cbranch_execnz .LBB4_1759
	s_branch .LBB4_1760
.LBB4_1827:                             ;   in Loop: Header=BB4_49 Depth=1
	s_or_b64 exec, exec, s[90:91]
.LBB4_1828:                             ;   in Loop: Header=BB4_49 Depth=1
	s_or_b64 exec, exec, s[88:89]
	buffer_load_dword v0, off, s[0:3], s33 offset:148 ; 4-byte Folded Reload
	v_mov_b32_e32 v10, 0
	s_mov_b64 s[24:25], 0
                                        ; implicit-def: $vgpr12
	s_waitcnt vmcnt(0)
	v_and_b32_e32 v0, 15, v0
	v_cndmask_b32_e32 v11, v25, v0, vcc
	v_cmp_ne_u32_e64 s[20:21], 0, v11
                                        ; implicit-def: $vgpr0
	s_and_saveexec_b64 s[22:23], s[20:21]
	s_cbranch_execz .LBB4_1830
; %bb.1829:                             ;   in Loop: Header=BB4_49 Depth=1
	buffer_load_dword v1, off, s[0:3], s33 offset:148 ; 4-byte Folded Reload
	s_mov_b64 s[24:25], exec
	s_waitcnt vmcnt(0)
	v_and_b32_e32 v0, 0x3f0, v1
	v_cndmask_b32_e32 v0, 0, v0, vcc
	v_and_or_b32 v10, v1, s68, v0
	buffer_load_dword v0, off, s[0:3], s33 offset:68 ; 4-byte Folded Reload
	v_cmp_lt_i32_e32 vcc, 0, v24
	s_waitcnt vmcnt(0)
	v_cndmask_b32_e32 v0, 0, v0, vcc
	v_sub_u32_e32 v0, v0, v24
	v_lshl_add_u32 v12, v0, 6, v4
	v_ashrrev_i32_e32 v0, 31, v12
	v_lshrrev_b32_e32 v0, 26, v0
	v_add_u32_e32 v0, v12, v0
	v_ashrrev_i32_e32 v0, 6, v0
.LBB4_1830:                             ;   in Loop: Header=BB4_49 Depth=1
	s_or_b64 exec, exec, s[22:23]
	s_and_b64 s[20:21], s[24:25], exec
.LBB4_1831:                             ;   in Loop: Header=BB4_49 Depth=1
	s_or_b64 exec, exec, s[78:79]
	buffer_load_dword v2, off, s[0:3], s33 offset:188 ; 4-byte Folded Reload
	buffer_load_dword v3, off, s[0:3], s33 offset:192 ; 4-byte Folded Reload
	s_and_saveexec_b64 s[22:23], s[20:21]
	s_cbranch_execz .LBB4_2520
.LBB4_1832:                             ;   in Loop: Header=BB4_49 Depth=1
	v_lshrrev_b32_e32 v1, 10, v11
	s_waitcnt vmcnt(0)
	v_mov_b32_e32 v15, v3
	v_sub_u32_e32 v4, v1, v0
	v_ashrrev_i32_e32 v1, 31, v12
	v_mov_b32_e32 v14, v2
	v_cmp_lt_i32_e32 vcc, 0, v4
	v_lshrrev_b32_e32 v1, 26, v1
	s_and_saveexec_b64 s[24:25], vcc
	s_cbranch_execz .LBB4_2476
; %bb.1833:                             ;   in Loop: Header=BB4_49 Depth=1
	buffer_store_dword v11, off, s[0:3], s33 offset:188 ; 4-byte Folded Spill
	buffer_store_dword v56, off, s[0:3], s33 offset:176 ; 4-byte Folded Spill
	;; [unrolled: 1-line block ×3, first 2 shown]
	v_add_u32_e32 v1, v12, v1
	v_and_b32_e32 v1, 0xffffffc0, v1
	v_sub_u32_e32 v1, v12, v1
	v_lshlrev_b32_e32 v0, 10, v0
	buffer_store_dword v12, off, s[0:3], s33 offset:224 ; 4-byte Folded Spill
	buffer_store_dword v10, off, s[0:3], s33 offset:80 ; 4-byte Folded Spill
	v_add3_u32 v2, v10, v1, v0
	s_trap 2
	ds_read_b64 v[0:1], v0
	buffer_load_dword v10, off, s[0:3], s33 offset:160 ; 4-byte Folded Reload
	buffer_load_dword v11, off, s[0:3], s33 offset:164 ; 4-byte Folded Reload
	v_ashrrev_i32_e32 v3, 31, v2
	s_mov_b64 s[78:79], 0
	s_waitcnt vmcnt(1)
	v_add_co_u32_e32 v10, vcc, v2, v10
	s_waitcnt vmcnt(0)
	v_addc_co_u32_e32 v11, vcc, v3, v11, vcc
	s_waitcnt lgkmcnt(0)
	v_add_co_u32_e32 v12, vcc, v0, v2
	v_addc_co_u32_e32 v13, vcc, v1, v3, vcc
	v_add_co_u32_e32 v0, vcc, 0x3c0, v14
	v_addc_co_u32_e32 v1, vcc, 0, v15, vcc
	;; [unrolled: 2-line block ×3, first 2 shown]
	s_branch .LBB4_1836
.LBB4_1834:                             ;   in Loop: Header=BB4_1836 Depth=2
	s_or_b64 exec, exec, s[88:89]
.LBB4_1835:                             ;   in Loop: Header=BB4_1836 Depth=2
	s_or_b64 exec, exec, s[20:21]
	v_add_co_u32_e32 v16, vcc, 0xfffffc40, v14
	v_addc_co_u32_e32 v17, vcc, -1, v15, vcc
	flat_store_byte v[16:17], v53 glc slc
	v_add_co_u32_e32 v16, vcc, 0xfffffc80, v14
	v_addc_co_u32_e32 v17, vcc, -1, v15, vcc
	flat_store_byte v[16:17], v48 glc slc
	;; [unrolled: 3-line block ×5, first 2 shown]
	v_add_co_u32_e32 v16, vcc, 0xfffffd80, v14
	v_addc_co_u32_e32 v17, vcc, -1, v15, vcc
	v_add_co_u32_e32 v2, vcc, 0xfffffdc0, v14
	flat_store_byte v[16:17], v3 glc slc
	v_addc_co_u32_e32 v3, vcc, -1, v15, vcc
	flat_store_byte v[2:3], v28 glc slc
	v_add_co_u32_e32 v2, vcc, 0xfffffe00, v14
	v_addc_co_u32_e32 v3, vcc, -1, v15, vcc
	flat_store_byte v[2:3], v29 glc slc
	v_add_co_u32_e32 v2, vcc, 0xfffffe40, v14
	;; [unrolled: 3-line block ×8, first 2 shown]
	v_addc_co_u32_e32 v3, vcc, -1, v15, vcc
	flat_store_byte v[2:3], v19 glc slc
	flat_store_byte v[14:15], v1 glc slc
	buffer_load_dword v1, off, s[0:3], s33 offset:84 ; 4-byte Folded Reload
	s_nop 0
	buffer_load_dword v0, off, s[0:3], s33 offset:68 ; 4-byte Folded Reload
	s_waitcnt vmcnt(0)
	v_add_co_u32_e32 v10, vcc, v10, v1
	v_addc_co_u32_e32 v11, vcc, 0, v11, vcc
	v_add_co_u32_e32 v12, vcc, v12, v1
	v_addc_co_u32_e32 v13, vcc, 0, v13, vcc
	v_sub_u32_e32 v4, v4, v0
	v_cmp_gt_i32_e32 vcc, 1, v4
	s_or_b64 s[78:79], vcc, s[78:79]
	v_add_co_u32_e32 v14, vcc, v14, v1
	v_addc_co_u32_e32 v15, vcc, 0, v15, vcc
	s_andn2_b64 exec, exec, s[78:79]
	s_cbranch_execz .LBB4_2475
.LBB4_1836:                             ;   Parent Loop BB4_49 Depth=1
                                        ; =>  This Inner Loop Header: Depth=2
	flat_load_sbyte v34, v[10:11] glc slc
	flat_load_sbyte v40, v[10:11] offset:64 glc slc
	flat_load_sbyte v26, v[10:11] offset:128 glc slc
	flat_load_sbyte v51, v[10:11] offset:192 glc slc
	flat_load_sbyte v30, v[10:11] offset:256 glc slc
	flat_load_sbyte v28, v[10:11] offset:320 glc slc
	flat_load_sbyte v61, v[10:11] offset:384 glc slc
	flat_load_sbyte v59, v[10:11] offset:448 glc slc
	flat_load_sbyte v57, v[10:11] offset:512 glc slc
	flat_load_sbyte v46, v[10:11] offset:576 glc slc
	flat_load_sbyte v44, v[10:11] offset:640 glc slc
	flat_load_sbyte v42, v[10:11] offset:704 glc slc
	flat_load_sbyte v23, v[10:11] offset:768 glc slc
	flat_load_sbyte v21, v[10:11] offset:832 glc slc
	flat_load_sbyte v19, v[10:11] offset:896 glc slc
	flat_load_sbyte v17, v[10:11] offset:960 glc slc
	flat_load_sbyte v52, v[12:13] glc slc
	flat_load_sbyte v0, v[12:13] offset:64 glc slc
	flat_load_sbyte v25, v[12:13] offset:128 glc slc
	;; [unrolled: 1-line block ×15, first 2 shown]
	v_mov_b32_e32 v1, 0
	v_mov_b32_e32 v3, 0
	s_waitcnt vmcnt(0) lgkmcnt(0)
	v_cmp_ne_u16_e32 vcc, 0, v34
	s_and_saveexec_b64 s[20:21], vcc
	s_cbranch_execz .LBB4_1844
; %bb.1837:                             ;   in Loop: Header=BB4_1836 Depth=2
	v_cmp_ne_u16_e32 vcc, s52, v34
	v_bfrev_b32_e32 v3, 1
	s_and_saveexec_b64 s[88:89], vcc
	s_cbranch_execz .LBB4_1843
; %bb.1838:                             ;   in Loop: Header=BB4_1836 Depth=2
	v_and_b32_e32 v3, 0x7c, v34
	v_and_b32_e32 v27, 3, v34
	v_cmp_ne_u32_e32 vcc, s53, v3
                                        ; implicit-def: $vgpr3
	s_and_saveexec_b64 s[90:91], vcc
	s_xor_b64 s[90:91], exec, s[90:91]
	s_cbranch_execz .LBB4_1840
; %bb.1839:                             ;   in Loop: Header=BB4_1836 Depth=2
	v_ffbh_u32_e32 v31, v27
	v_min_u32_e32 v31, 32, v31
	v_and_b32_e32 v3, 0xff, v34
	v_subrev_u32_e32 v48, 29, v31
	v_bfe_u32 v3, v3, 2, 5
	v_lshlrev_b64 v[48:49], v48, v[34:35]
	v_sub_u32_e32 v31, 30, v31
	v_cmp_eq_u32_e32 vcc, 0, v3
	v_and_b32_e32 v48, 3, v48
	v_cndmask_b32_e32 v3, v3, v31, vcc
	v_and_b32_sdwa v31, sext(v34), s54 dst_sel:DWORD dst_unused:UNUSED_PAD src0_sel:WORD_0 src1_sel:DWORD
	v_cndmask_b32_e32 v27, v27, v48, vcc
	v_lshl_add_u32 v3, v3, 23, v31
	v_lshl_or_b32 v3, v27, 21, v3
	v_add_u32_e32 v3, 0x38000000, v3
                                        ; implicit-def: $vgpr27
.LBB4_1840:                             ;   in Loop: Header=BB4_1836 Depth=2
	s_andn2_saveexec_b64 s[90:91], s[90:91]
; %bb.1841:                             ;   in Loop: Header=BB4_1836 Depth=2
	v_cmp_lt_i16_e32 vcc, -1, v34
	v_cndmask_b32_e32 v3, v5, v36, vcc
	v_cmp_eq_u32_e32 vcc, 0, v27
	v_cndmask_b32_e32 v3, v37, v3, vcc
; %bb.1842:                             ;   in Loop: Header=BB4_1836 Depth=2
	s_or_b64 exec, exec, s[90:91]
.LBB4_1843:                             ;   in Loop: Header=BB4_1836 Depth=2
	s_or_b64 exec, exec, s[88:89]
.LBB4_1844:                             ;   in Loop: Header=BB4_1836 Depth=2
	s_or_b64 exec, exec, s[20:21]
	v_cmp_ne_u16_e32 vcc, 0, v52
	s_and_saveexec_b64 s[20:21], vcc
	s_cbranch_execz .LBB4_1852
; %bb.1845:                             ;   in Loop: Header=BB4_1836 Depth=2
	v_cmp_ne_u16_e32 vcc, s52, v52
	v_bfrev_b32_e32 v1, 1
	s_and_saveexec_b64 s[88:89], vcc
	s_cbranch_execz .LBB4_1851
; %bb.1846:                             ;   in Loop: Header=BB4_1836 Depth=2
	v_and_b32_e32 v1, 0x7c, v52
	v_and_b32_e32 v27, 3, v52
	v_cmp_ne_u32_e32 vcc, s53, v1
                                        ; implicit-def: $vgpr1
	s_and_saveexec_b64 s[90:91], vcc
	s_xor_b64 s[90:91], exec, s[90:91]
	s_cbranch_execz .LBB4_1848
; %bb.1847:                             ;   in Loop: Header=BB4_1836 Depth=2
	v_ffbh_u32_e32 v31, v27
	v_min_u32_e32 v31, 32, v31
	v_and_b32_e32 v1, 0xff, v52
	v_mov_b32_e32 v53, v35
	v_subrev_u32_e32 v34, 29, v31
	v_bfe_u32 v1, v1, 2, 5
	v_lshlrev_b64 v[48:49], v34, v[52:53]
	v_sub_u32_e32 v31, 30, v31
	v_cmp_eq_u32_e32 vcc, 0, v1
	v_and_b32_e32 v34, 3, v48
	v_cndmask_b32_e32 v1, v1, v31, vcc
	v_and_b32_sdwa v31, sext(v52), s54 dst_sel:DWORD dst_unused:UNUSED_PAD src0_sel:WORD_0 src1_sel:DWORD
	v_cndmask_b32_e32 v27, v27, v34, vcc
	v_lshl_add_u32 v1, v1, 23, v31
	v_lshl_or_b32 v1, v27, 21, v1
	v_add_u32_e32 v1, 0x38000000, v1
                                        ; implicit-def: $vgpr27
                                        ; implicit-def: $vgpr52
.LBB4_1848:                             ;   in Loop: Header=BB4_1836 Depth=2
	s_andn2_saveexec_b64 s[90:91], s[90:91]
; %bb.1849:                             ;   in Loop: Header=BB4_1836 Depth=2
	v_cmp_lt_i16_e32 vcc, -1, v52
	v_cndmask_b32_e32 v1, v5, v36, vcc
	v_cmp_eq_u32_e32 vcc, 0, v27
	v_cndmask_b32_e32 v1, v37, v1, vcc
; %bb.1850:                             ;   in Loop: Header=BB4_1836 Depth=2
	s_or_b64 exec, exec, s[90:91]
.LBB4_1851:                             ;   in Loop: Header=BB4_1836 Depth=2
	s_or_b64 exec, exec, s[88:89]
.LBB4_1852:                             ;   in Loop: Header=BB4_1836 Depth=2
	s_or_b64 exec, exec, s[20:21]
	v_mul_f32_e32 v3, v3, v1
	v_and_b32_e32 v48, 0x7f800000, v3
	v_mov_b32_e32 v49, v35
	v_cmp_ne_u64_e32 vcc, s[60:61], v[48:49]
	v_and_b32_e32 v34, 0x7fffff, v3
                                        ; implicit-def: $vgpr53
	s_and_saveexec_b64 s[20:21], vcc
	s_xor_b64 s[88:89], exec, s[20:21]
	s_cbranch_execz .LBB4_1870
; %bb.1853:                             ;   in Loop: Header=BB4_1836 Depth=2
	v_and_b32_e32 v48, 0x7fffffff, v3
	v_mov_b32_e32 v49, v35
	v_cmp_gt_u64_e32 vcc, s[62:63], v[48:49]
	v_and_b32_sdwa v1, v3, s55 dst_sel:DWORD dst_unused:UNUSED_PAD src0_sel:BYTE_3 src1_sel:DWORD
                                        ; implicit-def: $vgpr53
	s_and_saveexec_b64 s[20:21], vcc
	s_xor_b64 s[90:91], exec, s[20:21]
	s_cbranch_execz .LBB4_1867
; %bb.1854:                             ;   in Loop: Header=BB4_1836 Depth=2
	v_cmp_ne_u32_e32 vcc, 0, v3
	v_mov_b32_e32 v53, 0
	s_and_saveexec_b64 s[92:93], vcc
	s_cbranch_execz .LBB4_1866
; %bb.1855:                             ;   in Loop: Header=BB4_1836 Depth=2
	v_bfe_u32 v3, v3, 23, 8
	v_cmp_gt_u32_e64 s[20:21], s64, v3
	v_sub_u32_e32 v27, 0x71, v3
	v_cmp_eq_u32_e32 vcc, 0, v3
	v_cndmask_b32_e64 v27, 0, v27, s[20:21]
	v_mov_b32_e32 v48, 0x70
	v_or_b32_e32 v31, 0x800000, v34
	v_cndmask_b32_e32 v27, v27, v48, vcc
	v_cndmask_b32_e32 v34, v31, v34, vcc
	v_add_u32_e32 v31, 21, v27
	v_lshlrev_b64 v[48:49], v31, -1
	v_add_u32_e32 v31, 20, v27
	v_lshlrev_b64 v[52:53], v31, 1
	v_bfi_b32 v49, v49, 0, 0
	v_bfi_b32 v48, v48, 0, v34
	v_cmp_eq_u64_e64 s[20:21], v[48:49], v[52:53]
	v_lshrrev_b64 v[52:53], v27, v[34:35]
	v_mov_b32_e32 v48, v52
	v_mov_b32_e32 v49, v53
	s_and_saveexec_b64 s[94:95], s[20:21]
; %bb.1856:                             ;   in Loop: Header=BB4_1836 Depth=2
	v_bfe_u32 v31, v52, 21, 1
	v_add_co_u32_e64 v31, s[20:21], v52, v31
	v_add_co_u32_e64 v48, s[20:21], -1, v31
; %bb.1857:                             ;   in Loop: Header=BB4_1836 Depth=2
	s_or_b64 exec, exec, s[94:95]
	v_add_u32_e32 v3, 0xffffff81, v3
	v_mov_b32_e32 v31, 0xffffff82
	v_cndmask_b32_e32 v3, v3, v31, vcc
	v_lshrrev_b32_e32 v31, 23, v52
	v_add3_u32 v31, v27, v3, v31
	v_add_u32_e32 v27, 14, v31
	v_and_b32_e32 v3, 0x1fffff, v48
	v_add_u32_e32 v34, v3, v52
	v_cmp_ne_u32_e32 vcc, 0, v27
                                        ; implicit-def: $vgpr52_vgpr53
                                        ; implicit-def: $vgpr3
	s_and_saveexec_b64 s[20:21], vcc
	s_xor_b64 s[20:21], exec, s[20:21]
; %bb.1858:                             ;   in Loop: Header=BB4_1836 Depth=2
	v_cmp_lt_u64_e32 vcc, s[72:73], v[34:35]
	v_add_u32_e32 v3, 15, v31
	v_cndmask_b32_e32 v3, v27, v3, vcc
	v_cndmask_b32_e64 v27, 0, 1, vcc
	v_lshrrev_b64 v[52:53], v27, v[34:35]
; %bb.1859:                             ;   in Loop: Header=BB4_1836 Depth=2
	s_andn2_saveexec_b64 s[20:21], s[20:21]
; %bb.1860:                             ;   in Loop: Header=BB4_1836 Depth=2
	v_mov_b32_e32 v53, v35
	v_bfe_u32 v3, v34, 23, 1
	v_mov_b32_e32 v52, v34
; %bb.1861:                             ;   in Loop: Header=BB4_1836 Depth=2
	s_or_b64 exec, exec, s[20:21]
	v_lshrrev_b64 v[48:49], 21, v[52:53]
	v_cmp_gt_i32_e32 vcc, 32, v3
	v_cndmask_b32_e32 v53, 0, v49, vcc
	v_cndmask_b32_e32 v52, 3, v48, vcc
	v_cmp_ne_u64_e32 vcc, 0, v[52:53]
	v_cmp_ne_u32_e64 s[20:21], 0, v3
	s_or_b64 s[20:21], s[20:21], vcc
                                        ; implicit-def: $vgpr53
	s_and_saveexec_b64 s[94:95], s[20:21]
	s_xor_b64 s[20:21], exec, s[94:95]
; %bb.1862:                             ;   in Loop: Header=BB4_1836 Depth=2
	v_min_i32_e32 v3, 31, v3
	v_lshl_or_b32 v1, v3, 2, v1
	v_and_or_b32 v53, v52, 3, v1
                                        ; implicit-def: $vgpr1
; %bb.1863:                             ;   in Loop: Header=BB4_1836 Depth=2
	s_andn2_saveexec_b64 s[20:21], s[20:21]
; %bb.1864:                             ;   in Loop: Header=BB4_1836 Depth=2
	v_mov_b32_e32 v53, v1
; %bb.1865:                             ;   in Loop: Header=BB4_1836 Depth=2
	s_or_b64 exec, exec, s[20:21]
.LBB4_1866:                             ;   in Loop: Header=BB4_1836 Depth=2
	s_or_b64 exec, exec, s[92:93]
                                        ; implicit-def: $vgpr1
.LBB4_1867:                             ;   in Loop: Header=BB4_1836 Depth=2
	s_andn2_saveexec_b64 s[20:21], s[90:91]
; %bb.1868:                             ;   in Loop: Header=BB4_1836 Depth=2
	v_or_b32_e32 v53, 0x7b, v1
; %bb.1869:                             ;   in Loop: Header=BB4_1836 Depth=2
	s_or_b64 exec, exec, s[20:21]
                                        ; implicit-def: $vgpr3
.LBB4_1870:                             ;   in Loop: Header=BB4_1836 Depth=2
	s_andn2_saveexec_b64 s[20:21], s[88:89]
	s_cbranch_execz .LBB4_1876
; %bb.1871:                             ;   in Loop: Header=BB4_1836 Depth=2
	v_cmp_ne_u64_e32 vcc, 0, v[34:35]
                                        ; implicit-def: $vgpr53
	s_and_saveexec_b64 s[88:89], vcc
	s_xor_b64 s[88:89], exec, s[88:89]
; %bb.1872:                             ;   in Loop: Header=BB4_1836 Depth=2
	v_or_b32_sdwa v53, v3, s65 dst_sel:DWORD dst_unused:UNUSED_PAD src0_sel:BYTE_3 src1_sel:DWORD
                                        ; implicit-def: $vgpr3
; %bb.1873:                             ;   in Loop: Header=BB4_1836 Depth=2
	s_andn2_saveexec_b64 s[88:89], s[88:89]
; %bb.1874:                             ;   in Loop: Header=BB4_1836 Depth=2
	v_cmp_lt_i32_e32 vcc, -1, v3
	v_mov_b32_e32 v1, 0x7c
	v_cndmask_b32_e32 v53, -4, v1, vcc
; %bb.1875:                             ;   in Loop: Header=BB4_1836 Depth=2
	s_or_b64 exec, exec, s[88:89]
.LBB4_1876:                             ;   in Loop: Header=BB4_1836 Depth=2
	s_or_b64 exec, exec, s[20:21]
	v_cmp_ne_u16_e32 vcc, 0, v40
	v_mov_b32_e32 v1, 0
	v_mov_b32_e32 v3, 0
	s_and_saveexec_b64 s[20:21], vcc
	s_cbranch_execz .LBB4_1884
; %bb.1877:                             ;   in Loop: Header=BB4_1836 Depth=2
	v_cmp_ne_u16_e32 vcc, s52, v40
	v_bfrev_b32_e32 v3, 1
	s_and_saveexec_b64 s[88:89], vcc
	s_cbranch_execz .LBB4_1883
; %bb.1878:                             ;   in Loop: Header=BB4_1836 Depth=2
	v_and_b32_e32 v3, 0x7c, v40
	v_and_b32_e32 v27, 3, v40
	v_cmp_ne_u32_e32 vcc, s53, v3
                                        ; implicit-def: $vgpr3
	s_and_saveexec_b64 s[90:91], vcc
	s_xor_b64 s[90:91], exec, s[90:91]
	s_cbranch_execz .LBB4_1880
; %bb.1879:                             ;   in Loop: Header=BB4_1836 Depth=2
	v_ffbh_u32_e32 v31, v27
	v_min_u32_e32 v31, 32, v31
	v_and_b32_e32 v3, 0xff, v40
	v_mov_b32_e32 v41, v35
	v_subrev_u32_e32 v34, 29, v31
	v_bfe_u32 v3, v3, 2, 5
	v_lshlrev_b64 v[48:49], v34, v[40:41]
	v_sub_u32_e32 v31, 30, v31
	v_cmp_eq_u32_e32 vcc, 0, v3
	v_and_b32_e32 v34, 3, v48
	v_cndmask_b32_e32 v3, v3, v31, vcc
	v_and_b32_sdwa v31, sext(v40), s54 dst_sel:DWORD dst_unused:UNUSED_PAD src0_sel:WORD_0 src1_sel:DWORD
	v_cndmask_b32_e32 v27, v27, v34, vcc
	v_lshl_add_u32 v3, v3, 23, v31
	v_lshl_or_b32 v3, v27, 21, v3
	v_add_u32_e32 v3, 0x38000000, v3
                                        ; implicit-def: $vgpr27
                                        ; implicit-def: $vgpr40
.LBB4_1880:                             ;   in Loop: Header=BB4_1836 Depth=2
	s_andn2_saveexec_b64 s[90:91], s[90:91]
; %bb.1881:                             ;   in Loop: Header=BB4_1836 Depth=2
	v_cmp_lt_i16_e32 vcc, -1, v40
	v_cndmask_b32_e32 v3, v5, v36, vcc
	v_cmp_eq_u32_e32 vcc, 0, v27
	v_cndmask_b32_e32 v3, v37, v3, vcc
; %bb.1882:                             ;   in Loop: Header=BB4_1836 Depth=2
	s_or_b64 exec, exec, s[90:91]
.LBB4_1883:                             ;   in Loop: Header=BB4_1836 Depth=2
	s_or_b64 exec, exec, s[88:89]
.LBB4_1884:                             ;   in Loop: Header=BB4_1836 Depth=2
	s_or_b64 exec, exec, s[20:21]
	v_cmp_ne_u16_e32 vcc, 0, v0
	s_and_saveexec_b64 s[20:21], vcc
	s_cbranch_execz .LBB4_1892
; %bb.1885:                             ;   in Loop: Header=BB4_1836 Depth=2
	v_cmp_ne_u16_e32 vcc, s52, v0
	v_bfrev_b32_e32 v1, 1
	s_and_saveexec_b64 s[88:89], vcc
	s_cbranch_execz .LBB4_1891
; %bb.1886:                             ;   in Loop: Header=BB4_1836 Depth=2
	v_and_b32_e32 v1, 0x7c, v0
	v_and_b32_e32 v27, 3, v0
	v_cmp_ne_u32_e32 vcc, s53, v1
                                        ; implicit-def: $vgpr1
	s_and_saveexec_b64 s[90:91], vcc
	s_xor_b64 s[90:91], exec, s[90:91]
	s_cbranch_execz .LBB4_1888
; %bb.1887:                             ;   in Loop: Header=BB4_1836 Depth=2
	v_ffbh_u32_e32 v34, v27
	v_min_u32_e32 v34, 32, v34
	v_and_b32_e32 v31, 0xff, v0
	v_mov_b32_e32 v1, v35
	v_subrev_u32_e32 v48, 29, v34
	v_bfe_u32 v31, v31, 2, 5
	v_lshlrev_b64 v[48:49], v48, v[0:1]
	v_sub_u32_e32 v1, 30, v34
	v_cmp_eq_u32_e32 vcc, 0, v31
	v_and_b32_e32 v34, 3, v48
	v_cndmask_b32_e32 v1, v31, v1, vcc
	v_and_b32_sdwa v0, sext(v0), s54 dst_sel:DWORD dst_unused:UNUSED_PAD src0_sel:WORD_0 src1_sel:DWORD
	v_cndmask_b32_e32 v27, v27, v34, vcc
	v_lshl_add_u32 v0, v1, 23, v0
	v_lshl_or_b32 v0, v27, 21, v0
	v_add_u32_e32 v1, 0x38000000, v0
                                        ; implicit-def: $vgpr27
                                        ; implicit-def: $vgpr0
.LBB4_1888:                             ;   in Loop: Header=BB4_1836 Depth=2
	s_andn2_saveexec_b64 s[90:91], s[90:91]
; %bb.1889:                             ;   in Loop: Header=BB4_1836 Depth=2
	v_cmp_lt_i16_e32 vcc, -1, v0
	v_cndmask_b32_e32 v0, v5, v36, vcc
	v_cmp_eq_u32_e32 vcc, 0, v27
	v_cndmask_b32_e32 v1, v37, v0, vcc
; %bb.1890:                             ;   in Loop: Header=BB4_1836 Depth=2
	s_or_b64 exec, exec, s[90:91]
.LBB4_1891:                             ;   in Loop: Header=BB4_1836 Depth=2
	s_or_b64 exec, exec, s[88:89]
.LBB4_1892:                             ;   in Loop: Header=BB4_1836 Depth=2
	s_or_b64 exec, exec, s[20:21]
	v_mul_f32_e32 v0, v3, v1
	v_and_b32_e32 v48, 0x7f800000, v0
	v_mov_b32_e32 v49, v35
	v_cmp_ne_u64_e32 vcc, s[60:61], v[48:49]
	v_and_b32_e32 v34, 0x7fffff, v0
                                        ; implicit-def: $vgpr48
	s_and_saveexec_b64 s[20:21], vcc
	s_xor_b64 s[88:89], exec, s[20:21]
	s_cbranch_execz .LBB4_1910
; %bb.1893:                             ;   in Loop: Header=BB4_1836 Depth=2
	v_and_b32_e32 v48, 0x7fffffff, v0
	v_mov_b32_e32 v49, v35
	v_cmp_gt_u64_e32 vcc, s[62:63], v[48:49]
	v_and_b32_sdwa v3, v0, s55 dst_sel:DWORD dst_unused:UNUSED_PAD src0_sel:BYTE_3 src1_sel:DWORD
                                        ; implicit-def: $vgpr48
	s_and_saveexec_b64 s[20:21], vcc
	s_xor_b64 s[90:91], exec, s[20:21]
	s_cbranch_execz .LBB4_1907
; %bb.1894:                             ;   in Loop: Header=BB4_1836 Depth=2
	v_cmp_ne_u32_e32 vcc, 0, v0
	v_mov_b32_e32 v48, 0
	s_and_saveexec_b64 s[92:93], vcc
	s_cbranch_execz .LBB4_1906
; %bb.1895:                             ;   in Loop: Header=BB4_1836 Depth=2
	v_bfe_u32 v27, v0, 23, 8
	v_cmp_gt_u32_e64 s[20:21], s64, v27
	v_sub_u32_e32 v0, 0x71, v27
	v_cmp_eq_u32_e32 vcc, 0, v27
	v_cndmask_b32_e64 v0, 0, v0, s[20:21]
	v_mov_b32_e32 v31, 0x70
	v_cndmask_b32_e32 v31, v0, v31, vcc
	v_or_b32_e32 v1, 0x800000, v34
	v_add_u32_e32 v0, 21, v31
	v_cndmask_b32_e32 v34, v1, v34, vcc
	v_lshlrev_b64 v[0:1], v0, -1
	v_add_u32_e32 v48, 20, v31
	v_lshlrev_b64 v[48:49], v48, 1
	v_bfi_b32 v1, v1, 0, 0
	v_bfi_b32 v0, v0, 0, v34
	v_cmp_eq_u64_e64 s[20:21], v[0:1], v[48:49]
	v_lshrrev_b64 v[0:1], v31, v[34:35]
	v_mov_b32_e32 v49, v1
	v_mov_b32_e32 v48, v0
	s_and_saveexec_b64 s[94:95], s[20:21]
; %bb.1896:                             ;   in Loop: Header=BB4_1836 Depth=2
	v_bfe_u32 v1, v0, 21, 1
	v_add_co_u32_e64 v1, s[20:21], v0, v1
	v_add_co_u32_e64 v48, s[20:21], -1, v1
; %bb.1897:                             ;   in Loop: Header=BB4_1836 Depth=2
	s_or_b64 exec, exec, s[94:95]
	v_add_u32_e32 v1, 0xffffff81, v27
	v_mov_b32_e32 v27, 0xffffff82
	v_cndmask_b32_e32 v1, v1, v27, vcc
	v_lshrrev_b32_e32 v27, 23, v0
	v_add3_u32 v49, v31, v1, v27
	v_add_u32_e32 v31, 14, v49
	v_and_b32_e32 v1, 0x1fffff, v48
	v_add_u32_e32 v34, v1, v0
	v_cmp_ne_u32_e32 vcc, 0, v31
                                        ; implicit-def: $vgpr0_vgpr1
                                        ; implicit-def: $vgpr27
	s_and_saveexec_b64 s[20:21], vcc
	s_xor_b64 s[20:21], exec, s[20:21]
; %bb.1898:                             ;   in Loop: Header=BB4_1836 Depth=2
	v_cmp_lt_u64_e32 vcc, s[72:73], v[34:35]
	v_add_u32_e32 v0, 15, v49
	v_cndmask_b32_e32 v27, v31, v0, vcc
	v_cndmask_b32_e64 v0, 0, 1, vcc
	v_lshrrev_b64 v[0:1], v0, v[34:35]
; %bb.1899:                             ;   in Loop: Header=BB4_1836 Depth=2
	s_andn2_saveexec_b64 s[20:21], s[20:21]
; %bb.1900:                             ;   in Loop: Header=BB4_1836 Depth=2
	v_mov_b32_e32 v0, v34
	v_bfe_u32 v27, v34, 23, 1
	v_mov_b32_e32 v1, v35
; %bb.1901:                             ;   in Loop: Header=BB4_1836 Depth=2
	s_or_b64 exec, exec, s[20:21]
	v_lshrrev_b64 v[0:1], 21, v[0:1]
	v_cmp_gt_i32_e32 vcc, 32, v27
	v_cndmask_b32_e32 v1, 0, v1, vcc
	v_cndmask_b32_e32 v0, 3, v0, vcc
	v_cmp_ne_u64_e32 vcc, 0, v[0:1]
	v_cmp_ne_u32_e64 s[20:21], 0, v27
	s_or_b64 s[20:21], s[20:21], vcc
                                        ; implicit-def: $vgpr48
	s_and_saveexec_b64 s[94:95], s[20:21]
	s_xor_b64 s[20:21], exec, s[94:95]
; %bb.1902:                             ;   in Loop: Header=BB4_1836 Depth=2
	v_min_i32_e32 v1, 31, v27
	v_lshl_or_b32 v1, v1, 2, v3
	v_and_or_b32 v48, v0, 3, v1
                                        ; implicit-def: $vgpr3
; %bb.1903:                             ;   in Loop: Header=BB4_1836 Depth=2
	s_andn2_saveexec_b64 s[20:21], s[20:21]
; %bb.1904:                             ;   in Loop: Header=BB4_1836 Depth=2
	v_mov_b32_e32 v48, v3
; %bb.1905:                             ;   in Loop: Header=BB4_1836 Depth=2
	s_or_b64 exec, exec, s[20:21]
.LBB4_1906:                             ;   in Loop: Header=BB4_1836 Depth=2
	s_or_b64 exec, exec, s[92:93]
                                        ; implicit-def: $vgpr3
.LBB4_1907:                             ;   in Loop: Header=BB4_1836 Depth=2
	s_andn2_saveexec_b64 s[20:21], s[90:91]
; %bb.1908:                             ;   in Loop: Header=BB4_1836 Depth=2
	v_or_b32_e32 v48, 0x7b, v3
; %bb.1909:                             ;   in Loop: Header=BB4_1836 Depth=2
	s_or_b64 exec, exec, s[20:21]
                                        ; implicit-def: $vgpr0
.LBB4_1910:                             ;   in Loop: Header=BB4_1836 Depth=2
	s_andn2_saveexec_b64 s[20:21], s[88:89]
	s_cbranch_execz .LBB4_1916
; %bb.1911:                             ;   in Loop: Header=BB4_1836 Depth=2
	v_cmp_ne_u64_e32 vcc, 0, v[34:35]
                                        ; implicit-def: $vgpr48
	s_and_saveexec_b64 s[88:89], vcc
	s_xor_b64 s[88:89], exec, s[88:89]
; %bb.1912:                             ;   in Loop: Header=BB4_1836 Depth=2
	v_or_b32_sdwa v48, v0, s65 dst_sel:DWORD dst_unused:UNUSED_PAD src0_sel:BYTE_3 src1_sel:DWORD
                                        ; implicit-def: $vgpr0
; %bb.1913:                             ;   in Loop: Header=BB4_1836 Depth=2
	s_andn2_saveexec_b64 s[88:89], s[88:89]
; %bb.1914:                             ;   in Loop: Header=BB4_1836 Depth=2
	v_cmp_lt_i32_e32 vcc, -1, v0
	v_mov_b32_e32 v0, 0x7c
	v_cndmask_b32_e32 v48, -4, v0, vcc
; %bb.1915:                             ;   in Loop: Header=BB4_1836 Depth=2
	s_or_b64 exec, exec, s[88:89]
.LBB4_1916:                             ;   in Loop: Header=BB4_1836 Depth=2
	s_or_b64 exec, exec, s[20:21]
	v_cmp_ne_u16_e32 vcc, 0, v26
	v_mov_b32_e32 v0, 0
	v_mov_b32_e32 v1, 0
	s_and_saveexec_b64 s[20:21], vcc
	s_cbranch_execz .LBB4_1924
; %bb.1917:                             ;   in Loop: Header=BB4_1836 Depth=2
	v_cmp_ne_u16_e32 vcc, s52, v26
	v_bfrev_b32_e32 v1, 1
	s_and_saveexec_b64 s[88:89], vcc
	s_cbranch_execz .LBB4_1923
; %bb.1918:                             ;   in Loop: Header=BB4_1836 Depth=2
	v_and_b32_e32 v1, 0x7c, v26
	v_and_b32_e32 v3, 3, v26
	v_cmp_ne_u32_e32 vcc, s53, v1
                                        ; implicit-def: $vgpr1
	s_and_saveexec_b64 s[90:91], vcc
	s_xor_b64 s[90:91], exec, s[90:91]
	s_cbranch_execz .LBB4_1920
; %bb.1919:                             ;   in Loop: Header=BB4_1836 Depth=2
	v_ffbh_u32_e32 v31, v3
	v_min_u32_e32 v31, 32, v31
	v_and_b32_e32 v1, 0xff, v26
	v_mov_b32_e32 v27, v35
	v_subrev_u32_e32 v34, 29, v31
	v_bfe_u32 v1, v1, 2, 5
	v_lshlrev_b64 v[40:41], v34, v[26:27]
	v_sub_u32_e32 v27, 30, v31
	v_cmp_eq_u32_e32 vcc, 0, v1
	v_and_b32_e32 v31, 3, v40
	v_cndmask_b32_e32 v1, v1, v27, vcc
	v_and_b32_sdwa v26, sext(v26), s54 dst_sel:DWORD dst_unused:UNUSED_PAD src0_sel:WORD_0 src1_sel:DWORD
	v_cndmask_b32_e32 v3, v3, v31, vcc
	v_lshl_add_u32 v1, v1, 23, v26
	v_lshl_or_b32 v1, v3, 21, v1
	v_add_u32_e32 v1, 0x38000000, v1
                                        ; implicit-def: $vgpr3
                                        ; implicit-def: $vgpr26
.LBB4_1920:                             ;   in Loop: Header=BB4_1836 Depth=2
	s_andn2_saveexec_b64 s[90:91], s[90:91]
; %bb.1921:                             ;   in Loop: Header=BB4_1836 Depth=2
	v_cmp_lt_i16_e32 vcc, -1, v26
	v_cndmask_b32_e32 v1, v5, v36, vcc
	v_cmp_eq_u32_e32 vcc, 0, v3
	v_cndmask_b32_e32 v1, v37, v1, vcc
; %bb.1922:                             ;   in Loop: Header=BB4_1836 Depth=2
	s_or_b64 exec, exec, s[90:91]
.LBB4_1923:                             ;   in Loop: Header=BB4_1836 Depth=2
	s_or_b64 exec, exec, s[88:89]
.LBB4_1924:                             ;   in Loop: Header=BB4_1836 Depth=2
	s_or_b64 exec, exec, s[20:21]
	v_cmp_ne_u16_e32 vcc, 0, v25
	s_and_saveexec_b64 s[20:21], vcc
	s_cbranch_execz .LBB4_1932
; %bb.1925:                             ;   in Loop: Header=BB4_1836 Depth=2
	v_cmp_ne_u16_e32 vcc, s52, v25
	v_bfrev_b32_e32 v0, 1
	s_and_saveexec_b64 s[88:89], vcc
	s_cbranch_execz .LBB4_1931
; %bb.1926:                             ;   in Loop: Header=BB4_1836 Depth=2
	v_and_b32_e32 v0, 0x7c, v25
	v_and_b32_e32 v3, 3, v25
	v_cmp_ne_u32_e32 vcc, s53, v0
                                        ; implicit-def: $vgpr0
	s_and_saveexec_b64 s[90:91], vcc
	s_xor_b64 s[90:91], exec, s[90:91]
	s_cbranch_execz .LBB4_1928
; %bb.1927:                             ;   in Loop: Header=BB4_1836 Depth=2
	v_ffbh_u32_e32 v27, v3
	v_min_u32_e32 v31, 32, v27
	v_and_b32_e32 v0, 0xff, v25
	v_mov_b32_e32 v26, v35
	v_subrev_u32_e32 v27, 29, v31
	v_bfe_u32 v0, v0, 2, 5
	v_lshlrev_b64 v[26:27], v27, v[25:26]
	v_sub_u32_e32 v27, 30, v31
	v_cmp_eq_u32_e32 vcc, 0, v0
	v_and_b32_e32 v26, 3, v26
	v_cndmask_b32_e32 v0, v0, v27, vcc
	v_and_b32_sdwa v25, sext(v25), s54 dst_sel:DWORD dst_unused:UNUSED_PAD src0_sel:WORD_0 src1_sel:DWORD
	v_cndmask_b32_e32 v3, v3, v26, vcc
	v_lshl_add_u32 v0, v0, 23, v25
	v_lshl_or_b32 v0, v3, 21, v0
	v_add_u32_e32 v0, 0x38000000, v0
                                        ; implicit-def: $vgpr3
                                        ; implicit-def: $vgpr25
.LBB4_1928:                             ;   in Loop: Header=BB4_1836 Depth=2
	s_andn2_saveexec_b64 s[90:91], s[90:91]
; %bb.1929:                             ;   in Loop: Header=BB4_1836 Depth=2
	v_cmp_lt_i16_e32 vcc, -1, v25
	v_cndmask_b32_e32 v0, v5, v36, vcc
	v_cmp_eq_u32_e32 vcc, 0, v3
	v_cndmask_b32_e32 v0, v37, v0, vcc
; %bb.1930:                             ;   in Loop: Header=BB4_1836 Depth=2
	s_or_b64 exec, exec, s[90:91]
.LBB4_1931:                             ;   in Loop: Header=BB4_1836 Depth=2
	s_or_b64 exec, exec, s[88:89]
.LBB4_1932:                             ;   in Loop: Header=BB4_1836 Depth=2
	s_or_b64 exec, exec, s[20:21]
	v_mul_f32_e32 v0, v1, v0
	v_and_b32_e32 v25, 0x7f800000, v0
	v_mov_b32_e32 v26, v35
	v_cmp_ne_u64_e32 vcc, s[60:61], v[25:26]
	v_and_b32_e32 v34, 0x7fffff, v0
                                        ; implicit-def: $vgpr27
	s_and_saveexec_b64 s[20:21], vcc
	s_xor_b64 s[88:89], exec, s[20:21]
	s_cbranch_execz .LBB4_1950
; %bb.1933:                             ;   in Loop: Header=BB4_1836 Depth=2
	v_and_b32_e32 v25, 0x7fffffff, v0
	v_mov_b32_e32 v26, v35
	v_cmp_gt_u64_e32 vcc, s[62:63], v[25:26]
	v_and_b32_sdwa v3, v0, s55 dst_sel:DWORD dst_unused:UNUSED_PAD src0_sel:BYTE_3 src1_sel:DWORD
                                        ; implicit-def: $vgpr27
	s_and_saveexec_b64 s[20:21], vcc
	s_xor_b64 s[90:91], exec, s[20:21]
	s_cbranch_execz .LBB4_1947
; %bb.1934:                             ;   in Loop: Header=BB4_1836 Depth=2
	v_cmp_ne_u32_e32 vcc, 0, v0
	v_mov_b32_e32 v27, 0
	s_and_saveexec_b64 s[92:93], vcc
	s_cbranch_execz .LBB4_1946
; %bb.1935:                             ;   in Loop: Header=BB4_1836 Depth=2
	v_bfe_u32 v27, v0, 23, 8
	v_cmp_gt_u32_e64 s[20:21], s64, v27
	v_sub_u32_e32 v0, 0x71, v27
	v_cmp_eq_u32_e32 vcc, 0, v27
	v_cndmask_b32_e64 v0, 0, v0, s[20:21]
	v_mov_b32_e32 v25, 0x70
	v_cndmask_b32_e32 v31, v0, v25, vcc
	v_or_b32_e32 v1, 0x800000, v34
	v_add_u32_e32 v0, 21, v31
	v_cndmask_b32_e32 v34, v1, v34, vcc
	v_lshlrev_b64 v[0:1], v0, -1
	v_add_u32_e32 v25, 20, v31
	v_lshlrev_b64 v[25:26], v25, 1
	v_bfi_b32 v1, v1, 0, 0
	v_bfi_b32 v0, v0, 0, v34
	v_cmp_eq_u64_e64 s[20:21], v[0:1], v[25:26]
	v_lshrrev_b64 v[0:1], v31, v[34:35]
	v_mov_b32_e32 v26, v1
	v_mov_b32_e32 v25, v0
	s_and_saveexec_b64 s[94:95], s[20:21]
; %bb.1936:                             ;   in Loop: Header=BB4_1836 Depth=2
	v_bfe_u32 v1, v0, 21, 1
	v_add_co_u32_e64 v1, s[20:21], v0, v1
	v_add_co_u32_e64 v25, s[20:21], -1, v1
; %bb.1937:                             ;   in Loop: Header=BB4_1836 Depth=2
	s_or_b64 exec, exec, s[94:95]
	v_add_u32_e32 v1, 0xffffff81, v27
	v_mov_b32_e32 v26, 0xffffff82
	v_cndmask_b32_e32 v1, v1, v26, vcc
	v_lshrrev_b32_e32 v26, 23, v0
	v_add3_u32 v27, v31, v1, v26
	v_add_u32_e32 v26, 14, v27
	v_and_b32_e32 v1, 0x1fffff, v25
	v_add_u32_e32 v34, v1, v0
	v_cmp_ne_u32_e32 vcc, 0, v26
                                        ; implicit-def: $vgpr0_vgpr1
                                        ; implicit-def: $vgpr25
	s_and_saveexec_b64 s[20:21], vcc
	s_xor_b64 s[20:21], exec, s[20:21]
; %bb.1938:                             ;   in Loop: Header=BB4_1836 Depth=2
	v_cmp_lt_u64_e32 vcc, s[72:73], v[34:35]
	v_add_u32_e32 v0, 15, v27
	v_cndmask_b32_e32 v25, v26, v0, vcc
	v_cndmask_b32_e64 v0, 0, 1, vcc
	v_lshrrev_b64 v[0:1], v0, v[34:35]
; %bb.1939:                             ;   in Loop: Header=BB4_1836 Depth=2
	s_andn2_saveexec_b64 s[20:21], s[20:21]
; %bb.1940:                             ;   in Loop: Header=BB4_1836 Depth=2
	v_mov_b32_e32 v0, v34
	v_bfe_u32 v25, v34, 23, 1
	v_mov_b32_e32 v1, v35
; %bb.1941:                             ;   in Loop: Header=BB4_1836 Depth=2
	s_or_b64 exec, exec, s[20:21]
	v_lshrrev_b64 v[0:1], 21, v[0:1]
	v_cmp_gt_i32_e32 vcc, 32, v25
	v_cndmask_b32_e32 v1, 0, v1, vcc
	v_cndmask_b32_e32 v0, 3, v0, vcc
	v_cmp_ne_u64_e32 vcc, 0, v[0:1]
	v_cmp_ne_u32_e64 s[20:21], 0, v25
	s_or_b64 s[20:21], s[20:21], vcc
                                        ; implicit-def: $vgpr27
	s_and_saveexec_b64 s[94:95], s[20:21]
	s_xor_b64 s[20:21], exec, s[94:95]
; %bb.1942:                             ;   in Loop: Header=BB4_1836 Depth=2
	v_min_i32_e32 v1, 31, v25
	v_lshl_or_b32 v1, v1, 2, v3
	v_and_or_b32 v27, v0, 3, v1
                                        ; implicit-def: $vgpr3
; %bb.1943:                             ;   in Loop: Header=BB4_1836 Depth=2
	s_andn2_saveexec_b64 s[20:21], s[20:21]
; %bb.1944:                             ;   in Loop: Header=BB4_1836 Depth=2
	v_mov_b32_e32 v27, v3
; %bb.1945:                             ;   in Loop: Header=BB4_1836 Depth=2
	s_or_b64 exec, exec, s[20:21]
.LBB4_1946:                             ;   in Loop: Header=BB4_1836 Depth=2
	s_or_b64 exec, exec, s[92:93]
                                        ; implicit-def: $vgpr3
.LBB4_1947:                             ;   in Loop: Header=BB4_1836 Depth=2
	s_andn2_saveexec_b64 s[20:21], s[90:91]
; %bb.1948:                             ;   in Loop: Header=BB4_1836 Depth=2
	v_or_b32_e32 v27, 0x7b, v3
; %bb.1949:                             ;   in Loop: Header=BB4_1836 Depth=2
	s_or_b64 exec, exec, s[20:21]
                                        ; implicit-def: $vgpr0
.LBB4_1950:                             ;   in Loop: Header=BB4_1836 Depth=2
	s_andn2_saveexec_b64 s[20:21], s[88:89]
	s_cbranch_execz .LBB4_1956
; %bb.1951:                             ;   in Loop: Header=BB4_1836 Depth=2
	v_cmp_ne_u64_e32 vcc, 0, v[34:35]
                                        ; implicit-def: $vgpr27
	s_and_saveexec_b64 s[88:89], vcc
	s_xor_b64 s[88:89], exec, s[88:89]
; %bb.1952:                             ;   in Loop: Header=BB4_1836 Depth=2
	v_or_b32_sdwa v27, v0, s65 dst_sel:DWORD dst_unused:UNUSED_PAD src0_sel:BYTE_3 src1_sel:DWORD
                                        ; implicit-def: $vgpr0
; %bb.1953:                             ;   in Loop: Header=BB4_1836 Depth=2
	s_andn2_saveexec_b64 s[88:89], s[88:89]
; %bb.1954:                             ;   in Loop: Header=BB4_1836 Depth=2
	v_cmp_lt_i32_e32 vcc, -1, v0
	v_mov_b32_e32 v0, 0x7c
	v_cndmask_b32_e32 v27, -4, v0, vcc
; %bb.1955:                             ;   in Loop: Header=BB4_1836 Depth=2
	s_or_b64 exec, exec, s[88:89]
.LBB4_1956:                             ;   in Loop: Header=BB4_1836 Depth=2
	s_or_b64 exec, exec, s[20:21]
	v_cmp_ne_u16_e32 vcc, 0, v51
	v_mov_b32_e32 v0, 0
	v_mov_b32_e32 v1, 0
	s_and_saveexec_b64 s[20:21], vcc
	s_cbranch_execz .LBB4_1964
; %bb.1957:                             ;   in Loop: Header=BB4_1836 Depth=2
	v_cmp_ne_u16_e32 vcc, s52, v51
	v_bfrev_b32_e32 v1, 1
	s_and_saveexec_b64 s[88:89], vcc
	s_cbranch_execz .LBB4_1963
; %bb.1958:                             ;   in Loop: Header=BB4_1836 Depth=2
	v_and_b32_e32 v1, 0x7c, v51
	v_and_b32_e32 v3, 3, v51
	v_cmp_ne_u32_e32 vcc, s53, v1
                                        ; implicit-def: $vgpr1
	s_and_saveexec_b64 s[90:91], vcc
	s_xor_b64 s[90:91], exec, s[90:91]
	s_cbranch_execz .LBB4_1960
; %bb.1959:                             ;   in Loop: Header=BB4_1836 Depth=2
	v_ffbh_u32_e32 v25, v3
	v_min_u32_e32 v31, 32, v25
	v_mov_b32_e32 v52, v35
	v_subrev_u32_e32 v25, 29, v31
	v_and_b32_e32 v1, 0xff, v51
	v_lshlrev_b64 v[25:26], v25, v[51:52]
	v_bfe_u32 v1, v1, 2, 5
	v_sub_u32_e32 v26, 30, v31
	v_and_b32_e32 v25, 3, v25
	v_cmp_eq_u32_e32 vcc, 0, v1
	v_cndmask_b32_e32 v1, v1, v26, vcc
	v_cndmask_b32_e32 v3, v3, v25, vcc
	v_and_b32_sdwa v25, sext(v51), s54 dst_sel:DWORD dst_unused:UNUSED_PAD src0_sel:WORD_0 src1_sel:DWORD
	v_lshl_add_u32 v1, v1, 23, v25
	v_lshl_or_b32 v1, v3, 21, v1
	v_add_u32_e32 v1, 0x38000000, v1
                                        ; implicit-def: $vgpr3
                                        ; implicit-def: $vgpr51
.LBB4_1960:                             ;   in Loop: Header=BB4_1836 Depth=2
	s_andn2_saveexec_b64 s[90:91], s[90:91]
; %bb.1961:                             ;   in Loop: Header=BB4_1836 Depth=2
	v_cmp_lt_i16_e32 vcc, -1, v51
	v_cndmask_b32_e32 v1, v5, v36, vcc
	v_cmp_eq_u32_e32 vcc, 0, v3
	v_cndmask_b32_e32 v1, v37, v1, vcc
; %bb.1962:                             ;   in Loop: Header=BB4_1836 Depth=2
	s_or_b64 exec, exec, s[90:91]
.LBB4_1963:                             ;   in Loop: Header=BB4_1836 Depth=2
	s_or_b64 exec, exec, s[88:89]
.LBB4_1964:                             ;   in Loop: Header=BB4_1836 Depth=2
	s_or_b64 exec, exec, s[20:21]
	v_cmp_ne_u16_e32 vcc, 0, v50
	s_and_saveexec_b64 s[20:21], vcc
	s_cbranch_execz .LBB4_1972
; %bb.1965:                             ;   in Loop: Header=BB4_1836 Depth=2
	v_cmp_ne_u16_e32 vcc, s52, v50
	v_bfrev_b32_e32 v0, 1
	s_and_saveexec_b64 s[88:89], vcc
	s_cbranch_execz .LBB4_1971
; %bb.1966:                             ;   in Loop: Header=BB4_1836 Depth=2
	v_and_b32_e32 v0, 0x7c, v50
	v_and_b32_e32 v3, 3, v50
	v_cmp_ne_u32_e32 vcc, s53, v0
                                        ; implicit-def: $vgpr0
	s_and_saveexec_b64 s[90:91], vcc
	s_xor_b64 s[90:91], exec, s[90:91]
	s_cbranch_execz .LBB4_1968
; %bb.1967:                             ;   in Loop: Header=BB4_1836 Depth=2
	v_ffbh_u32_e32 v25, v3
	v_min_u32_e32 v31, 32, v25
	v_mov_b32_e32 v51, v35
	v_subrev_u32_e32 v25, 29, v31
	v_and_b32_e32 v0, 0xff, v50
	v_lshlrev_b64 v[25:26], v25, v[50:51]
	v_bfe_u32 v0, v0, 2, 5
	v_sub_u32_e32 v26, 30, v31
	v_and_b32_e32 v25, 3, v25
	v_cmp_eq_u32_e32 vcc, 0, v0
	v_cndmask_b32_e32 v0, v0, v26, vcc
	v_cndmask_b32_e32 v3, v3, v25, vcc
	v_and_b32_sdwa v25, sext(v50), s54 dst_sel:DWORD dst_unused:UNUSED_PAD src0_sel:WORD_0 src1_sel:DWORD
	v_lshl_add_u32 v0, v0, 23, v25
	v_lshl_or_b32 v0, v3, 21, v0
	v_add_u32_e32 v0, 0x38000000, v0
                                        ; implicit-def: $vgpr3
                                        ; implicit-def: $vgpr50
.LBB4_1968:                             ;   in Loop: Header=BB4_1836 Depth=2
	s_andn2_saveexec_b64 s[90:91], s[90:91]
; %bb.1969:                             ;   in Loop: Header=BB4_1836 Depth=2
	v_cmp_lt_i16_e32 vcc, -1, v50
	v_cndmask_b32_e32 v0, v5, v36, vcc
	v_cmp_eq_u32_e32 vcc, 0, v3
	v_cndmask_b32_e32 v0, v37, v0, vcc
; %bb.1970:                             ;   in Loop: Header=BB4_1836 Depth=2
	s_or_b64 exec, exec, s[90:91]
.LBB4_1971:                             ;   in Loop: Header=BB4_1836 Depth=2
	s_or_b64 exec, exec, s[88:89]
.LBB4_1972:                             ;   in Loop: Header=BB4_1836 Depth=2
	s_or_b64 exec, exec, s[20:21]
	v_mul_f32_e32 v0, v1, v0
	v_and_b32_e32 v25, 0x7f800000, v0
	v_mov_b32_e32 v26, v35
	v_cmp_ne_u64_e32 vcc, s[60:61], v[25:26]
	v_and_b32_e32 v34, 0x7fffff, v0
                                        ; implicit-def: $vgpr49
	s_and_saveexec_b64 s[20:21], vcc
	s_xor_b64 s[88:89], exec, s[20:21]
	s_cbranch_execz .LBB4_1990
; %bb.1973:                             ;   in Loop: Header=BB4_1836 Depth=2
	v_and_b32_e32 v25, 0x7fffffff, v0
	v_mov_b32_e32 v26, v35
	v_cmp_gt_u64_e32 vcc, s[62:63], v[25:26]
	v_and_b32_sdwa v3, v0, s55 dst_sel:DWORD dst_unused:UNUSED_PAD src0_sel:BYTE_3 src1_sel:DWORD
                                        ; implicit-def: $vgpr49
	s_and_saveexec_b64 s[20:21], vcc
	s_xor_b64 s[90:91], exec, s[20:21]
	s_cbranch_execz .LBB4_1987
; %bb.1974:                             ;   in Loop: Header=BB4_1836 Depth=2
	v_cmp_ne_u32_e32 vcc, 0, v0
	v_mov_b32_e32 v49, 0
	s_and_saveexec_b64 s[92:93], vcc
	s_cbranch_execz .LBB4_1986
; %bb.1975:                             ;   in Loop: Header=BB4_1836 Depth=2
	v_bfe_u32 v31, v0, 23, 8
	v_cmp_gt_u32_e64 s[20:21], s64, v31
	v_sub_u32_e32 v0, 0x71, v31
	v_cmp_eq_u32_e32 vcc, 0, v31
	v_cndmask_b32_e64 v0, 0, v0, s[20:21]
	v_mov_b32_e32 v25, 0x70
	v_cndmask_b32_e32 v49, v0, v25, vcc
	v_or_b32_e32 v1, 0x800000, v34
	v_add_u32_e32 v0, 21, v49
	v_cndmask_b32_e32 v34, v1, v34, vcc
	v_lshlrev_b64 v[0:1], v0, -1
	v_add_u32_e32 v25, 20, v49
	v_lshlrev_b64 v[25:26], v25, 1
	v_bfi_b32 v1, v1, 0, 0
	v_bfi_b32 v0, v0, 0, v34
	v_cmp_eq_u64_e64 s[20:21], v[0:1], v[25:26]
	v_lshrrev_b64 v[0:1], v49, v[34:35]
	v_mov_b32_e32 v26, v1
	v_mov_b32_e32 v25, v0
	s_and_saveexec_b64 s[94:95], s[20:21]
; %bb.1976:                             ;   in Loop: Header=BB4_1836 Depth=2
	v_bfe_u32 v1, v0, 21, 1
	v_add_co_u32_e64 v1, s[20:21], v0, v1
	v_add_co_u32_e64 v25, s[20:21], -1, v1
; %bb.1977:                             ;   in Loop: Header=BB4_1836 Depth=2
	s_or_b64 exec, exec, s[94:95]
	v_add_u32_e32 v1, 0xffffff81, v31
	v_mov_b32_e32 v26, 0xffffff82
	v_cndmask_b32_e32 v1, v1, v26, vcc
	v_lshrrev_b32_e32 v26, 23, v0
	v_add3_u32 v31, v49, v1, v26
	v_add_u32_e32 v26, 14, v31
	v_and_b32_e32 v1, 0x1fffff, v25
	v_add_u32_e32 v34, v1, v0
	v_cmp_ne_u32_e32 vcc, 0, v26
                                        ; implicit-def: $vgpr0_vgpr1
                                        ; implicit-def: $vgpr25
	s_and_saveexec_b64 s[20:21], vcc
	s_xor_b64 s[20:21], exec, s[20:21]
; %bb.1978:                             ;   in Loop: Header=BB4_1836 Depth=2
	v_cmp_lt_u64_e32 vcc, s[72:73], v[34:35]
	v_add_u32_e32 v0, 15, v31
	v_cndmask_b32_e32 v25, v26, v0, vcc
	v_cndmask_b32_e64 v0, 0, 1, vcc
	v_lshrrev_b64 v[0:1], v0, v[34:35]
; %bb.1979:                             ;   in Loop: Header=BB4_1836 Depth=2
	s_andn2_saveexec_b64 s[20:21], s[20:21]
; %bb.1980:                             ;   in Loop: Header=BB4_1836 Depth=2
	v_mov_b32_e32 v0, v34
	v_bfe_u32 v25, v34, 23, 1
	v_mov_b32_e32 v1, v35
; %bb.1981:                             ;   in Loop: Header=BB4_1836 Depth=2
	s_or_b64 exec, exec, s[20:21]
	v_lshrrev_b64 v[0:1], 21, v[0:1]
	v_cmp_gt_i32_e32 vcc, 32, v25
	v_cndmask_b32_e32 v1, 0, v1, vcc
	v_cndmask_b32_e32 v0, 3, v0, vcc
	v_cmp_ne_u64_e32 vcc, 0, v[0:1]
	v_cmp_ne_u32_e64 s[20:21], 0, v25
	s_or_b64 s[20:21], s[20:21], vcc
                                        ; implicit-def: $vgpr49
	s_and_saveexec_b64 s[94:95], s[20:21]
	s_xor_b64 s[20:21], exec, s[94:95]
; %bb.1982:                             ;   in Loop: Header=BB4_1836 Depth=2
	v_min_i32_e32 v1, 31, v25
	v_lshl_or_b32 v1, v1, 2, v3
	v_and_or_b32 v49, v0, 3, v1
                                        ; implicit-def: $vgpr3
; %bb.1983:                             ;   in Loop: Header=BB4_1836 Depth=2
	s_andn2_saveexec_b64 s[20:21], s[20:21]
; %bb.1984:                             ;   in Loop: Header=BB4_1836 Depth=2
	v_mov_b32_e32 v49, v3
; %bb.1985:                             ;   in Loop: Header=BB4_1836 Depth=2
	s_or_b64 exec, exec, s[20:21]
.LBB4_1986:                             ;   in Loop: Header=BB4_1836 Depth=2
	s_or_b64 exec, exec, s[92:93]
                                        ; implicit-def: $vgpr3
.LBB4_1987:                             ;   in Loop: Header=BB4_1836 Depth=2
	s_andn2_saveexec_b64 s[20:21], s[90:91]
; %bb.1988:                             ;   in Loop: Header=BB4_1836 Depth=2
	v_or_b32_e32 v49, 0x7b, v3
; %bb.1989:                             ;   in Loop: Header=BB4_1836 Depth=2
	s_or_b64 exec, exec, s[20:21]
                                        ; implicit-def: $vgpr0
.LBB4_1990:                             ;   in Loop: Header=BB4_1836 Depth=2
	s_andn2_saveexec_b64 s[20:21], s[88:89]
	s_cbranch_execz .LBB4_1996
; %bb.1991:                             ;   in Loop: Header=BB4_1836 Depth=2
	v_cmp_ne_u64_e32 vcc, 0, v[34:35]
                                        ; implicit-def: $vgpr49
	s_and_saveexec_b64 s[88:89], vcc
	s_xor_b64 s[88:89], exec, s[88:89]
; %bb.1992:                             ;   in Loop: Header=BB4_1836 Depth=2
	v_or_b32_sdwa v49, v0, s65 dst_sel:DWORD dst_unused:UNUSED_PAD src0_sel:BYTE_3 src1_sel:DWORD
                                        ; implicit-def: $vgpr0
; %bb.1993:                             ;   in Loop: Header=BB4_1836 Depth=2
	s_andn2_saveexec_b64 s[88:89], s[88:89]
; %bb.1994:                             ;   in Loop: Header=BB4_1836 Depth=2
	v_cmp_lt_i32_e32 vcc, -1, v0
	v_mov_b32_e32 v0, 0x7c
	v_cndmask_b32_e32 v49, -4, v0, vcc
; %bb.1995:                             ;   in Loop: Header=BB4_1836 Depth=2
	s_or_b64 exec, exec, s[88:89]
.LBB4_1996:                             ;   in Loop: Header=BB4_1836 Depth=2
	s_or_b64 exec, exec, s[20:21]
	v_cmp_ne_u16_e32 vcc, 0, v30
	v_mov_b32_e32 v0, 0
	v_mov_b32_e32 v1, 0
	s_and_saveexec_b64 s[20:21], vcc
	s_cbranch_execz .LBB4_2004
; %bb.1997:                             ;   in Loop: Header=BB4_1836 Depth=2
	v_cmp_ne_u16_e32 vcc, s52, v30
	v_bfrev_b32_e32 v1, 1
	s_and_saveexec_b64 s[88:89], vcc
	s_cbranch_execz .LBB4_2003
; %bb.1998:                             ;   in Loop: Header=BB4_1836 Depth=2
	v_and_b32_e32 v1, 0x7c, v30
	v_and_b32_e32 v3, 3, v30
	v_cmp_ne_u32_e32 vcc, s53, v1
                                        ; implicit-def: $vgpr1
	s_and_saveexec_b64 s[90:91], vcc
	s_xor_b64 s[90:91], exec, s[90:91]
	s_cbranch_execz .LBB4_2000
; %bb.1999:                             ;   in Loop: Header=BB4_1836 Depth=2
	v_ffbh_u32_e32 v25, v3
	v_min_u32_e32 v34, 32, v25
	v_mov_b32_e32 v31, v35
	v_subrev_u32_e32 v25, 29, v34
	v_and_b32_e32 v1, 0xff, v30
	v_lshlrev_b64 v[25:26], v25, v[30:31]
	v_bfe_u32 v1, v1, 2, 5
	v_sub_u32_e32 v26, 30, v34
	v_and_b32_e32 v25, 3, v25
	v_cmp_eq_u32_e32 vcc, 0, v1
	v_cndmask_b32_e32 v1, v1, v26, vcc
	v_cndmask_b32_e32 v3, v3, v25, vcc
	v_and_b32_sdwa v25, sext(v30), s54 dst_sel:DWORD dst_unused:UNUSED_PAD src0_sel:WORD_0 src1_sel:DWORD
	v_lshl_add_u32 v1, v1, 23, v25
	v_lshl_or_b32 v1, v3, 21, v1
	v_add_u32_e32 v1, 0x38000000, v1
                                        ; implicit-def: $vgpr3
                                        ; implicit-def: $vgpr30
.LBB4_2000:                             ;   in Loop: Header=BB4_1836 Depth=2
	s_andn2_saveexec_b64 s[90:91], s[90:91]
; %bb.2001:                             ;   in Loop: Header=BB4_1836 Depth=2
	v_cmp_lt_i16_e32 vcc, -1, v30
	v_cndmask_b32_e32 v1, v5, v36, vcc
	v_cmp_eq_u32_e32 vcc, 0, v3
	v_cndmask_b32_e32 v1, v37, v1, vcc
; %bb.2002:                             ;   in Loop: Header=BB4_1836 Depth=2
	s_or_b64 exec, exec, s[90:91]
.LBB4_2003:                             ;   in Loop: Header=BB4_1836 Depth=2
	s_or_b64 exec, exec, s[88:89]
.LBB4_2004:                             ;   in Loop: Header=BB4_1836 Depth=2
	s_or_b64 exec, exec, s[20:21]
	v_cmp_ne_u16_e32 vcc, 0, v29
	s_and_saveexec_b64 s[20:21], vcc
	s_cbranch_execz .LBB4_2012
; %bb.2005:                             ;   in Loop: Header=BB4_1836 Depth=2
	v_cmp_ne_u16_e32 vcc, s52, v29
	v_bfrev_b32_e32 v0, 1
	s_and_saveexec_b64 s[88:89], vcc
	s_cbranch_execz .LBB4_2011
; %bb.2006:                             ;   in Loop: Header=BB4_1836 Depth=2
	v_and_b32_e32 v0, 0x7c, v29
	v_and_b32_e32 v3, 3, v29
	v_cmp_ne_u32_e32 vcc, s53, v0
                                        ; implicit-def: $vgpr0
	s_and_saveexec_b64 s[90:91], vcc
	s_xor_b64 s[90:91], exec, s[90:91]
	s_cbranch_execz .LBB4_2008
; %bb.2007:                             ;   in Loop: Header=BB4_1836 Depth=2
	v_ffbh_u32_e32 v25, v3
	v_min_u32_e32 v31, 32, v25
	v_mov_b32_e32 v30, v35
	v_subrev_u32_e32 v25, 29, v31
	v_and_b32_e32 v0, 0xff, v29
	v_lshlrev_b64 v[25:26], v25, v[29:30]
	v_bfe_u32 v0, v0, 2, 5
	v_sub_u32_e32 v26, 30, v31
	v_and_b32_e32 v25, 3, v25
	v_cmp_eq_u32_e32 vcc, 0, v0
	v_cndmask_b32_e32 v0, v0, v26, vcc
	v_cndmask_b32_e32 v3, v3, v25, vcc
	v_and_b32_sdwa v25, sext(v29), s54 dst_sel:DWORD dst_unused:UNUSED_PAD src0_sel:WORD_0 src1_sel:DWORD
	v_lshl_add_u32 v0, v0, 23, v25
	v_lshl_or_b32 v0, v3, 21, v0
	v_add_u32_e32 v0, 0x38000000, v0
                                        ; implicit-def: $vgpr3
                                        ; implicit-def: $vgpr29
.LBB4_2008:                             ;   in Loop: Header=BB4_1836 Depth=2
	s_andn2_saveexec_b64 s[90:91], s[90:91]
; %bb.2009:                             ;   in Loop: Header=BB4_1836 Depth=2
	v_cmp_lt_i16_e32 vcc, -1, v29
	v_cndmask_b32_e32 v0, v5, v36, vcc
	v_cmp_eq_u32_e32 vcc, 0, v3
	v_cndmask_b32_e32 v0, v37, v0, vcc
; %bb.2010:                             ;   in Loop: Header=BB4_1836 Depth=2
	s_or_b64 exec, exec, s[90:91]
.LBB4_2011:                             ;   in Loop: Header=BB4_1836 Depth=2
	s_or_b64 exec, exec, s[88:89]
.LBB4_2012:                             ;   in Loop: Header=BB4_1836 Depth=2
	s_or_b64 exec, exec, s[20:21]
	v_mul_f32_e32 v0, v1, v0
	v_and_b32_e32 v25, 0x7f800000, v0
	v_mov_b32_e32 v26, v35
	v_cmp_ne_u64_e32 vcc, s[60:61], v[25:26]
	v_and_b32_e32 v34, 0x7fffff, v0
                                        ; implicit-def: $vgpr26
	s_and_saveexec_b64 s[20:21], vcc
	s_xor_b64 s[88:89], exec, s[20:21]
	s_cbranch_execz .LBB4_2030
; %bb.2013:                             ;   in Loop: Header=BB4_1836 Depth=2
	v_and_b32_e32 v25, 0x7fffffff, v0
	v_mov_b32_e32 v26, v35
	v_cmp_gt_u64_e32 vcc, s[62:63], v[25:26]
	v_and_b32_sdwa v3, v0, s55 dst_sel:DWORD dst_unused:UNUSED_PAD src0_sel:BYTE_3 src1_sel:DWORD
                                        ; implicit-def: $vgpr26
	s_and_saveexec_b64 s[20:21], vcc
	s_xor_b64 s[90:91], exec, s[20:21]
	s_cbranch_execz .LBB4_2027
; %bb.2014:                             ;   in Loop: Header=BB4_1836 Depth=2
	v_cmp_ne_u32_e32 vcc, 0, v0
	v_mov_b32_e32 v26, 0
	s_and_saveexec_b64 s[92:93], vcc
	s_cbranch_execz .LBB4_2026
; %bb.2015:                             ;   in Loop: Header=BB4_1836 Depth=2
	v_bfe_u32 v29, v0, 23, 8
	v_cmp_gt_u32_e64 s[20:21], s64, v29
	v_sub_u32_e32 v0, 0x71, v29
	v_cmp_eq_u32_e32 vcc, 0, v29
	v_cndmask_b32_e64 v0, 0, v0, s[20:21]
	v_mov_b32_e32 v25, 0x70
	v_cndmask_b32_e32 v30, v0, v25, vcc
	v_or_b32_e32 v1, 0x800000, v34
	v_add_u32_e32 v0, 21, v30
	v_cndmask_b32_e32 v34, v1, v34, vcc
	v_lshlrev_b64 v[0:1], v0, -1
	v_add_u32_e32 v25, 20, v30
	v_lshlrev_b64 v[25:26], v25, 1
	v_bfi_b32 v1, v1, 0, 0
	v_bfi_b32 v0, v0, 0, v34
	v_cmp_eq_u64_e64 s[20:21], v[0:1], v[25:26]
	v_lshrrev_b64 v[0:1], v30, v[34:35]
	v_mov_b32_e32 v26, v1
	v_mov_b32_e32 v25, v0
	s_and_saveexec_b64 s[94:95], s[20:21]
; %bb.2016:                             ;   in Loop: Header=BB4_1836 Depth=2
	v_bfe_u32 v1, v0, 21, 1
	v_add_co_u32_e64 v1, s[20:21], v0, v1
	v_add_co_u32_e64 v25, s[20:21], -1, v1
; %bb.2017:                             ;   in Loop: Header=BB4_1836 Depth=2
	s_or_b64 exec, exec, s[94:95]
	v_add_u32_e32 v1, 0xffffff81, v29
	v_mov_b32_e32 v26, 0xffffff82
	v_cndmask_b32_e32 v1, v1, v26, vcc
	v_lshrrev_b32_e32 v26, 23, v0
	v_add3_u32 v29, v30, v1, v26
	v_add_u32_e32 v26, 14, v29
	v_and_b32_e32 v1, 0x1fffff, v25
	v_add_u32_e32 v34, v1, v0
	v_cmp_ne_u32_e32 vcc, 0, v26
                                        ; implicit-def: $vgpr0_vgpr1
                                        ; implicit-def: $vgpr25
	s_and_saveexec_b64 s[20:21], vcc
	s_xor_b64 s[20:21], exec, s[20:21]
; %bb.2018:                             ;   in Loop: Header=BB4_1836 Depth=2
	v_cmp_lt_u64_e32 vcc, s[72:73], v[34:35]
	v_add_u32_e32 v0, 15, v29
	v_cndmask_b32_e32 v25, v26, v0, vcc
	v_cndmask_b32_e64 v0, 0, 1, vcc
	v_lshrrev_b64 v[0:1], v0, v[34:35]
; %bb.2019:                             ;   in Loop: Header=BB4_1836 Depth=2
	s_andn2_saveexec_b64 s[20:21], s[20:21]
; %bb.2020:                             ;   in Loop: Header=BB4_1836 Depth=2
	v_mov_b32_e32 v0, v34
	v_bfe_u32 v25, v34, 23, 1
	v_mov_b32_e32 v1, v35
; %bb.2021:                             ;   in Loop: Header=BB4_1836 Depth=2
	s_or_b64 exec, exec, s[20:21]
	v_lshrrev_b64 v[0:1], 21, v[0:1]
	v_cmp_gt_i32_e32 vcc, 32, v25
	v_cndmask_b32_e32 v1, 0, v1, vcc
	v_cndmask_b32_e32 v0, 3, v0, vcc
	v_cmp_ne_u64_e32 vcc, 0, v[0:1]
	v_cmp_ne_u32_e64 s[20:21], 0, v25
	s_or_b64 s[20:21], s[20:21], vcc
                                        ; implicit-def: $vgpr26
	s_and_saveexec_b64 s[94:95], s[20:21]
	s_xor_b64 s[20:21], exec, s[94:95]
; %bb.2022:                             ;   in Loop: Header=BB4_1836 Depth=2
	v_min_i32_e32 v1, 31, v25
	v_lshl_or_b32 v1, v1, 2, v3
	v_and_or_b32 v26, v0, 3, v1
                                        ; implicit-def: $vgpr3
; %bb.2023:                             ;   in Loop: Header=BB4_1836 Depth=2
	s_andn2_saveexec_b64 s[20:21], s[20:21]
; %bb.2024:                             ;   in Loop: Header=BB4_1836 Depth=2
	v_mov_b32_e32 v26, v3
; %bb.2025:                             ;   in Loop: Header=BB4_1836 Depth=2
	s_or_b64 exec, exec, s[20:21]
.LBB4_2026:                             ;   in Loop: Header=BB4_1836 Depth=2
	s_or_b64 exec, exec, s[92:93]
                                        ; implicit-def: $vgpr3
.LBB4_2027:                             ;   in Loop: Header=BB4_1836 Depth=2
	s_andn2_saveexec_b64 s[20:21], s[90:91]
; %bb.2028:                             ;   in Loop: Header=BB4_1836 Depth=2
	v_or_b32_e32 v26, 0x7b, v3
; %bb.2029:                             ;   in Loop: Header=BB4_1836 Depth=2
	s_or_b64 exec, exec, s[20:21]
                                        ; implicit-def: $vgpr0
.LBB4_2030:                             ;   in Loop: Header=BB4_1836 Depth=2
	s_andn2_saveexec_b64 s[20:21], s[88:89]
	s_cbranch_execz .LBB4_2036
; %bb.2031:                             ;   in Loop: Header=BB4_1836 Depth=2
	v_cmp_ne_u64_e32 vcc, 0, v[34:35]
                                        ; implicit-def: $vgpr26
	s_and_saveexec_b64 s[88:89], vcc
	s_xor_b64 s[88:89], exec, s[88:89]
; %bb.2032:                             ;   in Loop: Header=BB4_1836 Depth=2
	v_or_b32_sdwa v26, v0, s65 dst_sel:DWORD dst_unused:UNUSED_PAD src0_sel:BYTE_3 src1_sel:DWORD
                                        ; implicit-def: $vgpr0
; %bb.2033:                             ;   in Loop: Header=BB4_1836 Depth=2
	s_andn2_saveexec_b64 s[88:89], s[88:89]
; %bb.2034:                             ;   in Loop: Header=BB4_1836 Depth=2
	v_cmp_lt_i32_e32 vcc, -1, v0
	v_mov_b32_e32 v0, 0x7c
	v_cndmask_b32_e32 v26, -4, v0, vcc
; %bb.2035:                             ;   in Loop: Header=BB4_1836 Depth=2
	s_or_b64 exec, exec, s[88:89]
.LBB4_2036:                             ;   in Loop: Header=BB4_1836 Depth=2
	s_or_b64 exec, exec, s[20:21]
	v_cmp_ne_u16_e32 vcc, 0, v28
	v_mov_b32_e32 v0, 0
	v_mov_b32_e32 v1, 0
	s_and_saveexec_b64 s[20:21], vcc
	s_cbranch_execz .LBB4_2044
; %bb.2037:                             ;   in Loop: Header=BB4_1836 Depth=2
	v_cmp_ne_u16_e32 vcc, s52, v28
	v_bfrev_b32_e32 v1, 1
	s_and_saveexec_b64 s[88:89], vcc
	s_cbranch_execz .LBB4_2043
; %bb.2038:                             ;   in Loop: Header=BB4_1836 Depth=2
	v_and_b32_e32 v1, 0x7c, v28
	v_and_b32_e32 v3, 3, v28
	v_cmp_ne_u32_e32 vcc, s53, v1
                                        ; implicit-def: $vgpr1
	s_and_saveexec_b64 s[90:91], vcc
	s_xor_b64 s[90:91], exec, s[90:91]
	s_cbranch_execz .LBB4_2040
; %bb.2039:                             ;   in Loop: Header=BB4_1836 Depth=2
	v_ffbh_u32_e32 v25, v3
	v_min_u32_e32 v25, 32, v25
	v_and_b32_e32 v1, 0xff, v28
	v_mov_b32_e32 v29, v35
	v_subrev_u32_e32 v30, 29, v25
	v_bfe_u32 v1, v1, 2, 5
	v_lshlrev_b64 v[29:30], v30, v[28:29]
	v_sub_u32_e32 v25, 30, v25
	v_cmp_eq_u32_e32 vcc, 0, v1
	v_and_b32_e32 v29, 3, v29
	v_cndmask_b32_e32 v1, v1, v25, vcc
	v_and_b32_sdwa v25, sext(v28), s54 dst_sel:DWORD dst_unused:UNUSED_PAD src0_sel:WORD_0 src1_sel:DWORD
	v_cndmask_b32_e32 v3, v3, v29, vcc
	v_lshl_add_u32 v1, v1, 23, v25
	v_lshl_or_b32 v1, v3, 21, v1
	v_add_u32_e32 v1, 0x38000000, v1
                                        ; implicit-def: $vgpr3
                                        ; implicit-def: $vgpr28
.LBB4_2040:                             ;   in Loop: Header=BB4_1836 Depth=2
	s_andn2_saveexec_b64 s[90:91], s[90:91]
; %bb.2041:                             ;   in Loop: Header=BB4_1836 Depth=2
	v_cmp_lt_i16_e32 vcc, -1, v28
	v_cndmask_b32_e32 v1, v5, v36, vcc
	v_cmp_eq_u32_e32 vcc, 0, v3
	v_cndmask_b32_e32 v1, v37, v1, vcc
; %bb.2042:                             ;   in Loop: Header=BB4_1836 Depth=2
	s_or_b64 exec, exec, s[90:91]
.LBB4_2043:                             ;   in Loop: Header=BB4_1836 Depth=2
	s_or_b64 exec, exec, s[88:89]
.LBB4_2044:                             ;   in Loop: Header=BB4_1836 Depth=2
	s_or_b64 exec, exec, s[20:21]
	v_cmp_ne_u16_e32 vcc, 0, v2
	s_and_saveexec_b64 s[20:21], vcc
	s_cbranch_execz .LBB4_2052
; %bb.2045:                             ;   in Loop: Header=BB4_1836 Depth=2
	v_cmp_ne_u16_e32 vcc, s52, v2
	v_bfrev_b32_e32 v0, 1
	s_and_saveexec_b64 s[88:89], vcc
	s_cbranch_execz .LBB4_2051
; %bb.2046:                             ;   in Loop: Header=BB4_1836 Depth=2
	v_and_b32_e32 v0, 0x7c, v2
	v_and_b32_e32 v25, 3, v2
	v_cmp_ne_u32_e32 vcc, s53, v0
                                        ; implicit-def: $vgpr0
	s_and_saveexec_b64 s[90:91], vcc
	s_xor_b64 s[90:91], exec, s[90:91]
	s_cbranch_execz .LBB4_2048
; %bb.2047:                             ;   in Loop: Header=BB4_1836 Depth=2
	v_ffbh_u32_e32 v28, v25
	v_min_u32_e32 v30, 32, v28
	v_and_b32_e32 v0, 0xff, v2
	v_mov_b32_e32 v3, v35
	v_subrev_u32_e32 v28, 29, v30
	v_bfe_u32 v0, v0, 2, 5
	v_lshlrev_b64 v[28:29], v28, v[2:3]
	v_sub_u32_e32 v3, 30, v30
	v_cmp_eq_u32_e32 vcc, 0, v0
	v_and_b32_e32 v28, 3, v28
	v_cndmask_b32_e32 v0, v0, v3, vcc
	v_and_b32_sdwa v2, sext(v2), s54 dst_sel:DWORD dst_unused:UNUSED_PAD src0_sel:WORD_0 src1_sel:DWORD
	v_cndmask_b32_e32 v3, v25, v28, vcc
	v_lshl_add_u32 v0, v0, 23, v2
	v_lshl_or_b32 v0, v3, 21, v0
	v_add_u32_e32 v0, 0x38000000, v0
                                        ; implicit-def: $vgpr25
                                        ; implicit-def: $vgpr2
.LBB4_2048:                             ;   in Loop: Header=BB4_1836 Depth=2
	s_andn2_saveexec_b64 s[90:91], s[90:91]
; %bb.2049:                             ;   in Loop: Header=BB4_1836 Depth=2
	v_cmp_lt_i16_e32 vcc, -1, v2
	v_cndmask_b32_e32 v0, v5, v36, vcc
	v_cmp_eq_u32_e32 vcc, 0, v25
	v_cndmask_b32_e32 v0, v37, v0, vcc
; %bb.2050:                             ;   in Loop: Header=BB4_1836 Depth=2
	s_or_b64 exec, exec, s[90:91]
.LBB4_2051:                             ;   in Loop: Header=BB4_1836 Depth=2
	s_or_b64 exec, exec, s[88:89]
.LBB4_2052:                             ;   in Loop: Header=BB4_1836 Depth=2
	s_or_b64 exec, exec, s[20:21]
	v_mul_f32_e32 v0, v1, v0
	v_and_b32_e32 v1, 0x7f800000, v0
	v_mov_b32_e32 v2, v35
	v_cmp_ne_u64_e32 vcc, s[60:61], v[1:2]
	v_and_b32_e32 v34, 0x7fffff, v0
                                        ; implicit-def: $vgpr3
	s_and_saveexec_b64 s[20:21], vcc
	s_xor_b64 s[88:89], exec, s[20:21]
	s_cbranch_execz .LBB4_2070
; %bb.2053:                             ;   in Loop: Header=BB4_1836 Depth=2
	v_and_b32_e32 v1, 0x7fffffff, v0
	v_mov_b32_e32 v2, v35
	v_cmp_gt_u64_e32 vcc, s[62:63], v[1:2]
	v_and_b32_sdwa v25, v0, s55 dst_sel:DWORD dst_unused:UNUSED_PAD src0_sel:BYTE_3 src1_sel:DWORD
                                        ; implicit-def: $vgpr3
	s_and_saveexec_b64 s[20:21], vcc
	s_xor_b64 s[90:91], exec, s[20:21]
	s_cbranch_execz .LBB4_2067
; %bb.2054:                             ;   in Loop: Header=BB4_1836 Depth=2
	v_cmp_ne_u32_e32 vcc, 0, v0
	v_mov_b32_e32 v3, 0
	s_and_saveexec_b64 s[92:93], vcc
	s_cbranch_execz .LBB4_2066
; %bb.2055:                             ;   in Loop: Header=BB4_1836 Depth=2
	v_bfe_u32 v3, v0, 23, 8
	v_cmp_gt_u32_e64 s[20:21], s64, v3
	v_sub_u32_e32 v0, 0x71, v3
	v_cmp_eq_u32_e32 vcc, 0, v3
	v_cndmask_b32_e64 v0, 0, v0, s[20:21]
	v_mov_b32_e32 v2, 0x70
	v_cndmask_b32_e32 v28, v0, v2, vcc
	v_or_b32_e32 v1, 0x800000, v34
	v_add_u32_e32 v0, 21, v28
	v_cndmask_b32_e32 v34, v1, v34, vcc
	v_lshlrev_b64 v[0:1], v0, -1
	v_add_u32_e32 v2, 20, v28
	v_lshlrev_b64 v[29:30], v2, 1
	v_bfi_b32 v1, v1, 0, 0
	v_bfi_b32 v0, v0, 0, v34
	v_cmp_eq_u64_e64 s[20:21], v[0:1], v[29:30]
	v_lshrrev_b64 v[0:1], v28, v[34:35]
	v_mov_b32_e32 v2, v1
	v_mov_b32_e32 v1, v0
	s_and_saveexec_b64 s[94:95], s[20:21]
; %bb.2056:                             ;   in Loop: Header=BB4_1836 Depth=2
	v_bfe_u32 v1, v0, 21, 1
	v_add_co_u32_e64 v1, s[20:21], v0, v1
	v_add_co_u32_e64 v1, s[20:21], -1, v1
; %bb.2057:                             ;   in Loop: Header=BB4_1836 Depth=2
	s_or_b64 exec, exec, s[94:95]
	v_add_u32_e32 v2, 0xffffff81, v3
	v_mov_b32_e32 v3, 0xffffff82
	v_cndmask_b32_e32 v2, v2, v3, vcc
	v_lshrrev_b32_e32 v3, 23, v0
	v_add3_u32 v28, v28, v2, v3
	v_add_u32_e32 v3, 14, v28
	v_and_b32_e32 v1, 0x1fffff, v1
	v_add_u32_e32 v34, v1, v0
	v_cmp_ne_u32_e32 vcc, 0, v3
                                        ; implicit-def: $vgpr0_vgpr1
                                        ; implicit-def: $vgpr2
	s_and_saveexec_b64 s[20:21], vcc
	s_xor_b64 s[20:21], exec, s[20:21]
; %bb.2058:                             ;   in Loop: Header=BB4_1836 Depth=2
	v_cmp_lt_u64_e32 vcc, s[72:73], v[34:35]
	v_add_u32_e32 v0, 15, v28
	v_cndmask_b32_e32 v2, v3, v0, vcc
	v_cndmask_b32_e64 v0, 0, 1, vcc
	v_lshrrev_b64 v[0:1], v0, v[34:35]
; %bb.2059:                             ;   in Loop: Header=BB4_1836 Depth=2
	s_andn2_saveexec_b64 s[20:21], s[20:21]
; %bb.2060:                             ;   in Loop: Header=BB4_1836 Depth=2
	v_mov_b32_e32 v0, v34
	v_bfe_u32 v2, v34, 23, 1
	v_mov_b32_e32 v1, v35
; %bb.2061:                             ;   in Loop: Header=BB4_1836 Depth=2
	s_or_b64 exec, exec, s[20:21]
	v_lshrrev_b64 v[0:1], 21, v[0:1]
	v_cmp_gt_i32_e32 vcc, 32, v2
	v_cndmask_b32_e32 v1, 0, v1, vcc
	v_cndmask_b32_e32 v0, 3, v0, vcc
	v_cmp_ne_u64_e32 vcc, 0, v[0:1]
	v_cmp_ne_u32_e64 s[20:21], 0, v2
	s_or_b64 s[20:21], s[20:21], vcc
                                        ; implicit-def: $vgpr3
	s_and_saveexec_b64 s[94:95], s[20:21]
	s_xor_b64 s[20:21], exec, s[94:95]
; %bb.2062:                             ;   in Loop: Header=BB4_1836 Depth=2
	v_min_i32_e32 v1, 31, v2
	v_lshl_or_b32 v1, v1, 2, v25
	v_and_or_b32 v3, v0, 3, v1
                                        ; implicit-def: $vgpr25
; %bb.2063:                             ;   in Loop: Header=BB4_1836 Depth=2
	s_andn2_saveexec_b64 s[20:21], s[20:21]
; %bb.2064:                             ;   in Loop: Header=BB4_1836 Depth=2
	v_mov_b32_e32 v3, v25
; %bb.2065:                             ;   in Loop: Header=BB4_1836 Depth=2
	s_or_b64 exec, exec, s[20:21]
.LBB4_2066:                             ;   in Loop: Header=BB4_1836 Depth=2
	s_or_b64 exec, exec, s[92:93]
                                        ; implicit-def: $vgpr25
.LBB4_2067:                             ;   in Loop: Header=BB4_1836 Depth=2
	s_andn2_saveexec_b64 s[20:21], s[90:91]
; %bb.2068:                             ;   in Loop: Header=BB4_1836 Depth=2
	v_or_b32_e32 v3, 0x7b, v25
; %bb.2069:                             ;   in Loop: Header=BB4_1836 Depth=2
	s_or_b64 exec, exec, s[20:21]
                                        ; implicit-def: $vgpr0
.LBB4_2070:                             ;   in Loop: Header=BB4_1836 Depth=2
	s_andn2_saveexec_b64 s[20:21], s[88:89]
	s_cbranch_execz .LBB4_2076
; %bb.2071:                             ;   in Loop: Header=BB4_1836 Depth=2
	v_cmp_ne_u64_e32 vcc, 0, v[34:35]
                                        ; implicit-def: $vgpr3
	s_and_saveexec_b64 s[88:89], vcc
	s_xor_b64 s[88:89], exec, s[88:89]
; %bb.2072:                             ;   in Loop: Header=BB4_1836 Depth=2
	v_or_b32_sdwa v3, v0, s65 dst_sel:DWORD dst_unused:UNUSED_PAD src0_sel:BYTE_3 src1_sel:DWORD
                                        ; implicit-def: $vgpr0
; %bb.2073:                             ;   in Loop: Header=BB4_1836 Depth=2
	s_andn2_saveexec_b64 s[88:89], s[88:89]
; %bb.2074:                             ;   in Loop: Header=BB4_1836 Depth=2
	v_cmp_lt_i32_e32 vcc, -1, v0
	v_mov_b32_e32 v0, 0x7c
	v_cndmask_b32_e32 v3, -4, v0, vcc
; %bb.2075:                             ;   in Loop: Header=BB4_1836 Depth=2
	s_or_b64 exec, exec, s[88:89]
.LBB4_2076:                             ;   in Loop: Header=BB4_1836 Depth=2
	s_or_b64 exec, exec, s[20:21]
	v_cmp_ne_u16_e32 vcc, 0, v61
	v_mov_b32_e32 v0, 0
	v_mov_b32_e32 v1, 0
	s_and_saveexec_b64 s[20:21], vcc
	s_cbranch_execz .LBB4_2084
; %bb.2077:                             ;   in Loop: Header=BB4_1836 Depth=2
	v_cmp_ne_u16_e32 vcc, s52, v61
	v_bfrev_b32_e32 v1, 1
	s_and_saveexec_b64 s[88:89], vcc
	s_cbranch_execz .LBB4_2083
; %bb.2078:                             ;   in Loop: Header=BB4_1836 Depth=2
	v_and_b32_e32 v1, 0x7c, v61
	v_and_b32_e32 v2, 3, v61
	v_cmp_ne_u32_e32 vcc, s53, v1
                                        ; implicit-def: $vgpr1
	s_and_saveexec_b64 s[90:91], vcc
	s_xor_b64 s[90:91], exec, s[90:91]
	s_cbranch_execz .LBB4_2080
; %bb.2079:                             ;   in Loop: Header=BB4_1836 Depth=2
	v_ffbh_u32_e32 v25, v2
	v_min_u32_e32 v25, 32, v25
	v_and_b32_e32 v1, 0xff, v61
	v_mov_b32_e32 v62, v35
	v_subrev_u32_e32 v28, 29, v25
	v_bfe_u32 v1, v1, 2, 5
	v_lshlrev_b64 v[28:29], v28, v[61:62]
	v_sub_u32_e32 v25, 30, v25
	v_cmp_eq_u32_e32 vcc, 0, v1
	v_and_b32_e32 v28, 3, v28
	v_cndmask_b32_e32 v1, v1, v25, vcc
	v_and_b32_sdwa v25, sext(v61), s54 dst_sel:DWORD dst_unused:UNUSED_PAD src0_sel:WORD_0 src1_sel:DWORD
	v_cndmask_b32_e32 v2, v2, v28, vcc
	v_lshl_add_u32 v1, v1, 23, v25
	v_lshl_or_b32 v1, v2, 21, v1
	v_add_u32_e32 v1, 0x38000000, v1
                                        ; implicit-def: $vgpr2
                                        ; implicit-def: $vgpr61
.LBB4_2080:                             ;   in Loop: Header=BB4_1836 Depth=2
	s_andn2_saveexec_b64 s[90:91], s[90:91]
; %bb.2081:                             ;   in Loop: Header=BB4_1836 Depth=2
	v_cmp_lt_i16_e32 vcc, -1, v61
	v_cndmask_b32_e32 v1, v5, v36, vcc
	v_cmp_eq_u32_e32 vcc, 0, v2
	v_cndmask_b32_e32 v1, v37, v1, vcc
; %bb.2082:                             ;   in Loop: Header=BB4_1836 Depth=2
	s_or_b64 exec, exec, s[90:91]
.LBB4_2083:                             ;   in Loop: Header=BB4_1836 Depth=2
	s_or_b64 exec, exec, s[88:89]
.LBB4_2084:                             ;   in Loop: Header=BB4_1836 Depth=2
	s_or_b64 exec, exec, s[20:21]
	v_cmp_ne_u16_e32 vcc, 0, v60
	s_and_saveexec_b64 s[20:21], vcc
	s_cbranch_execz .LBB4_2092
; %bb.2085:                             ;   in Loop: Header=BB4_1836 Depth=2
	v_cmp_ne_u16_e32 vcc, s52, v60
	v_bfrev_b32_e32 v0, 1
	s_and_saveexec_b64 s[88:89], vcc
	s_cbranch_execz .LBB4_2091
; %bb.2086:                             ;   in Loop: Header=BB4_1836 Depth=2
	v_and_b32_e32 v0, 0x7c, v60
	v_and_b32_e32 v2, 3, v60
	v_cmp_ne_u32_e32 vcc, s53, v0
                                        ; implicit-def: $vgpr0
	s_and_saveexec_b64 s[90:91], vcc
	s_xor_b64 s[90:91], exec, s[90:91]
	s_cbranch_execz .LBB4_2088
; %bb.2087:                             ;   in Loop: Header=BB4_1836 Depth=2
	v_ffbh_u32_e32 v25, v2
	v_min_u32_e32 v25, 32, v25
	v_and_b32_e32 v0, 0xff, v60
	v_mov_b32_e32 v61, v35
	v_subrev_u32_e32 v28, 29, v25
	v_bfe_u32 v0, v0, 2, 5
	v_lshlrev_b64 v[28:29], v28, v[60:61]
	v_sub_u32_e32 v25, 30, v25
	v_cmp_eq_u32_e32 vcc, 0, v0
	v_and_b32_e32 v28, 3, v28
	v_cndmask_b32_e32 v0, v0, v25, vcc
	v_and_b32_sdwa v25, sext(v60), s54 dst_sel:DWORD dst_unused:UNUSED_PAD src0_sel:WORD_0 src1_sel:DWORD
	v_cndmask_b32_e32 v2, v2, v28, vcc
	v_lshl_add_u32 v0, v0, 23, v25
	v_lshl_or_b32 v0, v2, 21, v0
	v_add_u32_e32 v0, 0x38000000, v0
                                        ; implicit-def: $vgpr2
                                        ; implicit-def: $vgpr60
.LBB4_2088:                             ;   in Loop: Header=BB4_1836 Depth=2
	s_andn2_saveexec_b64 s[90:91], s[90:91]
; %bb.2089:                             ;   in Loop: Header=BB4_1836 Depth=2
	v_cmp_lt_i16_e32 vcc, -1, v60
	v_cndmask_b32_e32 v0, v5, v36, vcc
	v_cmp_eq_u32_e32 vcc, 0, v2
	v_cndmask_b32_e32 v0, v37, v0, vcc
; %bb.2090:                             ;   in Loop: Header=BB4_1836 Depth=2
	s_or_b64 exec, exec, s[90:91]
.LBB4_2091:                             ;   in Loop: Header=BB4_1836 Depth=2
	s_or_b64 exec, exec, s[88:89]
.LBB4_2092:                             ;   in Loop: Header=BB4_1836 Depth=2
	s_or_b64 exec, exec, s[20:21]
	v_mul_f32_e32 v0, v1, v0
	v_and_b32_e32 v1, 0x7f800000, v0
	v_mov_b32_e32 v2, v35
	v_cmp_ne_u64_e32 vcc, s[60:61], v[1:2]
	v_and_b32_e32 v34, 0x7fffff, v0
                                        ; implicit-def: $vgpr28
	s_and_saveexec_b64 s[20:21], vcc
	s_xor_b64 s[88:89], exec, s[20:21]
	s_cbranch_execz .LBB4_2110
; %bb.2093:                             ;   in Loop: Header=BB4_1836 Depth=2
	v_and_b32_e32 v1, 0x7fffffff, v0
	v_mov_b32_e32 v2, v35
	v_cmp_gt_u64_e32 vcc, s[62:63], v[1:2]
	v_and_b32_sdwa v25, v0, s55 dst_sel:DWORD dst_unused:UNUSED_PAD src0_sel:BYTE_3 src1_sel:DWORD
                                        ; implicit-def: $vgpr28
	s_and_saveexec_b64 s[20:21], vcc
	s_xor_b64 s[90:91], exec, s[20:21]
	s_cbranch_execz .LBB4_2107
; %bb.2094:                             ;   in Loop: Header=BB4_1836 Depth=2
	v_cmp_ne_u32_e32 vcc, 0, v0
	v_mov_b32_e32 v28, 0
	s_and_saveexec_b64 s[92:93], vcc
	s_cbranch_execz .LBB4_2106
; %bb.2095:                             ;   in Loop: Header=BB4_1836 Depth=2
	v_bfe_u32 v28, v0, 23, 8
	v_cmp_gt_u32_e64 s[20:21], s64, v28
	v_sub_u32_e32 v0, 0x71, v28
	v_cmp_eq_u32_e32 vcc, 0, v28
	v_cndmask_b32_e64 v0, 0, v0, s[20:21]
	v_mov_b32_e32 v2, 0x70
	v_cndmask_b32_e32 v29, v0, v2, vcc
	v_or_b32_e32 v1, 0x800000, v34
	v_add_u32_e32 v0, 21, v29
	v_cndmask_b32_e32 v34, v1, v34, vcc
	v_lshlrev_b64 v[0:1], v0, -1
	v_add_u32_e32 v2, 20, v29
	v_lshlrev_b64 v[30:31], v2, 1
	v_bfi_b32 v1, v1, 0, 0
	v_bfi_b32 v0, v0, 0, v34
	v_cmp_eq_u64_e64 s[20:21], v[0:1], v[30:31]
	v_lshrrev_b64 v[0:1], v29, v[34:35]
	v_mov_b32_e32 v2, v1
	v_mov_b32_e32 v1, v0
	s_and_saveexec_b64 s[94:95], s[20:21]
; %bb.2096:                             ;   in Loop: Header=BB4_1836 Depth=2
	v_bfe_u32 v1, v0, 21, 1
	v_add_co_u32_e64 v1, s[20:21], v0, v1
	v_add_co_u32_e64 v1, s[20:21], -1, v1
; %bb.2097:                             ;   in Loop: Header=BB4_1836 Depth=2
	s_or_b64 exec, exec, s[94:95]
	v_add_u32_e32 v2, 0xffffff81, v28
	v_mov_b32_e32 v28, 0xffffff82
	v_cndmask_b32_e32 v2, v2, v28, vcc
	v_lshrrev_b32_e32 v28, 23, v0
	v_add3_u32 v29, v29, v2, v28
	v_add_u32_e32 v28, 14, v29
	v_and_b32_e32 v1, 0x1fffff, v1
	v_add_u32_e32 v34, v1, v0
	v_cmp_ne_u32_e32 vcc, 0, v28
                                        ; implicit-def: $vgpr0_vgpr1
                                        ; implicit-def: $vgpr2
	s_and_saveexec_b64 s[20:21], vcc
	s_xor_b64 s[20:21], exec, s[20:21]
; %bb.2098:                             ;   in Loop: Header=BB4_1836 Depth=2
	v_cmp_lt_u64_e32 vcc, s[72:73], v[34:35]
	v_add_u32_e32 v0, 15, v29
	v_cndmask_b32_e32 v2, v28, v0, vcc
	v_cndmask_b32_e64 v0, 0, 1, vcc
	v_lshrrev_b64 v[0:1], v0, v[34:35]
; %bb.2099:                             ;   in Loop: Header=BB4_1836 Depth=2
	s_andn2_saveexec_b64 s[20:21], s[20:21]
; %bb.2100:                             ;   in Loop: Header=BB4_1836 Depth=2
	v_mov_b32_e32 v0, v34
	v_bfe_u32 v2, v34, 23, 1
	v_mov_b32_e32 v1, v35
; %bb.2101:                             ;   in Loop: Header=BB4_1836 Depth=2
	s_or_b64 exec, exec, s[20:21]
	v_lshrrev_b64 v[0:1], 21, v[0:1]
	v_cmp_gt_i32_e32 vcc, 32, v2
	v_cndmask_b32_e32 v1, 0, v1, vcc
	v_cndmask_b32_e32 v0, 3, v0, vcc
	v_cmp_ne_u64_e32 vcc, 0, v[0:1]
	v_cmp_ne_u32_e64 s[20:21], 0, v2
	s_or_b64 s[20:21], s[20:21], vcc
                                        ; implicit-def: $vgpr28
	s_and_saveexec_b64 s[94:95], s[20:21]
	s_xor_b64 s[20:21], exec, s[94:95]
; %bb.2102:                             ;   in Loop: Header=BB4_1836 Depth=2
	v_min_i32_e32 v1, 31, v2
	v_lshl_or_b32 v1, v1, 2, v25
	v_and_or_b32 v28, v0, 3, v1
                                        ; implicit-def: $vgpr25
; %bb.2103:                             ;   in Loop: Header=BB4_1836 Depth=2
	s_andn2_saveexec_b64 s[20:21], s[20:21]
; %bb.2104:                             ;   in Loop: Header=BB4_1836 Depth=2
	v_mov_b32_e32 v28, v25
; %bb.2105:                             ;   in Loop: Header=BB4_1836 Depth=2
	s_or_b64 exec, exec, s[20:21]
.LBB4_2106:                             ;   in Loop: Header=BB4_1836 Depth=2
	s_or_b64 exec, exec, s[92:93]
                                        ; implicit-def: $vgpr25
.LBB4_2107:                             ;   in Loop: Header=BB4_1836 Depth=2
	s_andn2_saveexec_b64 s[20:21], s[90:91]
; %bb.2108:                             ;   in Loop: Header=BB4_1836 Depth=2
	v_or_b32_e32 v28, 0x7b, v25
; %bb.2109:                             ;   in Loop: Header=BB4_1836 Depth=2
	s_or_b64 exec, exec, s[20:21]
                                        ; implicit-def: $vgpr0
.LBB4_2110:                             ;   in Loop: Header=BB4_1836 Depth=2
	s_andn2_saveexec_b64 s[20:21], s[88:89]
	s_cbranch_execz .LBB4_2116
; %bb.2111:                             ;   in Loop: Header=BB4_1836 Depth=2
	v_cmp_ne_u64_e32 vcc, 0, v[34:35]
                                        ; implicit-def: $vgpr28
	s_and_saveexec_b64 s[88:89], vcc
	s_xor_b64 s[88:89], exec, s[88:89]
; %bb.2112:                             ;   in Loop: Header=BB4_1836 Depth=2
	v_or_b32_sdwa v28, v0, s65 dst_sel:DWORD dst_unused:UNUSED_PAD src0_sel:BYTE_3 src1_sel:DWORD
                                        ; implicit-def: $vgpr0
; %bb.2113:                             ;   in Loop: Header=BB4_1836 Depth=2
	s_andn2_saveexec_b64 s[88:89], s[88:89]
; %bb.2114:                             ;   in Loop: Header=BB4_1836 Depth=2
	v_cmp_lt_i32_e32 vcc, -1, v0
	v_mov_b32_e32 v0, 0x7c
	v_cndmask_b32_e32 v28, -4, v0, vcc
; %bb.2115:                             ;   in Loop: Header=BB4_1836 Depth=2
	s_or_b64 exec, exec, s[88:89]
.LBB4_2116:                             ;   in Loop: Header=BB4_1836 Depth=2
	s_or_b64 exec, exec, s[20:21]
	v_cmp_ne_u16_e32 vcc, 0, v59
	v_mov_b32_e32 v0, 0
	v_mov_b32_e32 v1, 0
	s_and_saveexec_b64 s[20:21], vcc
	s_cbranch_execz .LBB4_2124
; %bb.2117:                             ;   in Loop: Header=BB4_1836 Depth=2
	v_cmp_ne_u16_e32 vcc, s52, v59
	v_bfrev_b32_e32 v1, 1
	s_and_saveexec_b64 s[88:89], vcc
	s_cbranch_execz .LBB4_2123
; %bb.2118:                             ;   in Loop: Header=BB4_1836 Depth=2
	v_and_b32_e32 v1, 0x7c, v59
	v_and_b32_e32 v2, 3, v59
	v_cmp_ne_u32_e32 vcc, s53, v1
                                        ; implicit-def: $vgpr1
	s_and_saveexec_b64 s[90:91], vcc
	s_xor_b64 s[90:91], exec, s[90:91]
	s_cbranch_execz .LBB4_2120
; %bb.2119:                             ;   in Loop: Header=BB4_1836 Depth=2
	v_ffbh_u32_e32 v25, v2
	v_min_u32_e32 v25, 32, v25
	v_and_b32_e32 v1, 0xff, v59
	v_mov_b32_e32 v60, v35
	v_subrev_u32_e32 v29, 29, v25
	v_bfe_u32 v1, v1, 2, 5
	v_lshlrev_b64 v[29:30], v29, v[59:60]
	v_sub_u32_e32 v25, 30, v25
	v_cmp_eq_u32_e32 vcc, 0, v1
	v_and_b32_e32 v29, 3, v29
	v_cndmask_b32_e32 v1, v1, v25, vcc
	v_and_b32_sdwa v25, sext(v59), s54 dst_sel:DWORD dst_unused:UNUSED_PAD src0_sel:WORD_0 src1_sel:DWORD
	v_cndmask_b32_e32 v2, v2, v29, vcc
	v_lshl_add_u32 v1, v1, 23, v25
	v_lshl_or_b32 v1, v2, 21, v1
	v_add_u32_e32 v1, 0x38000000, v1
                                        ; implicit-def: $vgpr2
                                        ; implicit-def: $vgpr59
.LBB4_2120:                             ;   in Loop: Header=BB4_1836 Depth=2
	s_andn2_saveexec_b64 s[90:91], s[90:91]
; %bb.2121:                             ;   in Loop: Header=BB4_1836 Depth=2
	v_cmp_lt_i16_e32 vcc, -1, v59
	v_cndmask_b32_e32 v1, v5, v36, vcc
	v_cmp_eq_u32_e32 vcc, 0, v2
	v_cndmask_b32_e32 v1, v37, v1, vcc
; %bb.2122:                             ;   in Loop: Header=BB4_1836 Depth=2
	s_or_b64 exec, exec, s[90:91]
.LBB4_2123:                             ;   in Loop: Header=BB4_1836 Depth=2
	s_or_b64 exec, exec, s[88:89]
.LBB4_2124:                             ;   in Loop: Header=BB4_1836 Depth=2
	s_or_b64 exec, exec, s[20:21]
	v_cmp_ne_u16_e32 vcc, 0, v58
	s_and_saveexec_b64 s[20:21], vcc
	s_cbranch_execz .LBB4_2132
; %bb.2125:                             ;   in Loop: Header=BB4_1836 Depth=2
	v_cmp_ne_u16_e32 vcc, s52, v58
	v_bfrev_b32_e32 v0, 1
	s_and_saveexec_b64 s[88:89], vcc
	s_cbranch_execz .LBB4_2131
; %bb.2126:                             ;   in Loop: Header=BB4_1836 Depth=2
	v_and_b32_e32 v0, 0x7c, v58
	v_and_b32_e32 v2, 3, v58
	v_cmp_ne_u32_e32 vcc, s53, v0
                                        ; implicit-def: $vgpr0
	s_and_saveexec_b64 s[90:91], vcc
	s_xor_b64 s[90:91], exec, s[90:91]
	s_cbranch_execz .LBB4_2128
; %bb.2127:                             ;   in Loop: Header=BB4_1836 Depth=2
	v_ffbh_u32_e32 v25, v2
	v_min_u32_e32 v25, 32, v25
	v_and_b32_e32 v0, 0xff, v58
	v_mov_b32_e32 v59, v35
	v_subrev_u32_e32 v29, 29, v25
	v_bfe_u32 v0, v0, 2, 5
	v_lshlrev_b64 v[29:30], v29, v[58:59]
	v_sub_u32_e32 v25, 30, v25
	v_cmp_eq_u32_e32 vcc, 0, v0
	v_and_b32_e32 v29, 3, v29
	v_cndmask_b32_e32 v0, v0, v25, vcc
	v_and_b32_sdwa v25, sext(v58), s54 dst_sel:DWORD dst_unused:UNUSED_PAD src0_sel:WORD_0 src1_sel:DWORD
	v_cndmask_b32_e32 v2, v2, v29, vcc
	v_lshl_add_u32 v0, v0, 23, v25
	v_lshl_or_b32 v0, v2, 21, v0
	v_add_u32_e32 v0, 0x38000000, v0
                                        ; implicit-def: $vgpr2
                                        ; implicit-def: $vgpr58
.LBB4_2128:                             ;   in Loop: Header=BB4_1836 Depth=2
	s_andn2_saveexec_b64 s[90:91], s[90:91]
; %bb.2129:                             ;   in Loop: Header=BB4_1836 Depth=2
	v_cmp_lt_i16_e32 vcc, -1, v58
	v_cndmask_b32_e32 v0, v5, v36, vcc
	v_cmp_eq_u32_e32 vcc, 0, v2
	v_cndmask_b32_e32 v0, v37, v0, vcc
; %bb.2130:                             ;   in Loop: Header=BB4_1836 Depth=2
	s_or_b64 exec, exec, s[90:91]
.LBB4_2131:                             ;   in Loop: Header=BB4_1836 Depth=2
	s_or_b64 exec, exec, s[88:89]
.LBB4_2132:                             ;   in Loop: Header=BB4_1836 Depth=2
	s_or_b64 exec, exec, s[20:21]
	v_mul_f32_e32 v0, v1, v0
	v_and_b32_e32 v1, 0x7f800000, v0
	v_mov_b32_e32 v2, v35
	v_cmp_ne_u64_e32 vcc, s[60:61], v[1:2]
	v_and_b32_e32 v34, 0x7fffff, v0
                                        ; implicit-def: $vgpr29
	s_and_saveexec_b64 s[20:21], vcc
	s_xor_b64 s[88:89], exec, s[20:21]
	s_cbranch_execz .LBB4_2150
; %bb.2133:                             ;   in Loop: Header=BB4_1836 Depth=2
	v_and_b32_e32 v1, 0x7fffffff, v0
	v_mov_b32_e32 v2, v35
	v_cmp_gt_u64_e32 vcc, s[62:63], v[1:2]
	v_and_b32_sdwa v25, v0, s55 dst_sel:DWORD dst_unused:UNUSED_PAD src0_sel:BYTE_3 src1_sel:DWORD
                                        ; implicit-def: $vgpr29
	s_and_saveexec_b64 s[20:21], vcc
	s_xor_b64 s[90:91], exec, s[20:21]
	s_cbranch_execz .LBB4_2147
; %bb.2134:                             ;   in Loop: Header=BB4_1836 Depth=2
	v_cmp_ne_u32_e32 vcc, 0, v0
	v_mov_b32_e32 v29, 0
	s_and_saveexec_b64 s[92:93], vcc
	s_cbranch_execz .LBB4_2146
; %bb.2135:                             ;   in Loop: Header=BB4_1836 Depth=2
	v_bfe_u32 v29, v0, 23, 8
	v_cmp_gt_u32_e64 s[20:21], s64, v29
	v_sub_u32_e32 v0, 0x71, v29
	v_cmp_eq_u32_e32 vcc, 0, v29
	v_cndmask_b32_e64 v0, 0, v0, s[20:21]
	v_mov_b32_e32 v2, 0x70
	v_cndmask_b32_e32 v30, v0, v2, vcc
	v_or_b32_e32 v1, 0x800000, v34
	v_add_u32_e32 v0, 21, v30
	v_cndmask_b32_e32 v34, v1, v34, vcc
	v_lshlrev_b64 v[0:1], v0, -1
	v_add_u32_e32 v2, 20, v30
	v_lshlrev_b64 v[50:51], v2, 1
	v_bfi_b32 v1, v1, 0, 0
	v_bfi_b32 v0, v0, 0, v34
	v_cmp_eq_u64_e64 s[20:21], v[0:1], v[50:51]
	v_lshrrev_b64 v[0:1], v30, v[34:35]
	v_mov_b32_e32 v2, v1
	v_mov_b32_e32 v1, v0
	s_and_saveexec_b64 s[94:95], s[20:21]
; %bb.2136:                             ;   in Loop: Header=BB4_1836 Depth=2
	v_bfe_u32 v1, v0, 21, 1
	v_add_co_u32_e64 v1, s[20:21], v0, v1
	v_add_co_u32_e64 v1, s[20:21], -1, v1
; %bb.2137:                             ;   in Loop: Header=BB4_1836 Depth=2
	s_or_b64 exec, exec, s[94:95]
	v_add_u32_e32 v2, 0xffffff81, v29
	v_mov_b32_e32 v29, 0xffffff82
	v_cndmask_b32_e32 v2, v2, v29, vcc
	v_lshrrev_b32_e32 v29, 23, v0
	v_add3_u32 v30, v30, v2, v29
	v_add_u32_e32 v29, 14, v30
	v_and_b32_e32 v1, 0x1fffff, v1
	v_add_u32_e32 v34, v1, v0
	v_cmp_ne_u32_e32 vcc, 0, v29
                                        ; implicit-def: $vgpr0_vgpr1
                                        ; implicit-def: $vgpr2
	s_and_saveexec_b64 s[20:21], vcc
	s_xor_b64 s[20:21], exec, s[20:21]
; %bb.2138:                             ;   in Loop: Header=BB4_1836 Depth=2
	v_cmp_lt_u64_e32 vcc, s[72:73], v[34:35]
	v_add_u32_e32 v0, 15, v30
	v_cndmask_b32_e32 v2, v29, v0, vcc
	v_cndmask_b32_e64 v0, 0, 1, vcc
	v_lshrrev_b64 v[0:1], v0, v[34:35]
; %bb.2139:                             ;   in Loop: Header=BB4_1836 Depth=2
	s_andn2_saveexec_b64 s[20:21], s[20:21]
; %bb.2140:                             ;   in Loop: Header=BB4_1836 Depth=2
	v_mov_b32_e32 v0, v34
	v_bfe_u32 v2, v34, 23, 1
	v_mov_b32_e32 v1, v35
; %bb.2141:                             ;   in Loop: Header=BB4_1836 Depth=2
	s_or_b64 exec, exec, s[20:21]
	v_lshrrev_b64 v[0:1], 21, v[0:1]
	v_cmp_gt_i32_e32 vcc, 32, v2
	v_cndmask_b32_e32 v1, 0, v1, vcc
	v_cndmask_b32_e32 v0, 3, v0, vcc
	v_cmp_ne_u64_e32 vcc, 0, v[0:1]
	v_cmp_ne_u32_e64 s[20:21], 0, v2
	s_or_b64 s[20:21], s[20:21], vcc
                                        ; implicit-def: $vgpr29
	s_and_saveexec_b64 s[94:95], s[20:21]
	s_xor_b64 s[20:21], exec, s[94:95]
; %bb.2142:                             ;   in Loop: Header=BB4_1836 Depth=2
	v_min_i32_e32 v1, 31, v2
	v_lshl_or_b32 v1, v1, 2, v25
	v_and_or_b32 v29, v0, 3, v1
                                        ; implicit-def: $vgpr25
; %bb.2143:                             ;   in Loop: Header=BB4_1836 Depth=2
	s_andn2_saveexec_b64 s[20:21], s[20:21]
; %bb.2144:                             ;   in Loop: Header=BB4_1836 Depth=2
	v_mov_b32_e32 v29, v25
; %bb.2145:                             ;   in Loop: Header=BB4_1836 Depth=2
	s_or_b64 exec, exec, s[20:21]
.LBB4_2146:                             ;   in Loop: Header=BB4_1836 Depth=2
	s_or_b64 exec, exec, s[92:93]
                                        ; implicit-def: $vgpr25
.LBB4_2147:                             ;   in Loop: Header=BB4_1836 Depth=2
	s_andn2_saveexec_b64 s[20:21], s[90:91]
; %bb.2148:                             ;   in Loop: Header=BB4_1836 Depth=2
	v_or_b32_e32 v29, 0x7b, v25
; %bb.2149:                             ;   in Loop: Header=BB4_1836 Depth=2
	s_or_b64 exec, exec, s[20:21]
                                        ; implicit-def: $vgpr0
.LBB4_2150:                             ;   in Loop: Header=BB4_1836 Depth=2
	s_andn2_saveexec_b64 s[20:21], s[88:89]
	s_cbranch_execz .LBB4_2156
; %bb.2151:                             ;   in Loop: Header=BB4_1836 Depth=2
	v_cmp_ne_u64_e32 vcc, 0, v[34:35]
                                        ; implicit-def: $vgpr29
	s_and_saveexec_b64 s[88:89], vcc
	s_xor_b64 s[88:89], exec, s[88:89]
; %bb.2152:                             ;   in Loop: Header=BB4_1836 Depth=2
	v_or_b32_sdwa v29, v0, s65 dst_sel:DWORD dst_unused:UNUSED_PAD src0_sel:BYTE_3 src1_sel:DWORD
                                        ; implicit-def: $vgpr0
; %bb.2153:                             ;   in Loop: Header=BB4_1836 Depth=2
	s_andn2_saveexec_b64 s[88:89], s[88:89]
; %bb.2154:                             ;   in Loop: Header=BB4_1836 Depth=2
	v_cmp_lt_i32_e32 vcc, -1, v0
	v_mov_b32_e32 v0, 0x7c
	v_cndmask_b32_e32 v29, -4, v0, vcc
; %bb.2155:                             ;   in Loop: Header=BB4_1836 Depth=2
	s_or_b64 exec, exec, s[88:89]
.LBB4_2156:                             ;   in Loop: Header=BB4_1836 Depth=2
	s_or_b64 exec, exec, s[20:21]
	v_cmp_ne_u16_e32 vcc, 0, v57
	v_mov_b32_e32 v0, 0
	v_mov_b32_e32 v1, 0
	s_and_saveexec_b64 s[20:21], vcc
	s_cbranch_execz .LBB4_2164
; %bb.2157:                             ;   in Loop: Header=BB4_1836 Depth=2
	v_cmp_ne_u16_e32 vcc, s52, v57
	v_bfrev_b32_e32 v1, 1
	s_and_saveexec_b64 s[88:89], vcc
	s_cbranch_execz .LBB4_2163
; %bb.2158:                             ;   in Loop: Header=BB4_1836 Depth=2
	v_and_b32_e32 v1, 0x7c, v57
	v_and_b32_e32 v2, 3, v57
	v_cmp_ne_u32_e32 vcc, s53, v1
                                        ; implicit-def: $vgpr1
	s_and_saveexec_b64 s[90:91], vcc
	s_xor_b64 s[90:91], exec, s[90:91]
	s_cbranch_execz .LBB4_2160
; %bb.2159:                             ;   in Loop: Header=BB4_1836 Depth=2
	v_ffbh_u32_e32 v25, v2
	v_min_u32_e32 v25, 32, v25
	v_and_b32_e32 v1, 0xff, v57
	v_mov_b32_e32 v58, v35
	v_subrev_u32_e32 v30, 29, v25
	v_bfe_u32 v1, v1, 2, 5
	v_lshlrev_b64 v[30:31], v30, v[57:58]
	v_sub_u32_e32 v25, 30, v25
	v_cmp_eq_u32_e32 vcc, 0, v1
	v_and_b32_e32 v30, 3, v30
	v_cndmask_b32_e32 v1, v1, v25, vcc
	v_and_b32_sdwa v25, sext(v57), s54 dst_sel:DWORD dst_unused:UNUSED_PAD src0_sel:WORD_0 src1_sel:DWORD
	v_cndmask_b32_e32 v2, v2, v30, vcc
	v_lshl_add_u32 v1, v1, 23, v25
	v_lshl_or_b32 v1, v2, 21, v1
	v_add_u32_e32 v1, 0x38000000, v1
                                        ; implicit-def: $vgpr2
                                        ; implicit-def: $vgpr57
.LBB4_2160:                             ;   in Loop: Header=BB4_1836 Depth=2
	s_andn2_saveexec_b64 s[90:91], s[90:91]
; %bb.2161:                             ;   in Loop: Header=BB4_1836 Depth=2
	v_cmp_lt_i16_e32 vcc, -1, v57
	v_cndmask_b32_e32 v1, v5, v36, vcc
	v_cmp_eq_u32_e32 vcc, 0, v2
	v_cndmask_b32_e32 v1, v37, v1, vcc
; %bb.2162:                             ;   in Loop: Header=BB4_1836 Depth=2
	s_or_b64 exec, exec, s[90:91]
.LBB4_2163:                             ;   in Loop: Header=BB4_1836 Depth=2
	s_or_b64 exec, exec, s[88:89]
.LBB4_2164:                             ;   in Loop: Header=BB4_1836 Depth=2
	s_or_b64 exec, exec, s[20:21]
	v_cmp_ne_u16_e32 vcc, 0, v56
	s_and_saveexec_b64 s[20:21], vcc
	s_cbranch_execz .LBB4_2172
; %bb.2165:                             ;   in Loop: Header=BB4_1836 Depth=2
	v_cmp_ne_u16_e32 vcc, s52, v56
	v_bfrev_b32_e32 v0, 1
	s_and_saveexec_b64 s[88:89], vcc
	s_cbranch_execz .LBB4_2171
; %bb.2166:                             ;   in Loop: Header=BB4_1836 Depth=2
	v_and_b32_e32 v0, 0x7c, v56
	v_and_b32_e32 v2, 3, v56
	v_cmp_ne_u32_e32 vcc, s53, v0
                                        ; implicit-def: $vgpr0
	s_and_saveexec_b64 s[90:91], vcc
	s_xor_b64 s[90:91], exec, s[90:91]
	s_cbranch_execz .LBB4_2168
; %bb.2167:                             ;   in Loop: Header=BB4_1836 Depth=2
	v_ffbh_u32_e32 v25, v2
	v_min_u32_e32 v25, 32, v25
	v_and_b32_e32 v0, 0xff, v56
	v_mov_b32_e32 v57, v35
	v_subrev_u32_e32 v30, 29, v25
	v_bfe_u32 v0, v0, 2, 5
	v_lshlrev_b64 v[30:31], v30, v[56:57]
	v_sub_u32_e32 v25, 30, v25
	v_cmp_eq_u32_e32 vcc, 0, v0
	v_and_b32_e32 v30, 3, v30
	v_cndmask_b32_e32 v0, v0, v25, vcc
	v_and_b32_sdwa v25, sext(v56), s54 dst_sel:DWORD dst_unused:UNUSED_PAD src0_sel:WORD_0 src1_sel:DWORD
	v_cndmask_b32_e32 v2, v2, v30, vcc
	v_lshl_add_u32 v0, v0, 23, v25
	v_lshl_or_b32 v0, v2, 21, v0
	v_add_u32_e32 v0, 0x38000000, v0
                                        ; implicit-def: $vgpr2
                                        ; implicit-def: $vgpr56
.LBB4_2168:                             ;   in Loop: Header=BB4_1836 Depth=2
	s_andn2_saveexec_b64 s[90:91], s[90:91]
; %bb.2169:                             ;   in Loop: Header=BB4_1836 Depth=2
	v_cmp_lt_i16_e32 vcc, -1, v56
	v_cndmask_b32_e32 v0, v5, v36, vcc
	v_cmp_eq_u32_e32 vcc, 0, v2
	v_cndmask_b32_e32 v0, v37, v0, vcc
; %bb.2170:                             ;   in Loop: Header=BB4_1836 Depth=2
	s_or_b64 exec, exec, s[90:91]
.LBB4_2171:                             ;   in Loop: Header=BB4_1836 Depth=2
	s_or_b64 exec, exec, s[88:89]
.LBB4_2172:                             ;   in Loop: Header=BB4_1836 Depth=2
	s_or_b64 exec, exec, s[20:21]
	v_mul_f32_e32 v0, v1, v0
	v_and_b32_e32 v1, 0x7f800000, v0
	v_mov_b32_e32 v2, v35
	v_cmp_ne_u64_e32 vcc, s[60:61], v[1:2]
	v_and_b32_e32 v34, 0x7fffff, v0
                                        ; implicit-def: $vgpr30
	s_and_saveexec_b64 s[20:21], vcc
	s_xor_b64 s[88:89], exec, s[20:21]
	s_cbranch_execz .LBB4_2190
; %bb.2173:                             ;   in Loop: Header=BB4_1836 Depth=2
	v_and_b32_e32 v1, 0x7fffffff, v0
	v_mov_b32_e32 v2, v35
	v_cmp_gt_u64_e32 vcc, s[62:63], v[1:2]
	v_and_b32_sdwa v25, v0, s55 dst_sel:DWORD dst_unused:UNUSED_PAD src0_sel:BYTE_3 src1_sel:DWORD
                                        ; implicit-def: $vgpr30
	s_and_saveexec_b64 s[20:21], vcc
	s_xor_b64 s[90:91], exec, s[20:21]
	s_cbranch_execz .LBB4_2187
; %bb.2174:                             ;   in Loop: Header=BB4_1836 Depth=2
	v_cmp_ne_u32_e32 vcc, 0, v0
	v_mov_b32_e32 v30, 0
	s_and_saveexec_b64 s[92:93], vcc
	s_cbranch_execz .LBB4_2186
; %bb.2175:                             ;   in Loop: Header=BB4_1836 Depth=2
	v_bfe_u32 v30, v0, 23, 8
	v_cmp_gt_u32_e64 s[20:21], s64, v30
	v_sub_u32_e32 v0, 0x71, v30
	v_cmp_eq_u32_e32 vcc, 0, v30
	v_cndmask_b32_e64 v0, 0, v0, s[20:21]
	v_mov_b32_e32 v2, 0x70
	v_cndmask_b32_e32 v31, v0, v2, vcc
	v_or_b32_e32 v1, 0x800000, v34
	v_add_u32_e32 v0, 21, v31
	v_cndmask_b32_e32 v34, v1, v34, vcc
	v_lshlrev_b64 v[0:1], v0, -1
	v_add_u32_e32 v2, 20, v31
	v_lshlrev_b64 v[50:51], v2, 1
	v_bfi_b32 v1, v1, 0, 0
	v_bfi_b32 v0, v0, 0, v34
	v_cmp_eq_u64_e64 s[20:21], v[0:1], v[50:51]
	v_lshrrev_b64 v[0:1], v31, v[34:35]
	v_mov_b32_e32 v2, v1
	v_mov_b32_e32 v1, v0
	s_and_saveexec_b64 s[94:95], s[20:21]
; %bb.2176:                             ;   in Loop: Header=BB4_1836 Depth=2
	v_bfe_u32 v1, v0, 21, 1
	v_add_co_u32_e64 v1, s[20:21], v0, v1
	v_add_co_u32_e64 v1, s[20:21], -1, v1
; %bb.2177:                             ;   in Loop: Header=BB4_1836 Depth=2
	s_or_b64 exec, exec, s[94:95]
	v_add_u32_e32 v2, 0xffffff81, v30
	v_mov_b32_e32 v30, 0xffffff82
	v_cndmask_b32_e32 v2, v2, v30, vcc
	v_lshrrev_b32_e32 v30, 23, v0
	v_add3_u32 v31, v31, v2, v30
	v_add_u32_e32 v30, 14, v31
	v_and_b32_e32 v1, 0x1fffff, v1
	v_add_u32_e32 v34, v1, v0
	v_cmp_ne_u32_e32 vcc, 0, v30
                                        ; implicit-def: $vgpr0_vgpr1
                                        ; implicit-def: $vgpr2
	s_and_saveexec_b64 s[20:21], vcc
	s_xor_b64 s[20:21], exec, s[20:21]
; %bb.2178:                             ;   in Loop: Header=BB4_1836 Depth=2
	v_cmp_lt_u64_e32 vcc, s[72:73], v[34:35]
	v_add_u32_e32 v0, 15, v31
	v_cndmask_b32_e32 v2, v30, v0, vcc
	v_cndmask_b32_e64 v0, 0, 1, vcc
	v_lshrrev_b64 v[0:1], v0, v[34:35]
; %bb.2179:                             ;   in Loop: Header=BB4_1836 Depth=2
	s_andn2_saveexec_b64 s[20:21], s[20:21]
; %bb.2180:                             ;   in Loop: Header=BB4_1836 Depth=2
	v_mov_b32_e32 v0, v34
	v_bfe_u32 v2, v34, 23, 1
	v_mov_b32_e32 v1, v35
; %bb.2181:                             ;   in Loop: Header=BB4_1836 Depth=2
	s_or_b64 exec, exec, s[20:21]
	v_lshrrev_b64 v[0:1], 21, v[0:1]
	v_cmp_gt_i32_e32 vcc, 32, v2
	v_cndmask_b32_e32 v1, 0, v1, vcc
	v_cndmask_b32_e32 v0, 3, v0, vcc
	v_cmp_ne_u64_e32 vcc, 0, v[0:1]
	v_cmp_ne_u32_e64 s[20:21], 0, v2
	s_or_b64 s[20:21], s[20:21], vcc
                                        ; implicit-def: $vgpr30
	s_and_saveexec_b64 s[94:95], s[20:21]
	s_xor_b64 s[20:21], exec, s[94:95]
; %bb.2182:                             ;   in Loop: Header=BB4_1836 Depth=2
	v_min_i32_e32 v1, 31, v2
	v_lshl_or_b32 v1, v1, 2, v25
	v_and_or_b32 v30, v0, 3, v1
                                        ; implicit-def: $vgpr25
; %bb.2183:                             ;   in Loop: Header=BB4_1836 Depth=2
	s_andn2_saveexec_b64 s[20:21], s[20:21]
; %bb.2184:                             ;   in Loop: Header=BB4_1836 Depth=2
	v_mov_b32_e32 v30, v25
; %bb.2185:                             ;   in Loop: Header=BB4_1836 Depth=2
	s_or_b64 exec, exec, s[20:21]
.LBB4_2186:                             ;   in Loop: Header=BB4_1836 Depth=2
	s_or_b64 exec, exec, s[92:93]
                                        ; implicit-def: $vgpr25
.LBB4_2187:                             ;   in Loop: Header=BB4_1836 Depth=2
	s_andn2_saveexec_b64 s[20:21], s[90:91]
; %bb.2188:                             ;   in Loop: Header=BB4_1836 Depth=2
	v_or_b32_e32 v30, 0x7b, v25
; %bb.2189:                             ;   in Loop: Header=BB4_1836 Depth=2
	s_or_b64 exec, exec, s[20:21]
                                        ; implicit-def: $vgpr0
.LBB4_2190:                             ;   in Loop: Header=BB4_1836 Depth=2
	s_andn2_saveexec_b64 s[20:21], s[88:89]
	s_cbranch_execz .LBB4_2196
; %bb.2191:                             ;   in Loop: Header=BB4_1836 Depth=2
	v_cmp_ne_u64_e32 vcc, 0, v[34:35]
                                        ; implicit-def: $vgpr30
	s_and_saveexec_b64 s[88:89], vcc
	s_xor_b64 s[88:89], exec, s[88:89]
; %bb.2192:                             ;   in Loop: Header=BB4_1836 Depth=2
	v_or_b32_sdwa v30, v0, s65 dst_sel:DWORD dst_unused:UNUSED_PAD src0_sel:BYTE_3 src1_sel:DWORD
                                        ; implicit-def: $vgpr0
; %bb.2193:                             ;   in Loop: Header=BB4_1836 Depth=2
	s_andn2_saveexec_b64 s[88:89], s[88:89]
; %bb.2194:                             ;   in Loop: Header=BB4_1836 Depth=2
	v_cmp_lt_i32_e32 vcc, -1, v0
	v_mov_b32_e32 v0, 0x7c
	v_cndmask_b32_e32 v30, -4, v0, vcc
; %bb.2195:                             ;   in Loop: Header=BB4_1836 Depth=2
	s_or_b64 exec, exec, s[88:89]
.LBB4_2196:                             ;   in Loop: Header=BB4_1836 Depth=2
	s_or_b64 exec, exec, s[20:21]
	v_cmp_ne_u16_e32 vcc, 0, v46
	v_mov_b32_e32 v0, 0
	v_mov_b32_e32 v1, 0
	s_and_saveexec_b64 s[20:21], vcc
	s_cbranch_execz .LBB4_2204
; %bb.2197:                             ;   in Loop: Header=BB4_1836 Depth=2
	v_cmp_ne_u16_e32 vcc, s52, v46
	v_bfrev_b32_e32 v1, 1
	s_and_saveexec_b64 s[88:89], vcc
	s_cbranch_execz .LBB4_2203
; %bb.2198:                             ;   in Loop: Header=BB4_1836 Depth=2
	v_and_b32_e32 v1, 0x7c, v46
	v_and_b32_e32 v2, 3, v46
	v_cmp_ne_u32_e32 vcc, s53, v1
                                        ; implicit-def: $vgpr1
	s_and_saveexec_b64 s[90:91], vcc
	s_xor_b64 s[90:91], exec, s[90:91]
	s_cbranch_execz .LBB4_2200
; %bb.2199:                             ;   in Loop: Header=BB4_1836 Depth=2
	v_ffbh_u32_e32 v25, v2
	v_min_u32_e32 v25, 32, v25
	v_and_b32_e32 v1, 0xff, v46
	v_mov_b32_e32 v47, v35
	v_subrev_u32_e32 v31, 29, v25
	v_bfe_u32 v1, v1, 2, 5
	v_lshlrev_b64 v[50:51], v31, v[46:47]
	v_sub_u32_e32 v25, 30, v25
	v_cmp_eq_u32_e32 vcc, 0, v1
	v_and_b32_e32 v31, 3, v50
	v_cndmask_b32_e32 v1, v1, v25, vcc
	v_and_b32_sdwa v25, sext(v46), s54 dst_sel:DWORD dst_unused:UNUSED_PAD src0_sel:WORD_0 src1_sel:DWORD
	v_cndmask_b32_e32 v2, v2, v31, vcc
	v_lshl_add_u32 v1, v1, 23, v25
	v_lshl_or_b32 v1, v2, 21, v1
	v_add_u32_e32 v1, 0x38000000, v1
                                        ; implicit-def: $vgpr2
                                        ; implicit-def: $vgpr46
.LBB4_2200:                             ;   in Loop: Header=BB4_1836 Depth=2
	s_andn2_saveexec_b64 s[90:91], s[90:91]
; %bb.2201:                             ;   in Loop: Header=BB4_1836 Depth=2
	v_cmp_lt_i16_e32 vcc, -1, v46
	v_cndmask_b32_e32 v1, v5, v36, vcc
	v_cmp_eq_u32_e32 vcc, 0, v2
	v_cndmask_b32_e32 v1, v37, v1, vcc
; %bb.2202:                             ;   in Loop: Header=BB4_1836 Depth=2
	s_or_b64 exec, exec, s[90:91]
.LBB4_2203:                             ;   in Loop: Header=BB4_1836 Depth=2
	s_or_b64 exec, exec, s[88:89]
.LBB4_2204:                             ;   in Loop: Header=BB4_1836 Depth=2
	s_or_b64 exec, exec, s[20:21]
	v_cmp_ne_u16_e32 vcc, 0, v45
	s_and_saveexec_b64 s[20:21], vcc
	s_cbranch_execz .LBB4_2212
; %bb.2205:                             ;   in Loop: Header=BB4_1836 Depth=2
	v_cmp_ne_u16_e32 vcc, s52, v45
	v_bfrev_b32_e32 v0, 1
	s_and_saveexec_b64 s[88:89], vcc
	s_cbranch_execz .LBB4_2211
; %bb.2206:                             ;   in Loop: Header=BB4_1836 Depth=2
	v_and_b32_e32 v0, 0x7c, v45
	v_and_b32_e32 v2, 3, v45
	v_cmp_ne_u32_e32 vcc, s53, v0
                                        ; implicit-def: $vgpr0
	s_and_saveexec_b64 s[90:91], vcc
	s_xor_b64 s[90:91], exec, s[90:91]
	s_cbranch_execz .LBB4_2208
; %bb.2207:                             ;   in Loop: Header=BB4_1836 Depth=2
	v_ffbh_u32_e32 v25, v2
	v_min_u32_e32 v25, 32, v25
	v_and_b32_e32 v0, 0xff, v45
	v_mov_b32_e32 v46, v35
	v_subrev_u32_e32 v31, 29, v25
	v_bfe_u32 v0, v0, 2, 5
	v_lshlrev_b64 v[50:51], v31, v[45:46]
	v_sub_u32_e32 v25, 30, v25
	v_cmp_eq_u32_e32 vcc, 0, v0
	v_and_b32_e32 v31, 3, v50
	v_cndmask_b32_e32 v0, v0, v25, vcc
	v_and_b32_sdwa v25, sext(v45), s54 dst_sel:DWORD dst_unused:UNUSED_PAD src0_sel:WORD_0 src1_sel:DWORD
	v_cndmask_b32_e32 v2, v2, v31, vcc
	v_lshl_add_u32 v0, v0, 23, v25
	v_lshl_or_b32 v0, v2, 21, v0
	v_add_u32_e32 v0, 0x38000000, v0
                                        ; implicit-def: $vgpr2
                                        ; implicit-def: $vgpr45
.LBB4_2208:                             ;   in Loop: Header=BB4_1836 Depth=2
	s_andn2_saveexec_b64 s[90:91], s[90:91]
; %bb.2209:                             ;   in Loop: Header=BB4_1836 Depth=2
	v_cmp_lt_i16_e32 vcc, -1, v45
	v_cndmask_b32_e32 v0, v5, v36, vcc
	v_cmp_eq_u32_e32 vcc, 0, v2
	v_cndmask_b32_e32 v0, v37, v0, vcc
; %bb.2210:                             ;   in Loop: Header=BB4_1836 Depth=2
	s_or_b64 exec, exec, s[90:91]
.LBB4_2211:                             ;   in Loop: Header=BB4_1836 Depth=2
	s_or_b64 exec, exec, s[88:89]
.LBB4_2212:                             ;   in Loop: Header=BB4_1836 Depth=2
	s_or_b64 exec, exec, s[20:21]
	v_mul_f32_e32 v0, v1, v0
	v_and_b32_e32 v1, 0x7f800000, v0
	v_mov_b32_e32 v2, v35
	v_cmp_ne_u64_e32 vcc, s[60:61], v[1:2]
	v_and_b32_e32 v34, 0x7fffff, v0
                                        ; implicit-def: $vgpr31
	s_and_saveexec_b64 s[20:21], vcc
	s_xor_b64 s[88:89], exec, s[20:21]
	s_cbranch_execz .LBB4_2230
; %bb.2213:                             ;   in Loop: Header=BB4_1836 Depth=2
	v_and_b32_e32 v1, 0x7fffffff, v0
	v_mov_b32_e32 v2, v35
	v_cmp_gt_u64_e32 vcc, s[62:63], v[1:2]
	v_and_b32_sdwa v25, v0, s55 dst_sel:DWORD dst_unused:UNUSED_PAD src0_sel:BYTE_3 src1_sel:DWORD
                                        ; implicit-def: $vgpr31
	s_and_saveexec_b64 s[20:21], vcc
	s_xor_b64 s[90:91], exec, s[20:21]
	s_cbranch_execz .LBB4_2227
; %bb.2214:                             ;   in Loop: Header=BB4_1836 Depth=2
	v_cmp_ne_u32_e32 vcc, 0, v0
	v_mov_b32_e32 v31, 0
	s_and_saveexec_b64 s[92:93], vcc
	s_cbranch_execz .LBB4_2226
; %bb.2215:                             ;   in Loop: Header=BB4_1836 Depth=2
	v_bfe_u32 v31, v0, 23, 8
	v_cmp_gt_u32_e64 s[20:21], s64, v31
	v_sub_u32_e32 v0, 0x71, v31
	v_cmp_eq_u32_e32 vcc, 0, v31
	v_cndmask_b32_e64 v0, 0, v0, s[20:21]
	v_mov_b32_e32 v2, 0x70
	v_cndmask_b32_e32 v50, v0, v2, vcc
	v_or_b32_e32 v1, 0x800000, v34
	v_add_u32_e32 v0, 21, v50
	v_cndmask_b32_e32 v34, v1, v34, vcc
	v_lshlrev_b64 v[0:1], v0, -1
	v_add_u32_e32 v2, 20, v50
	v_lshlrev_b64 v[51:52], v2, 1
	v_bfi_b32 v1, v1, 0, 0
	v_bfi_b32 v0, v0, 0, v34
	v_cmp_eq_u64_e64 s[20:21], v[0:1], v[51:52]
	v_lshrrev_b64 v[0:1], v50, v[34:35]
	v_mov_b32_e32 v2, v1
	v_mov_b32_e32 v1, v0
	s_and_saveexec_b64 s[94:95], s[20:21]
; %bb.2216:                             ;   in Loop: Header=BB4_1836 Depth=2
	v_bfe_u32 v1, v0, 21, 1
	v_add_co_u32_e64 v1, s[20:21], v0, v1
	v_add_co_u32_e64 v1, s[20:21], -1, v1
; %bb.2217:                             ;   in Loop: Header=BB4_1836 Depth=2
	s_or_b64 exec, exec, s[94:95]
	v_add_u32_e32 v2, 0xffffff81, v31
	v_mov_b32_e32 v31, 0xffffff82
	v_cndmask_b32_e32 v2, v2, v31, vcc
	v_lshrrev_b32_e32 v31, 23, v0
	v_add3_u32 v50, v50, v2, v31
	v_add_u32_e32 v31, 14, v50
	v_and_b32_e32 v1, 0x1fffff, v1
	v_add_u32_e32 v34, v1, v0
	v_cmp_ne_u32_e32 vcc, 0, v31
                                        ; implicit-def: $vgpr0_vgpr1
                                        ; implicit-def: $vgpr2
	s_and_saveexec_b64 s[20:21], vcc
	s_xor_b64 s[20:21], exec, s[20:21]
; %bb.2218:                             ;   in Loop: Header=BB4_1836 Depth=2
	v_cmp_lt_u64_e32 vcc, s[72:73], v[34:35]
	v_add_u32_e32 v0, 15, v50
	v_cndmask_b32_e32 v2, v31, v0, vcc
	v_cndmask_b32_e64 v0, 0, 1, vcc
	v_lshrrev_b64 v[0:1], v0, v[34:35]
; %bb.2219:                             ;   in Loop: Header=BB4_1836 Depth=2
	s_andn2_saveexec_b64 s[20:21], s[20:21]
; %bb.2220:                             ;   in Loop: Header=BB4_1836 Depth=2
	v_mov_b32_e32 v0, v34
	v_bfe_u32 v2, v34, 23, 1
	v_mov_b32_e32 v1, v35
; %bb.2221:                             ;   in Loop: Header=BB4_1836 Depth=2
	s_or_b64 exec, exec, s[20:21]
	v_lshrrev_b64 v[0:1], 21, v[0:1]
	v_cmp_gt_i32_e32 vcc, 32, v2
	v_cndmask_b32_e32 v1, 0, v1, vcc
	v_cndmask_b32_e32 v0, 3, v0, vcc
	v_cmp_ne_u64_e32 vcc, 0, v[0:1]
	v_cmp_ne_u32_e64 s[20:21], 0, v2
	s_or_b64 s[20:21], s[20:21], vcc
                                        ; implicit-def: $vgpr31
	s_and_saveexec_b64 s[94:95], s[20:21]
	s_xor_b64 s[20:21], exec, s[94:95]
; %bb.2222:                             ;   in Loop: Header=BB4_1836 Depth=2
	v_min_i32_e32 v1, 31, v2
	v_lshl_or_b32 v1, v1, 2, v25
	v_and_or_b32 v31, v0, 3, v1
                                        ; implicit-def: $vgpr25
; %bb.2223:                             ;   in Loop: Header=BB4_1836 Depth=2
	s_andn2_saveexec_b64 s[20:21], s[20:21]
; %bb.2224:                             ;   in Loop: Header=BB4_1836 Depth=2
	v_mov_b32_e32 v31, v25
; %bb.2225:                             ;   in Loop: Header=BB4_1836 Depth=2
	s_or_b64 exec, exec, s[20:21]
.LBB4_2226:                             ;   in Loop: Header=BB4_1836 Depth=2
	s_or_b64 exec, exec, s[92:93]
                                        ; implicit-def: $vgpr25
.LBB4_2227:                             ;   in Loop: Header=BB4_1836 Depth=2
	s_andn2_saveexec_b64 s[20:21], s[90:91]
; %bb.2228:                             ;   in Loop: Header=BB4_1836 Depth=2
	v_or_b32_e32 v31, 0x7b, v25
; %bb.2229:                             ;   in Loop: Header=BB4_1836 Depth=2
	s_or_b64 exec, exec, s[20:21]
                                        ; implicit-def: $vgpr0
.LBB4_2230:                             ;   in Loop: Header=BB4_1836 Depth=2
	s_andn2_saveexec_b64 s[20:21], s[88:89]
	s_cbranch_execz .LBB4_2236
; %bb.2231:                             ;   in Loop: Header=BB4_1836 Depth=2
	v_cmp_ne_u64_e32 vcc, 0, v[34:35]
                                        ; implicit-def: $vgpr31
	s_and_saveexec_b64 s[88:89], vcc
	s_xor_b64 s[88:89], exec, s[88:89]
; %bb.2232:                             ;   in Loop: Header=BB4_1836 Depth=2
	v_or_b32_sdwa v31, v0, s65 dst_sel:DWORD dst_unused:UNUSED_PAD src0_sel:BYTE_3 src1_sel:DWORD
                                        ; implicit-def: $vgpr0
; %bb.2233:                             ;   in Loop: Header=BB4_1836 Depth=2
	s_andn2_saveexec_b64 s[88:89], s[88:89]
; %bb.2234:                             ;   in Loop: Header=BB4_1836 Depth=2
	v_cmp_lt_i32_e32 vcc, -1, v0
	v_mov_b32_e32 v0, 0x7c
	v_cndmask_b32_e32 v31, -4, v0, vcc
; %bb.2235:                             ;   in Loop: Header=BB4_1836 Depth=2
	s_or_b64 exec, exec, s[88:89]
.LBB4_2236:                             ;   in Loop: Header=BB4_1836 Depth=2
	s_or_b64 exec, exec, s[20:21]
	v_cmp_ne_u16_e32 vcc, 0, v44
	v_mov_b32_e32 v0, 0
	v_mov_b32_e32 v1, 0
	s_and_saveexec_b64 s[20:21], vcc
	s_cbranch_execz .LBB4_2244
; %bb.2237:                             ;   in Loop: Header=BB4_1836 Depth=2
	v_cmp_ne_u16_e32 vcc, s52, v44
	v_bfrev_b32_e32 v1, 1
	s_and_saveexec_b64 s[88:89], vcc
	s_cbranch_execz .LBB4_2243
; %bb.2238:                             ;   in Loop: Header=BB4_1836 Depth=2
	v_and_b32_e32 v1, 0x7c, v44
	v_and_b32_e32 v2, 3, v44
	v_cmp_ne_u32_e32 vcc, s53, v1
                                        ; implicit-def: $vgpr1
	s_and_saveexec_b64 s[90:91], vcc
	s_xor_b64 s[90:91], exec, s[90:91]
	s_cbranch_execz .LBB4_2240
; %bb.2239:                             ;   in Loop: Header=BB4_1836 Depth=2
	v_ffbh_u32_e32 v25, v2
	v_min_u32_e32 v25, 32, v25
	v_and_b32_e32 v1, 0xff, v44
	v_mov_b32_e32 v45, v35
	v_subrev_u32_e32 v34, 29, v25
	v_bfe_u32 v1, v1, 2, 5
	v_lshlrev_b64 v[50:51], v34, v[44:45]
	v_sub_u32_e32 v25, 30, v25
	v_cmp_eq_u32_e32 vcc, 0, v1
	v_and_b32_e32 v34, 3, v50
	v_cndmask_b32_e32 v1, v1, v25, vcc
	v_and_b32_sdwa v25, sext(v44), s54 dst_sel:DWORD dst_unused:UNUSED_PAD src0_sel:WORD_0 src1_sel:DWORD
	v_cndmask_b32_e32 v2, v2, v34, vcc
	v_lshl_add_u32 v1, v1, 23, v25
	v_lshl_or_b32 v1, v2, 21, v1
	v_add_u32_e32 v1, 0x38000000, v1
                                        ; implicit-def: $vgpr2
                                        ; implicit-def: $vgpr44
.LBB4_2240:                             ;   in Loop: Header=BB4_1836 Depth=2
	s_andn2_saveexec_b64 s[90:91], s[90:91]
; %bb.2241:                             ;   in Loop: Header=BB4_1836 Depth=2
	v_cmp_lt_i16_e32 vcc, -1, v44
	v_cndmask_b32_e32 v1, v5, v36, vcc
	v_cmp_eq_u32_e32 vcc, 0, v2
	v_cndmask_b32_e32 v1, v37, v1, vcc
; %bb.2242:                             ;   in Loop: Header=BB4_1836 Depth=2
	s_or_b64 exec, exec, s[90:91]
.LBB4_2243:                             ;   in Loop: Header=BB4_1836 Depth=2
	s_or_b64 exec, exec, s[88:89]
.LBB4_2244:                             ;   in Loop: Header=BB4_1836 Depth=2
	s_or_b64 exec, exec, s[20:21]
	v_cmp_ne_u16_e32 vcc, 0, v43
	s_and_saveexec_b64 s[20:21], vcc
	s_cbranch_execz .LBB4_2252
; %bb.2245:                             ;   in Loop: Header=BB4_1836 Depth=2
	v_cmp_ne_u16_e32 vcc, s52, v43
	v_bfrev_b32_e32 v0, 1
	s_and_saveexec_b64 s[88:89], vcc
	s_cbranch_execz .LBB4_2251
; %bb.2246:                             ;   in Loop: Header=BB4_1836 Depth=2
	v_and_b32_e32 v0, 0x7c, v43
	v_and_b32_e32 v2, 3, v43
	v_cmp_ne_u32_e32 vcc, s53, v0
                                        ; implicit-def: $vgpr0
	s_and_saveexec_b64 s[90:91], vcc
	s_xor_b64 s[90:91], exec, s[90:91]
	s_cbranch_execz .LBB4_2248
; %bb.2247:                             ;   in Loop: Header=BB4_1836 Depth=2
	v_ffbh_u32_e32 v25, v2
	v_min_u32_e32 v25, 32, v25
	v_and_b32_e32 v0, 0xff, v43
	v_mov_b32_e32 v44, v35
	v_subrev_u32_e32 v34, 29, v25
	v_bfe_u32 v0, v0, 2, 5
	v_lshlrev_b64 v[50:51], v34, v[43:44]
	v_sub_u32_e32 v25, 30, v25
	v_cmp_eq_u32_e32 vcc, 0, v0
	v_and_b32_e32 v34, 3, v50
	v_cndmask_b32_e32 v0, v0, v25, vcc
	v_and_b32_sdwa v25, sext(v43), s54 dst_sel:DWORD dst_unused:UNUSED_PAD src0_sel:WORD_0 src1_sel:DWORD
	v_cndmask_b32_e32 v2, v2, v34, vcc
	v_lshl_add_u32 v0, v0, 23, v25
	v_lshl_or_b32 v0, v2, 21, v0
	v_add_u32_e32 v0, 0x38000000, v0
                                        ; implicit-def: $vgpr2
                                        ; implicit-def: $vgpr43
.LBB4_2248:                             ;   in Loop: Header=BB4_1836 Depth=2
	s_andn2_saveexec_b64 s[90:91], s[90:91]
; %bb.2249:                             ;   in Loop: Header=BB4_1836 Depth=2
	v_cmp_lt_i16_e32 vcc, -1, v43
	v_cndmask_b32_e32 v0, v5, v36, vcc
	v_cmp_eq_u32_e32 vcc, 0, v2
	v_cndmask_b32_e32 v0, v37, v0, vcc
; %bb.2250:                             ;   in Loop: Header=BB4_1836 Depth=2
	s_or_b64 exec, exec, s[90:91]
.LBB4_2251:                             ;   in Loop: Header=BB4_1836 Depth=2
	s_or_b64 exec, exec, s[88:89]
.LBB4_2252:                             ;   in Loop: Header=BB4_1836 Depth=2
	s_or_b64 exec, exec, s[20:21]
	v_mul_f32_e32 v0, v1, v0
	v_and_b32_e32 v1, 0x7f800000, v0
	v_mov_b32_e32 v2, v35
	v_cmp_ne_u64_e32 vcc, s[60:61], v[1:2]
	v_and_b32_e32 v34, 0x7fffff, v0
                                        ; implicit-def: $vgpr50
	s_and_saveexec_b64 s[20:21], vcc
	s_xor_b64 s[88:89], exec, s[20:21]
	s_cbranch_execz .LBB4_2270
; %bb.2253:                             ;   in Loop: Header=BB4_1836 Depth=2
	v_and_b32_e32 v1, 0x7fffffff, v0
	v_mov_b32_e32 v2, v35
	v_cmp_gt_u64_e32 vcc, s[62:63], v[1:2]
	v_and_b32_sdwa v25, v0, s55 dst_sel:DWORD dst_unused:UNUSED_PAD src0_sel:BYTE_3 src1_sel:DWORD
                                        ; implicit-def: $vgpr50
	s_and_saveexec_b64 s[20:21], vcc
	s_xor_b64 s[90:91], exec, s[20:21]
	s_cbranch_execz .LBB4_2267
; %bb.2254:                             ;   in Loop: Header=BB4_1836 Depth=2
	v_cmp_ne_u32_e32 vcc, 0, v0
	v_mov_b32_e32 v50, 0
	s_and_saveexec_b64 s[92:93], vcc
	s_cbranch_execz .LBB4_2266
; %bb.2255:                             ;   in Loop: Header=BB4_1836 Depth=2
	v_bfe_u32 v50, v0, 23, 8
	v_cmp_gt_u32_e64 s[20:21], s64, v50
	v_sub_u32_e32 v0, 0x71, v50
	v_cmp_eq_u32_e32 vcc, 0, v50
	v_cndmask_b32_e64 v0, 0, v0, s[20:21]
	v_mov_b32_e32 v2, 0x70
	v_cndmask_b32_e32 v51, v0, v2, vcc
	v_or_b32_e32 v1, 0x800000, v34
	v_add_u32_e32 v0, 21, v51
	v_cndmask_b32_e32 v34, v1, v34, vcc
	v_lshlrev_b64 v[0:1], v0, -1
	v_add_u32_e32 v2, 20, v51
	v_lshlrev_b64 v[40:41], v2, 1
	v_bfi_b32 v1, v1, 0, 0
	v_bfi_b32 v0, v0, 0, v34
	v_cmp_eq_u64_e64 s[20:21], v[0:1], v[40:41]
	v_lshrrev_b64 v[0:1], v51, v[34:35]
	v_mov_b32_e32 v2, v1
	v_mov_b32_e32 v1, v0
	s_and_saveexec_b64 s[94:95], s[20:21]
; %bb.2256:                             ;   in Loop: Header=BB4_1836 Depth=2
	v_bfe_u32 v1, v0, 21, 1
	v_add_co_u32_e64 v1, s[20:21], v0, v1
	v_add_co_u32_e64 v1, s[20:21], -1, v1
; %bb.2257:                             ;   in Loop: Header=BB4_1836 Depth=2
	s_or_b64 exec, exec, s[94:95]
	v_add_u32_e32 v2, 0xffffff81, v50
	v_mov_b32_e32 v34, 0xffffff82
	v_cndmask_b32_e32 v2, v2, v34, vcc
	v_lshrrev_b32_e32 v34, 23, v0
	v_add3_u32 v51, v51, v2, v34
	v_add_u32_e32 v50, 14, v51
	v_and_b32_e32 v1, 0x1fffff, v1
	v_add_u32_e32 v34, v1, v0
	v_cmp_ne_u32_e32 vcc, 0, v50
                                        ; implicit-def: $vgpr0_vgpr1
                                        ; implicit-def: $vgpr2
	s_and_saveexec_b64 s[20:21], vcc
	s_xor_b64 s[20:21], exec, s[20:21]
; %bb.2258:                             ;   in Loop: Header=BB4_1836 Depth=2
	v_cmp_lt_u64_e32 vcc, s[72:73], v[34:35]
	v_add_u32_e32 v0, 15, v51
	v_cndmask_b32_e32 v2, v50, v0, vcc
	v_cndmask_b32_e64 v0, 0, 1, vcc
	v_lshrrev_b64 v[0:1], v0, v[34:35]
; %bb.2259:                             ;   in Loop: Header=BB4_1836 Depth=2
	s_andn2_saveexec_b64 s[20:21], s[20:21]
; %bb.2260:                             ;   in Loop: Header=BB4_1836 Depth=2
	v_mov_b32_e32 v0, v34
	v_bfe_u32 v2, v34, 23, 1
	v_mov_b32_e32 v1, v35
; %bb.2261:                             ;   in Loop: Header=BB4_1836 Depth=2
	s_or_b64 exec, exec, s[20:21]
	v_lshrrev_b64 v[0:1], 21, v[0:1]
	v_cmp_gt_i32_e32 vcc, 32, v2
	v_cndmask_b32_e32 v1, 0, v1, vcc
	v_cndmask_b32_e32 v0, 3, v0, vcc
	v_cmp_ne_u64_e32 vcc, 0, v[0:1]
	v_cmp_ne_u32_e64 s[20:21], 0, v2
	s_or_b64 s[20:21], s[20:21], vcc
                                        ; implicit-def: $vgpr50
	s_and_saveexec_b64 s[94:95], s[20:21]
	s_xor_b64 s[20:21], exec, s[94:95]
; %bb.2262:                             ;   in Loop: Header=BB4_1836 Depth=2
	v_min_i32_e32 v1, 31, v2
	v_lshl_or_b32 v1, v1, 2, v25
	v_and_or_b32 v50, v0, 3, v1
                                        ; implicit-def: $vgpr25
; %bb.2263:                             ;   in Loop: Header=BB4_1836 Depth=2
	s_andn2_saveexec_b64 s[20:21], s[20:21]
; %bb.2264:                             ;   in Loop: Header=BB4_1836 Depth=2
	v_mov_b32_e32 v50, v25
; %bb.2265:                             ;   in Loop: Header=BB4_1836 Depth=2
	s_or_b64 exec, exec, s[20:21]
.LBB4_2266:                             ;   in Loop: Header=BB4_1836 Depth=2
	s_or_b64 exec, exec, s[92:93]
                                        ; implicit-def: $vgpr25
.LBB4_2267:                             ;   in Loop: Header=BB4_1836 Depth=2
	s_andn2_saveexec_b64 s[20:21], s[90:91]
; %bb.2268:                             ;   in Loop: Header=BB4_1836 Depth=2
	v_or_b32_e32 v50, 0x7b, v25
; %bb.2269:                             ;   in Loop: Header=BB4_1836 Depth=2
	s_or_b64 exec, exec, s[20:21]
                                        ; implicit-def: $vgpr0
.LBB4_2270:                             ;   in Loop: Header=BB4_1836 Depth=2
	s_andn2_saveexec_b64 s[20:21], s[88:89]
	s_cbranch_execz .LBB4_2276
; %bb.2271:                             ;   in Loop: Header=BB4_1836 Depth=2
	v_cmp_ne_u64_e32 vcc, 0, v[34:35]
                                        ; implicit-def: $vgpr50
	s_and_saveexec_b64 s[88:89], vcc
	s_xor_b64 s[88:89], exec, s[88:89]
; %bb.2272:                             ;   in Loop: Header=BB4_1836 Depth=2
	v_or_b32_sdwa v50, v0, s65 dst_sel:DWORD dst_unused:UNUSED_PAD src0_sel:BYTE_3 src1_sel:DWORD
                                        ; implicit-def: $vgpr0
; %bb.2273:                             ;   in Loop: Header=BB4_1836 Depth=2
	s_andn2_saveexec_b64 s[88:89], s[88:89]
; %bb.2274:                             ;   in Loop: Header=BB4_1836 Depth=2
	v_cmp_lt_i32_e32 vcc, -1, v0
	v_mov_b32_e32 v0, 0x7c
	v_cndmask_b32_e32 v50, -4, v0, vcc
; %bb.2275:                             ;   in Loop: Header=BB4_1836 Depth=2
	s_or_b64 exec, exec, s[88:89]
.LBB4_2276:                             ;   in Loop: Header=BB4_1836 Depth=2
	s_or_b64 exec, exec, s[20:21]
	v_cmp_ne_u16_e32 vcc, 0, v42
	v_mov_b32_e32 v0, 0
	v_mov_b32_e32 v1, 0
	s_and_saveexec_b64 s[20:21], vcc
	s_cbranch_execz .LBB4_2284
; %bb.2277:                             ;   in Loop: Header=BB4_1836 Depth=2
	v_cmp_ne_u16_e32 vcc, s52, v42
	v_bfrev_b32_e32 v1, 1
	s_and_saveexec_b64 s[88:89], vcc
	s_cbranch_execz .LBB4_2283
; %bb.2278:                             ;   in Loop: Header=BB4_1836 Depth=2
	v_and_b32_e32 v1, 0x7c, v42
	v_and_b32_e32 v2, 3, v42
	v_cmp_ne_u32_e32 vcc, s53, v1
                                        ; implicit-def: $vgpr1
	s_and_saveexec_b64 s[90:91], vcc
	s_xor_b64 s[90:91], exec, s[90:91]
	s_cbranch_execz .LBB4_2280
; %bb.2279:                             ;   in Loop: Header=BB4_1836 Depth=2
	v_ffbh_u32_e32 v25, v2
	v_min_u32_e32 v25, 32, v25
	v_and_b32_e32 v1, 0xff, v42
	v_mov_b32_e32 v43, v35
	v_subrev_u32_e32 v34, 29, v25
	v_bfe_u32 v1, v1, 2, 5
	v_lshlrev_b64 v[51:52], v34, v[42:43]
	v_sub_u32_e32 v25, 30, v25
	v_cmp_eq_u32_e32 vcc, 0, v1
	v_and_b32_e32 v34, 3, v51
	v_cndmask_b32_e32 v1, v1, v25, vcc
	v_and_b32_sdwa v25, sext(v42), s54 dst_sel:DWORD dst_unused:UNUSED_PAD src0_sel:WORD_0 src1_sel:DWORD
	v_cndmask_b32_e32 v2, v2, v34, vcc
	v_lshl_add_u32 v1, v1, 23, v25
	v_lshl_or_b32 v1, v2, 21, v1
	v_add_u32_e32 v1, 0x38000000, v1
                                        ; implicit-def: $vgpr2
                                        ; implicit-def: $vgpr42
.LBB4_2280:                             ;   in Loop: Header=BB4_1836 Depth=2
	s_andn2_saveexec_b64 s[90:91], s[90:91]
; %bb.2281:                             ;   in Loop: Header=BB4_1836 Depth=2
	v_cmp_lt_i16_e32 vcc, -1, v42
	v_cndmask_b32_e32 v1, v5, v36, vcc
	v_cmp_eq_u32_e32 vcc, 0, v2
	v_cndmask_b32_e32 v1, v37, v1, vcc
; %bb.2282:                             ;   in Loop: Header=BB4_1836 Depth=2
	s_or_b64 exec, exec, s[90:91]
.LBB4_2283:                             ;   in Loop: Header=BB4_1836 Depth=2
	s_or_b64 exec, exec, s[88:89]
.LBB4_2284:                             ;   in Loop: Header=BB4_1836 Depth=2
	s_or_b64 exec, exec, s[20:21]
	v_cmp_ne_u16_e32 vcc, 0, v24
	s_and_saveexec_b64 s[20:21], vcc
	s_cbranch_execz .LBB4_2292
; %bb.2285:                             ;   in Loop: Header=BB4_1836 Depth=2
	v_cmp_ne_u16_e32 vcc, s52, v24
	v_bfrev_b32_e32 v0, 1
	s_and_saveexec_b64 s[88:89], vcc
	s_cbranch_execz .LBB4_2291
; %bb.2286:                             ;   in Loop: Header=BB4_1836 Depth=2
	v_and_b32_e32 v0, 0x7c, v24
	v_and_b32_e32 v2, 3, v24
	v_cmp_ne_u32_e32 vcc, s53, v0
                                        ; implicit-def: $vgpr0
	s_and_saveexec_b64 s[90:91], vcc
	s_xor_b64 s[90:91], exec, s[90:91]
	s_cbranch_execz .LBB4_2288
; %bb.2287:                             ;   in Loop: Header=BB4_1836 Depth=2
	v_ffbh_u32_e32 v34, v2
	v_min_u32_e32 v34, 32, v34
	v_and_b32_e32 v0, 0xff, v24
	v_mov_b32_e32 v25, v35
	v_subrev_u32_e32 v51, 29, v34
	v_bfe_u32 v0, v0, 2, 5
	v_lshlrev_b64 v[51:52], v51, v[24:25]
	v_sub_u32_e32 v25, 30, v34
	v_cmp_eq_u32_e32 vcc, 0, v0
	v_and_b32_e32 v34, 3, v51
	v_cndmask_b32_e32 v0, v0, v25, vcc
	v_and_b32_sdwa v24, sext(v24), s54 dst_sel:DWORD dst_unused:UNUSED_PAD src0_sel:WORD_0 src1_sel:DWORD
	v_cndmask_b32_e32 v2, v2, v34, vcc
	v_lshl_add_u32 v0, v0, 23, v24
	v_lshl_or_b32 v0, v2, 21, v0
	v_add_u32_e32 v0, 0x38000000, v0
                                        ; implicit-def: $vgpr2
                                        ; implicit-def: $vgpr24
.LBB4_2288:                             ;   in Loop: Header=BB4_1836 Depth=2
	s_andn2_saveexec_b64 s[90:91], s[90:91]
; %bb.2289:                             ;   in Loop: Header=BB4_1836 Depth=2
	v_cmp_lt_i16_e32 vcc, -1, v24
	v_cndmask_b32_e32 v0, v5, v36, vcc
	v_cmp_eq_u32_e32 vcc, 0, v2
	v_cndmask_b32_e32 v0, v37, v0, vcc
; %bb.2290:                             ;   in Loop: Header=BB4_1836 Depth=2
	s_or_b64 exec, exec, s[90:91]
.LBB4_2291:                             ;   in Loop: Header=BB4_1836 Depth=2
	s_or_b64 exec, exec, s[88:89]
.LBB4_2292:                             ;   in Loop: Header=BB4_1836 Depth=2
	s_or_b64 exec, exec, s[20:21]
	v_mul_f32_e32 v0, v1, v0
	v_and_b32_e32 v1, 0x7f800000, v0
	v_mov_b32_e32 v2, v35
	v_cmp_ne_u64_e32 vcc, s[60:61], v[1:2]
	v_and_b32_e32 v34, 0x7fffff, v0
                                        ; implicit-def: $vgpr25
	s_and_saveexec_b64 s[20:21], vcc
	s_xor_b64 s[88:89], exec, s[20:21]
	s_cbranch_execz .LBB4_2310
; %bb.2293:                             ;   in Loop: Header=BB4_1836 Depth=2
	v_and_b32_e32 v1, 0x7fffffff, v0
	v_mov_b32_e32 v2, v35
	v_cmp_gt_u64_e32 vcc, s[62:63], v[1:2]
	v_and_b32_sdwa v24, v0, s55 dst_sel:DWORD dst_unused:UNUSED_PAD src0_sel:BYTE_3 src1_sel:DWORD
                                        ; implicit-def: $vgpr25
	s_and_saveexec_b64 s[20:21], vcc
	s_xor_b64 s[90:91], exec, s[20:21]
	s_cbranch_execz .LBB4_2307
; %bb.2294:                             ;   in Loop: Header=BB4_1836 Depth=2
	v_cmp_ne_u32_e32 vcc, 0, v0
	v_mov_b32_e32 v25, 0
	s_and_saveexec_b64 s[92:93], vcc
	s_cbranch_execz .LBB4_2306
; %bb.2295:                             ;   in Loop: Header=BB4_1836 Depth=2
	v_bfe_u32 v25, v0, 23, 8
	v_cmp_gt_u32_e64 s[20:21], s64, v25
	v_sub_u32_e32 v0, 0x71, v25
	v_cmp_eq_u32_e32 vcc, 0, v25
	v_cndmask_b32_e64 v0, 0, v0, s[20:21]
	v_mov_b32_e32 v2, 0x70
	v_cndmask_b32_e32 v51, v0, v2, vcc
	v_or_b32_e32 v1, 0x800000, v34
	v_add_u32_e32 v0, 21, v51
	v_cndmask_b32_e32 v34, v1, v34, vcc
	v_lshlrev_b64 v[0:1], v0, -1
	v_add_u32_e32 v2, 20, v51
	v_lshlrev_b64 v[40:41], v2, 1
	v_bfi_b32 v1, v1, 0, 0
	v_bfi_b32 v0, v0, 0, v34
	v_cmp_eq_u64_e64 s[20:21], v[0:1], v[40:41]
	v_lshrrev_b64 v[0:1], v51, v[34:35]
	v_mov_b32_e32 v2, v1
	v_mov_b32_e32 v1, v0
	s_and_saveexec_b64 s[94:95], s[20:21]
; %bb.2296:                             ;   in Loop: Header=BB4_1836 Depth=2
	v_bfe_u32 v1, v0, 21, 1
	v_add_co_u32_e64 v1, s[20:21], v0, v1
	v_add_co_u32_e64 v1, s[20:21], -1, v1
; %bb.2297:                             ;   in Loop: Header=BB4_1836 Depth=2
	s_or_b64 exec, exec, s[94:95]
	v_add_u32_e32 v2, 0xffffff81, v25
	v_mov_b32_e32 v25, 0xffffff82
	v_cndmask_b32_e32 v2, v2, v25, vcc
	v_lshrrev_b32_e32 v25, 23, v0
	v_add3_u32 v51, v51, v2, v25
	v_add_u32_e32 v25, 14, v51
	v_and_b32_e32 v1, 0x1fffff, v1
	v_add_u32_e32 v34, v1, v0
	v_cmp_ne_u32_e32 vcc, 0, v25
                                        ; implicit-def: $vgpr0_vgpr1
                                        ; implicit-def: $vgpr2
	s_and_saveexec_b64 s[20:21], vcc
	s_xor_b64 s[20:21], exec, s[20:21]
; %bb.2298:                             ;   in Loop: Header=BB4_1836 Depth=2
	v_cmp_lt_u64_e32 vcc, s[72:73], v[34:35]
	v_add_u32_e32 v0, 15, v51
	v_cndmask_b32_e32 v2, v25, v0, vcc
	v_cndmask_b32_e64 v0, 0, 1, vcc
	v_lshrrev_b64 v[0:1], v0, v[34:35]
; %bb.2299:                             ;   in Loop: Header=BB4_1836 Depth=2
	s_andn2_saveexec_b64 s[20:21], s[20:21]
; %bb.2300:                             ;   in Loop: Header=BB4_1836 Depth=2
	v_mov_b32_e32 v0, v34
	v_bfe_u32 v2, v34, 23, 1
	v_mov_b32_e32 v1, v35
; %bb.2301:                             ;   in Loop: Header=BB4_1836 Depth=2
	s_or_b64 exec, exec, s[20:21]
	v_lshrrev_b64 v[0:1], 21, v[0:1]
	v_cmp_gt_i32_e32 vcc, 32, v2
	v_cndmask_b32_e32 v1, 0, v1, vcc
	v_cndmask_b32_e32 v0, 3, v0, vcc
	v_cmp_ne_u64_e32 vcc, 0, v[0:1]
	v_cmp_ne_u32_e64 s[20:21], 0, v2
	s_or_b64 s[20:21], s[20:21], vcc
                                        ; implicit-def: $vgpr25
	s_and_saveexec_b64 s[94:95], s[20:21]
	s_xor_b64 s[20:21], exec, s[94:95]
; %bb.2302:                             ;   in Loop: Header=BB4_1836 Depth=2
	v_min_i32_e32 v1, 31, v2
	v_lshl_or_b32 v1, v1, 2, v24
	v_and_or_b32 v25, v0, 3, v1
                                        ; implicit-def: $vgpr24
; %bb.2303:                             ;   in Loop: Header=BB4_1836 Depth=2
	s_andn2_saveexec_b64 s[20:21], s[20:21]
; %bb.2304:                             ;   in Loop: Header=BB4_1836 Depth=2
	v_mov_b32_e32 v25, v24
; %bb.2305:                             ;   in Loop: Header=BB4_1836 Depth=2
	s_or_b64 exec, exec, s[20:21]
.LBB4_2306:                             ;   in Loop: Header=BB4_1836 Depth=2
	s_or_b64 exec, exec, s[92:93]
                                        ; implicit-def: $vgpr24
.LBB4_2307:                             ;   in Loop: Header=BB4_1836 Depth=2
	s_andn2_saveexec_b64 s[20:21], s[90:91]
; %bb.2308:                             ;   in Loop: Header=BB4_1836 Depth=2
	v_or_b32_e32 v25, 0x7b, v24
; %bb.2309:                             ;   in Loop: Header=BB4_1836 Depth=2
	s_or_b64 exec, exec, s[20:21]
                                        ; implicit-def: $vgpr0
.LBB4_2310:                             ;   in Loop: Header=BB4_1836 Depth=2
	s_andn2_saveexec_b64 s[20:21], s[88:89]
	s_cbranch_execz .LBB4_2316
; %bb.2311:                             ;   in Loop: Header=BB4_1836 Depth=2
	v_cmp_ne_u64_e32 vcc, 0, v[34:35]
                                        ; implicit-def: $vgpr25
	s_and_saveexec_b64 s[88:89], vcc
	s_xor_b64 s[88:89], exec, s[88:89]
; %bb.2312:                             ;   in Loop: Header=BB4_1836 Depth=2
	v_or_b32_sdwa v25, v0, s65 dst_sel:DWORD dst_unused:UNUSED_PAD src0_sel:BYTE_3 src1_sel:DWORD
                                        ; implicit-def: $vgpr0
; %bb.2313:                             ;   in Loop: Header=BB4_1836 Depth=2
	s_andn2_saveexec_b64 s[88:89], s[88:89]
; %bb.2314:                             ;   in Loop: Header=BB4_1836 Depth=2
	v_cmp_lt_i32_e32 vcc, -1, v0
	v_mov_b32_e32 v0, 0x7c
	v_cndmask_b32_e32 v25, -4, v0, vcc
; %bb.2315:                             ;   in Loop: Header=BB4_1836 Depth=2
	s_or_b64 exec, exec, s[88:89]
.LBB4_2316:                             ;   in Loop: Header=BB4_1836 Depth=2
	s_or_b64 exec, exec, s[20:21]
	v_cmp_ne_u16_e32 vcc, 0, v23
	v_mov_b32_e32 v0, 0
	v_mov_b32_e32 v1, 0
	s_and_saveexec_b64 s[20:21], vcc
	s_cbranch_execz .LBB4_2324
; %bb.2317:                             ;   in Loop: Header=BB4_1836 Depth=2
	v_cmp_ne_u16_e32 vcc, s52, v23
	v_bfrev_b32_e32 v1, 1
	s_and_saveexec_b64 s[88:89], vcc
	s_cbranch_execz .LBB4_2323
; %bb.2318:                             ;   in Loop: Header=BB4_1836 Depth=2
	v_and_b32_e32 v1, 0x7c, v23
	v_and_b32_e32 v2, 3, v23
	v_cmp_ne_u32_e32 vcc, s53, v1
                                        ; implicit-def: $vgpr1
	s_and_saveexec_b64 s[90:91], vcc
	s_xor_b64 s[90:91], exec, s[90:91]
	s_cbranch_execz .LBB4_2320
; %bb.2319:                             ;   in Loop: Header=BB4_1836 Depth=2
	v_ffbh_u32_e32 v34, v2
	v_min_u32_e32 v34, 32, v34
	v_and_b32_e32 v1, 0xff, v23
	v_mov_b32_e32 v24, v35
	v_subrev_u32_e32 v51, 29, v34
	v_bfe_u32 v1, v1, 2, 5
	v_lshlrev_b64 v[51:52], v51, v[23:24]
	v_sub_u32_e32 v24, 30, v34
	v_cmp_eq_u32_e32 vcc, 0, v1
	v_and_b32_e32 v34, 3, v51
	v_cndmask_b32_e32 v1, v1, v24, vcc
	v_and_b32_sdwa v23, sext(v23), s54 dst_sel:DWORD dst_unused:UNUSED_PAD src0_sel:WORD_0 src1_sel:DWORD
	v_cndmask_b32_e32 v2, v2, v34, vcc
	v_lshl_add_u32 v1, v1, 23, v23
	v_lshl_or_b32 v1, v2, 21, v1
	v_add_u32_e32 v1, 0x38000000, v1
                                        ; implicit-def: $vgpr2
                                        ; implicit-def: $vgpr23
.LBB4_2320:                             ;   in Loop: Header=BB4_1836 Depth=2
	s_andn2_saveexec_b64 s[90:91], s[90:91]
; %bb.2321:                             ;   in Loop: Header=BB4_1836 Depth=2
	v_cmp_lt_i16_e32 vcc, -1, v23
	v_cndmask_b32_e32 v1, v5, v36, vcc
	v_cmp_eq_u32_e32 vcc, 0, v2
	v_cndmask_b32_e32 v1, v37, v1, vcc
; %bb.2322:                             ;   in Loop: Header=BB4_1836 Depth=2
	s_or_b64 exec, exec, s[90:91]
.LBB4_2323:                             ;   in Loop: Header=BB4_1836 Depth=2
	s_or_b64 exec, exec, s[88:89]
.LBB4_2324:                             ;   in Loop: Header=BB4_1836 Depth=2
	s_or_b64 exec, exec, s[20:21]
	v_cmp_ne_u16_e32 vcc, 0, v22
	s_and_saveexec_b64 s[20:21], vcc
	s_cbranch_execz .LBB4_2332
; %bb.2325:                             ;   in Loop: Header=BB4_1836 Depth=2
	v_cmp_ne_u16_e32 vcc, s52, v22
	v_bfrev_b32_e32 v0, 1
	s_and_saveexec_b64 s[88:89], vcc
	s_cbranch_execz .LBB4_2331
; %bb.2326:                             ;   in Loop: Header=BB4_1836 Depth=2
	v_and_b32_e32 v0, 0x7c, v22
	v_and_b32_e32 v2, 3, v22
	v_cmp_ne_u32_e32 vcc, s53, v0
                                        ; implicit-def: $vgpr0
	s_and_saveexec_b64 s[90:91], vcc
	s_xor_b64 s[90:91], exec, s[90:91]
	s_cbranch_execz .LBB4_2328
; %bb.2327:                             ;   in Loop: Header=BB4_1836 Depth=2
	v_ffbh_u32_e32 v24, v2
	v_min_u32_e32 v34, 32, v24
	v_and_b32_e32 v0, 0xff, v22
	v_mov_b32_e32 v23, v35
	v_subrev_u32_e32 v24, 29, v34
	v_bfe_u32 v0, v0, 2, 5
	v_lshlrev_b64 v[23:24], v24, v[22:23]
	v_sub_u32_e32 v24, 30, v34
	v_cmp_eq_u32_e32 vcc, 0, v0
	v_and_b32_e32 v23, 3, v23
	v_cndmask_b32_e32 v0, v0, v24, vcc
	v_and_b32_sdwa v22, sext(v22), s54 dst_sel:DWORD dst_unused:UNUSED_PAD src0_sel:WORD_0 src1_sel:DWORD
	v_cndmask_b32_e32 v2, v2, v23, vcc
	v_lshl_add_u32 v0, v0, 23, v22
	v_lshl_or_b32 v0, v2, 21, v0
	v_add_u32_e32 v0, 0x38000000, v0
                                        ; implicit-def: $vgpr2
                                        ; implicit-def: $vgpr22
.LBB4_2328:                             ;   in Loop: Header=BB4_1836 Depth=2
	s_andn2_saveexec_b64 s[90:91], s[90:91]
; %bb.2329:                             ;   in Loop: Header=BB4_1836 Depth=2
	v_cmp_lt_i16_e32 vcc, -1, v22
	v_cndmask_b32_e32 v0, v5, v36, vcc
	v_cmp_eq_u32_e32 vcc, 0, v2
	v_cndmask_b32_e32 v0, v37, v0, vcc
; %bb.2330:                             ;   in Loop: Header=BB4_1836 Depth=2
	s_or_b64 exec, exec, s[90:91]
.LBB4_2331:                             ;   in Loop: Header=BB4_1836 Depth=2
	s_or_b64 exec, exec, s[88:89]
.LBB4_2332:                             ;   in Loop: Header=BB4_1836 Depth=2
	s_or_b64 exec, exec, s[20:21]
	v_mul_f32_e32 v0, v1, v0
	v_and_b32_e32 v1, 0x7f800000, v0
	v_mov_b32_e32 v2, v35
	v_cmp_ne_u64_e32 vcc, s[60:61], v[1:2]
	v_and_b32_e32 v34, 0x7fffff, v0
                                        ; implicit-def: $vgpr23
	s_and_saveexec_b64 s[20:21], vcc
	s_xor_b64 s[88:89], exec, s[20:21]
	s_cbranch_execz .LBB4_2350
; %bb.2333:                             ;   in Loop: Header=BB4_1836 Depth=2
	v_and_b32_e32 v1, 0x7fffffff, v0
	v_mov_b32_e32 v2, v35
	v_cmp_gt_u64_e32 vcc, s[62:63], v[1:2]
	v_and_b32_sdwa v22, v0, s55 dst_sel:DWORD dst_unused:UNUSED_PAD src0_sel:BYTE_3 src1_sel:DWORD
                                        ; implicit-def: $vgpr23
	s_and_saveexec_b64 s[20:21], vcc
	s_xor_b64 s[90:91], exec, s[20:21]
	s_cbranch_execz .LBB4_2347
; %bb.2334:                             ;   in Loop: Header=BB4_1836 Depth=2
	v_cmp_ne_u32_e32 vcc, 0, v0
	v_mov_b32_e32 v23, 0
	s_and_saveexec_b64 s[92:93], vcc
	s_cbranch_execz .LBB4_2346
; %bb.2335:                             ;   in Loop: Header=BB4_1836 Depth=2
	v_bfe_u32 v23, v0, 23, 8
	v_cmp_gt_u32_e64 s[20:21], s64, v23
	v_sub_u32_e32 v0, 0x71, v23
	v_cmp_eq_u32_e32 vcc, 0, v23
	v_cndmask_b32_e64 v0, 0, v0, s[20:21]
	v_mov_b32_e32 v2, 0x70
	v_cndmask_b32_e32 v24, v0, v2, vcc
	v_or_b32_e32 v1, 0x800000, v34
	v_add_u32_e32 v0, 21, v24
	v_cndmask_b32_e32 v34, v1, v34, vcc
	v_lshlrev_b64 v[0:1], v0, -1
	v_add_u32_e32 v2, 20, v24
	v_lshlrev_b64 v[51:52], v2, 1
	v_bfi_b32 v1, v1, 0, 0
	v_bfi_b32 v0, v0, 0, v34
	v_cmp_eq_u64_e64 s[20:21], v[0:1], v[51:52]
	v_lshrrev_b64 v[0:1], v24, v[34:35]
	v_mov_b32_e32 v2, v1
	v_mov_b32_e32 v1, v0
	s_and_saveexec_b64 s[94:95], s[20:21]
; %bb.2336:                             ;   in Loop: Header=BB4_1836 Depth=2
	v_bfe_u32 v1, v0, 21, 1
	v_add_co_u32_e64 v1, s[20:21], v0, v1
	v_add_co_u32_e64 v1, s[20:21], -1, v1
; %bb.2337:                             ;   in Loop: Header=BB4_1836 Depth=2
	s_or_b64 exec, exec, s[94:95]
	v_add_u32_e32 v2, 0xffffff81, v23
	v_mov_b32_e32 v23, 0xffffff82
	v_cndmask_b32_e32 v2, v2, v23, vcc
	v_lshrrev_b32_e32 v23, 23, v0
	v_add3_u32 v24, v24, v2, v23
	v_add_u32_e32 v23, 14, v24
	v_and_b32_e32 v1, 0x1fffff, v1
	v_add_u32_e32 v34, v1, v0
	v_cmp_ne_u32_e32 vcc, 0, v23
                                        ; implicit-def: $vgpr0_vgpr1
                                        ; implicit-def: $vgpr2
	s_and_saveexec_b64 s[20:21], vcc
	s_xor_b64 s[20:21], exec, s[20:21]
; %bb.2338:                             ;   in Loop: Header=BB4_1836 Depth=2
	v_cmp_lt_u64_e32 vcc, s[72:73], v[34:35]
	v_add_u32_e32 v0, 15, v24
	v_cndmask_b32_e32 v2, v23, v0, vcc
	v_cndmask_b32_e64 v0, 0, 1, vcc
	v_lshrrev_b64 v[0:1], v0, v[34:35]
; %bb.2339:                             ;   in Loop: Header=BB4_1836 Depth=2
	s_andn2_saveexec_b64 s[20:21], s[20:21]
; %bb.2340:                             ;   in Loop: Header=BB4_1836 Depth=2
	v_mov_b32_e32 v0, v34
	v_bfe_u32 v2, v34, 23, 1
	v_mov_b32_e32 v1, v35
; %bb.2341:                             ;   in Loop: Header=BB4_1836 Depth=2
	s_or_b64 exec, exec, s[20:21]
	v_lshrrev_b64 v[0:1], 21, v[0:1]
	v_cmp_gt_i32_e32 vcc, 32, v2
	v_cndmask_b32_e32 v1, 0, v1, vcc
	v_cndmask_b32_e32 v0, 3, v0, vcc
	v_cmp_ne_u64_e32 vcc, 0, v[0:1]
	v_cmp_ne_u32_e64 s[20:21], 0, v2
	s_or_b64 s[20:21], s[20:21], vcc
                                        ; implicit-def: $vgpr23
	s_and_saveexec_b64 s[94:95], s[20:21]
	s_xor_b64 s[20:21], exec, s[94:95]
; %bb.2342:                             ;   in Loop: Header=BB4_1836 Depth=2
	v_min_i32_e32 v1, 31, v2
	v_lshl_or_b32 v1, v1, 2, v22
	v_and_or_b32 v23, v0, 3, v1
                                        ; implicit-def: $vgpr22
; %bb.2343:                             ;   in Loop: Header=BB4_1836 Depth=2
	s_andn2_saveexec_b64 s[20:21], s[20:21]
; %bb.2344:                             ;   in Loop: Header=BB4_1836 Depth=2
	v_mov_b32_e32 v23, v22
; %bb.2345:                             ;   in Loop: Header=BB4_1836 Depth=2
	s_or_b64 exec, exec, s[20:21]
.LBB4_2346:                             ;   in Loop: Header=BB4_1836 Depth=2
	s_or_b64 exec, exec, s[92:93]
                                        ; implicit-def: $vgpr22
.LBB4_2347:                             ;   in Loop: Header=BB4_1836 Depth=2
	s_andn2_saveexec_b64 s[20:21], s[90:91]
; %bb.2348:                             ;   in Loop: Header=BB4_1836 Depth=2
	v_or_b32_e32 v23, 0x7b, v22
; %bb.2349:                             ;   in Loop: Header=BB4_1836 Depth=2
	s_or_b64 exec, exec, s[20:21]
                                        ; implicit-def: $vgpr0
.LBB4_2350:                             ;   in Loop: Header=BB4_1836 Depth=2
	s_andn2_saveexec_b64 s[20:21], s[88:89]
	s_cbranch_execz .LBB4_2356
; %bb.2351:                             ;   in Loop: Header=BB4_1836 Depth=2
	v_cmp_ne_u64_e32 vcc, 0, v[34:35]
                                        ; implicit-def: $vgpr23
	s_and_saveexec_b64 s[88:89], vcc
	s_xor_b64 s[88:89], exec, s[88:89]
; %bb.2352:                             ;   in Loop: Header=BB4_1836 Depth=2
	v_or_b32_sdwa v23, v0, s65 dst_sel:DWORD dst_unused:UNUSED_PAD src0_sel:BYTE_3 src1_sel:DWORD
                                        ; implicit-def: $vgpr0
; %bb.2353:                             ;   in Loop: Header=BB4_1836 Depth=2
	s_andn2_saveexec_b64 s[88:89], s[88:89]
; %bb.2354:                             ;   in Loop: Header=BB4_1836 Depth=2
	v_cmp_lt_i32_e32 vcc, -1, v0
	v_mov_b32_e32 v0, 0x7c
	v_cndmask_b32_e32 v23, -4, v0, vcc
; %bb.2355:                             ;   in Loop: Header=BB4_1836 Depth=2
	s_or_b64 exec, exec, s[88:89]
.LBB4_2356:                             ;   in Loop: Header=BB4_1836 Depth=2
	s_or_b64 exec, exec, s[20:21]
	v_cmp_ne_u16_e32 vcc, 0, v21
	v_mov_b32_e32 v0, 0
	v_mov_b32_e32 v1, 0
	s_and_saveexec_b64 s[20:21], vcc
	s_cbranch_execz .LBB4_2364
; %bb.2357:                             ;   in Loop: Header=BB4_1836 Depth=2
	v_cmp_ne_u16_e32 vcc, s52, v21
	v_bfrev_b32_e32 v1, 1
	s_and_saveexec_b64 s[88:89], vcc
	s_cbranch_execz .LBB4_2363
; %bb.2358:                             ;   in Loop: Header=BB4_1836 Depth=2
	v_and_b32_e32 v1, 0x7c, v21
	v_and_b32_e32 v2, 3, v21
	v_cmp_ne_u32_e32 vcc, s53, v1
                                        ; implicit-def: $vgpr1
	s_and_saveexec_b64 s[90:91], vcc
	s_xor_b64 s[90:91], exec, s[90:91]
	s_cbranch_execz .LBB4_2360
; %bb.2359:                             ;   in Loop: Header=BB4_1836 Depth=2
	v_ffbh_u32_e32 v24, v2
	v_min_u32_e32 v24, 32, v24
	v_and_b32_e32 v1, 0xff, v21
	v_mov_b32_e32 v22, v35
	v_subrev_u32_e32 v34, 29, v24
	v_bfe_u32 v1, v1, 2, 5
	v_lshlrev_b64 v[51:52], v34, v[21:22]
	v_sub_u32_e32 v22, 30, v24
	v_cmp_eq_u32_e32 vcc, 0, v1
	v_and_b32_e32 v24, 3, v51
	v_cndmask_b32_e32 v1, v1, v22, vcc
	v_and_b32_sdwa v21, sext(v21), s54 dst_sel:DWORD dst_unused:UNUSED_PAD src0_sel:WORD_0 src1_sel:DWORD
	v_cndmask_b32_e32 v2, v2, v24, vcc
	v_lshl_add_u32 v1, v1, 23, v21
	v_lshl_or_b32 v1, v2, 21, v1
	v_add_u32_e32 v1, 0x38000000, v1
                                        ; implicit-def: $vgpr2
                                        ; implicit-def: $vgpr21
.LBB4_2360:                             ;   in Loop: Header=BB4_1836 Depth=2
	s_andn2_saveexec_b64 s[90:91], s[90:91]
; %bb.2361:                             ;   in Loop: Header=BB4_1836 Depth=2
	v_cmp_lt_i16_e32 vcc, -1, v21
	v_cndmask_b32_e32 v1, v5, v36, vcc
	v_cmp_eq_u32_e32 vcc, 0, v2
	v_cndmask_b32_e32 v1, v37, v1, vcc
; %bb.2362:                             ;   in Loop: Header=BB4_1836 Depth=2
	s_or_b64 exec, exec, s[90:91]
.LBB4_2363:                             ;   in Loop: Header=BB4_1836 Depth=2
	s_or_b64 exec, exec, s[88:89]
.LBB4_2364:                             ;   in Loop: Header=BB4_1836 Depth=2
	s_or_b64 exec, exec, s[20:21]
	v_cmp_ne_u16_e32 vcc, 0, v20
	s_and_saveexec_b64 s[20:21], vcc
	s_cbranch_execz .LBB4_2372
; %bb.2365:                             ;   in Loop: Header=BB4_1836 Depth=2
	v_cmp_ne_u16_e32 vcc, s52, v20
	v_bfrev_b32_e32 v0, 1
	s_and_saveexec_b64 s[88:89], vcc
	s_cbranch_execz .LBB4_2371
; %bb.2366:                             ;   in Loop: Header=BB4_1836 Depth=2
	v_and_b32_e32 v0, 0x7c, v20
	v_and_b32_e32 v2, 3, v20
	v_cmp_ne_u32_e32 vcc, s53, v0
                                        ; implicit-def: $vgpr0
	s_and_saveexec_b64 s[90:91], vcc
	s_xor_b64 s[90:91], exec, s[90:91]
	s_cbranch_execz .LBB4_2368
; %bb.2367:                             ;   in Loop: Header=BB4_1836 Depth=2
	v_ffbh_u32_e32 v22, v2
	v_min_u32_e32 v24, 32, v22
	v_and_b32_e32 v0, 0xff, v20
	v_mov_b32_e32 v21, v35
	v_subrev_u32_e32 v22, 29, v24
	v_bfe_u32 v0, v0, 2, 5
	v_lshlrev_b64 v[21:22], v22, v[20:21]
	v_sub_u32_e32 v22, 30, v24
	v_cmp_eq_u32_e32 vcc, 0, v0
	v_and_b32_e32 v21, 3, v21
	v_cndmask_b32_e32 v0, v0, v22, vcc
	v_and_b32_sdwa v20, sext(v20), s54 dst_sel:DWORD dst_unused:UNUSED_PAD src0_sel:WORD_0 src1_sel:DWORD
	v_cndmask_b32_e32 v2, v2, v21, vcc
	v_lshl_add_u32 v0, v0, 23, v20
	v_lshl_or_b32 v0, v2, 21, v0
	v_add_u32_e32 v0, 0x38000000, v0
                                        ; implicit-def: $vgpr2
                                        ; implicit-def: $vgpr20
.LBB4_2368:                             ;   in Loop: Header=BB4_1836 Depth=2
	s_andn2_saveexec_b64 s[90:91], s[90:91]
; %bb.2369:                             ;   in Loop: Header=BB4_1836 Depth=2
	v_cmp_lt_i16_e32 vcc, -1, v20
	v_cndmask_b32_e32 v0, v5, v36, vcc
	v_cmp_eq_u32_e32 vcc, 0, v2
	v_cndmask_b32_e32 v0, v37, v0, vcc
; %bb.2370:                             ;   in Loop: Header=BB4_1836 Depth=2
	s_or_b64 exec, exec, s[90:91]
.LBB4_2371:                             ;   in Loop: Header=BB4_1836 Depth=2
	s_or_b64 exec, exec, s[88:89]
.LBB4_2372:                             ;   in Loop: Header=BB4_1836 Depth=2
	s_or_b64 exec, exec, s[20:21]
	v_mul_f32_e32 v0, v1, v0
	v_and_b32_e32 v1, 0x7f800000, v0
	v_mov_b32_e32 v2, v35
	v_cmp_ne_u64_e32 vcc, s[60:61], v[1:2]
	v_and_b32_e32 v34, 0x7fffff, v0
                                        ; implicit-def: $vgpr21
	s_and_saveexec_b64 s[20:21], vcc
	s_xor_b64 s[88:89], exec, s[20:21]
	s_cbranch_execz .LBB4_2390
; %bb.2373:                             ;   in Loop: Header=BB4_1836 Depth=2
	v_and_b32_e32 v1, 0x7fffffff, v0
	v_mov_b32_e32 v2, v35
	v_cmp_gt_u64_e32 vcc, s[62:63], v[1:2]
	v_and_b32_sdwa v20, v0, s55 dst_sel:DWORD dst_unused:UNUSED_PAD src0_sel:BYTE_3 src1_sel:DWORD
                                        ; implicit-def: $vgpr21
	s_and_saveexec_b64 s[20:21], vcc
	s_xor_b64 s[90:91], exec, s[20:21]
	s_cbranch_execz .LBB4_2387
; %bb.2374:                             ;   in Loop: Header=BB4_1836 Depth=2
	v_cmp_ne_u32_e32 vcc, 0, v0
	v_mov_b32_e32 v21, 0
	s_and_saveexec_b64 s[92:93], vcc
	s_cbranch_execz .LBB4_2386
; %bb.2375:                             ;   in Loop: Header=BB4_1836 Depth=2
	v_bfe_u32 v21, v0, 23, 8
	v_cmp_gt_u32_e64 s[20:21], s64, v21
	v_sub_u32_e32 v0, 0x71, v21
	v_cmp_eq_u32_e32 vcc, 0, v21
	v_cndmask_b32_e64 v0, 0, v0, s[20:21]
	v_mov_b32_e32 v2, 0x70
	v_cndmask_b32_e32 v22, v0, v2, vcc
	v_or_b32_e32 v1, 0x800000, v34
	v_add_u32_e32 v0, 21, v22
	v_cndmask_b32_e32 v34, v1, v34, vcc
	v_lshlrev_b64 v[0:1], v0, -1
	v_add_u32_e32 v2, 20, v22
	v_lshlrev_b64 v[51:52], v2, 1
	v_bfi_b32 v1, v1, 0, 0
	v_bfi_b32 v0, v0, 0, v34
	v_cmp_eq_u64_e64 s[20:21], v[0:1], v[51:52]
	v_lshrrev_b64 v[0:1], v22, v[34:35]
	v_mov_b32_e32 v2, v1
	v_mov_b32_e32 v1, v0
	s_and_saveexec_b64 s[94:95], s[20:21]
; %bb.2376:                             ;   in Loop: Header=BB4_1836 Depth=2
	v_bfe_u32 v1, v0, 21, 1
	v_add_co_u32_e64 v1, s[20:21], v0, v1
	v_add_co_u32_e64 v1, s[20:21], -1, v1
; %bb.2377:                             ;   in Loop: Header=BB4_1836 Depth=2
	s_or_b64 exec, exec, s[94:95]
	v_add_u32_e32 v2, 0xffffff81, v21
	v_mov_b32_e32 v21, 0xffffff82
	v_cndmask_b32_e32 v2, v2, v21, vcc
	v_lshrrev_b32_e32 v21, 23, v0
	v_add3_u32 v22, v22, v2, v21
	v_add_u32_e32 v21, 14, v22
	v_and_b32_e32 v1, 0x1fffff, v1
	v_add_u32_e32 v34, v1, v0
	v_cmp_ne_u32_e32 vcc, 0, v21
                                        ; implicit-def: $vgpr0_vgpr1
                                        ; implicit-def: $vgpr2
	s_and_saveexec_b64 s[20:21], vcc
	s_xor_b64 s[20:21], exec, s[20:21]
; %bb.2378:                             ;   in Loop: Header=BB4_1836 Depth=2
	v_cmp_lt_u64_e32 vcc, s[72:73], v[34:35]
	v_add_u32_e32 v0, 15, v22
	v_cndmask_b32_e32 v2, v21, v0, vcc
	v_cndmask_b32_e64 v0, 0, 1, vcc
	v_lshrrev_b64 v[0:1], v0, v[34:35]
; %bb.2379:                             ;   in Loop: Header=BB4_1836 Depth=2
	s_andn2_saveexec_b64 s[20:21], s[20:21]
; %bb.2380:                             ;   in Loop: Header=BB4_1836 Depth=2
	v_mov_b32_e32 v0, v34
	v_bfe_u32 v2, v34, 23, 1
	v_mov_b32_e32 v1, v35
; %bb.2381:                             ;   in Loop: Header=BB4_1836 Depth=2
	s_or_b64 exec, exec, s[20:21]
	v_lshrrev_b64 v[0:1], 21, v[0:1]
	v_cmp_gt_i32_e32 vcc, 32, v2
	v_cndmask_b32_e32 v1, 0, v1, vcc
	v_cndmask_b32_e32 v0, 3, v0, vcc
	v_cmp_ne_u64_e32 vcc, 0, v[0:1]
	v_cmp_ne_u32_e64 s[20:21], 0, v2
	s_or_b64 s[20:21], s[20:21], vcc
                                        ; implicit-def: $vgpr21
	s_and_saveexec_b64 s[94:95], s[20:21]
	s_xor_b64 s[20:21], exec, s[94:95]
; %bb.2382:                             ;   in Loop: Header=BB4_1836 Depth=2
	v_min_i32_e32 v1, 31, v2
	v_lshl_or_b32 v1, v1, 2, v20
	v_and_or_b32 v21, v0, 3, v1
                                        ; implicit-def: $vgpr20
; %bb.2383:                             ;   in Loop: Header=BB4_1836 Depth=2
	s_andn2_saveexec_b64 s[20:21], s[20:21]
; %bb.2384:                             ;   in Loop: Header=BB4_1836 Depth=2
	v_mov_b32_e32 v21, v20
; %bb.2385:                             ;   in Loop: Header=BB4_1836 Depth=2
	s_or_b64 exec, exec, s[20:21]
.LBB4_2386:                             ;   in Loop: Header=BB4_1836 Depth=2
	s_or_b64 exec, exec, s[92:93]
                                        ; implicit-def: $vgpr20
.LBB4_2387:                             ;   in Loop: Header=BB4_1836 Depth=2
	s_andn2_saveexec_b64 s[20:21], s[90:91]
; %bb.2388:                             ;   in Loop: Header=BB4_1836 Depth=2
	v_or_b32_e32 v21, 0x7b, v20
; %bb.2389:                             ;   in Loop: Header=BB4_1836 Depth=2
	s_or_b64 exec, exec, s[20:21]
                                        ; implicit-def: $vgpr0
.LBB4_2390:                             ;   in Loop: Header=BB4_1836 Depth=2
	s_andn2_saveexec_b64 s[20:21], s[88:89]
	s_cbranch_execz .LBB4_2396
; %bb.2391:                             ;   in Loop: Header=BB4_1836 Depth=2
	v_cmp_ne_u64_e32 vcc, 0, v[34:35]
                                        ; implicit-def: $vgpr21
	s_and_saveexec_b64 s[88:89], vcc
	s_xor_b64 s[88:89], exec, s[88:89]
; %bb.2392:                             ;   in Loop: Header=BB4_1836 Depth=2
	v_or_b32_sdwa v21, v0, s65 dst_sel:DWORD dst_unused:UNUSED_PAD src0_sel:BYTE_3 src1_sel:DWORD
                                        ; implicit-def: $vgpr0
; %bb.2393:                             ;   in Loop: Header=BB4_1836 Depth=2
	s_andn2_saveexec_b64 s[88:89], s[88:89]
; %bb.2394:                             ;   in Loop: Header=BB4_1836 Depth=2
	v_cmp_lt_i32_e32 vcc, -1, v0
	v_mov_b32_e32 v0, 0x7c
	v_cndmask_b32_e32 v21, -4, v0, vcc
; %bb.2395:                             ;   in Loop: Header=BB4_1836 Depth=2
	s_or_b64 exec, exec, s[88:89]
.LBB4_2396:                             ;   in Loop: Header=BB4_1836 Depth=2
	s_or_b64 exec, exec, s[20:21]
	v_cmp_ne_u16_e32 vcc, 0, v19
	v_mov_b32_e32 v0, 0
	v_mov_b32_e32 v1, 0
	s_and_saveexec_b64 s[20:21], vcc
	s_cbranch_execz .LBB4_2404
; %bb.2397:                             ;   in Loop: Header=BB4_1836 Depth=2
	v_cmp_ne_u16_e32 vcc, s52, v19
	v_bfrev_b32_e32 v1, 1
	s_and_saveexec_b64 s[88:89], vcc
	s_cbranch_execz .LBB4_2403
; %bb.2398:                             ;   in Loop: Header=BB4_1836 Depth=2
	v_and_b32_e32 v1, 0x7c, v19
	v_and_b32_e32 v2, 3, v19
	v_cmp_ne_u32_e32 vcc, s53, v1
                                        ; implicit-def: $vgpr1
	s_and_saveexec_b64 s[90:91], vcc
	s_xor_b64 s[90:91], exec, s[90:91]
	s_cbranch_execz .LBB4_2400
; %bb.2399:                             ;   in Loop: Header=BB4_1836 Depth=2
	v_ffbh_u32_e32 v22, v2
	v_min_u32_e32 v22, 32, v22
	v_and_b32_e32 v1, 0xff, v19
	v_mov_b32_e32 v20, v35
	v_subrev_u32_e32 v24, 29, v22
	v_bfe_u32 v1, v1, 2, 5
	v_lshlrev_b64 v[51:52], v24, v[19:20]
	v_sub_u32_e32 v20, 30, v22
	v_cmp_eq_u32_e32 vcc, 0, v1
	v_and_b32_e32 v22, 3, v51
	v_cndmask_b32_e32 v1, v1, v20, vcc
	v_and_b32_sdwa v19, sext(v19), s54 dst_sel:DWORD dst_unused:UNUSED_PAD src0_sel:WORD_0 src1_sel:DWORD
	v_cndmask_b32_e32 v2, v2, v22, vcc
	v_lshl_add_u32 v1, v1, 23, v19
	v_lshl_or_b32 v1, v2, 21, v1
	v_add_u32_e32 v1, 0x38000000, v1
                                        ; implicit-def: $vgpr2
                                        ; implicit-def: $vgpr19
.LBB4_2400:                             ;   in Loop: Header=BB4_1836 Depth=2
	s_andn2_saveexec_b64 s[90:91], s[90:91]
; %bb.2401:                             ;   in Loop: Header=BB4_1836 Depth=2
	v_cmp_lt_i16_e32 vcc, -1, v19
	v_cndmask_b32_e32 v1, v5, v36, vcc
	v_cmp_eq_u32_e32 vcc, 0, v2
	v_cndmask_b32_e32 v1, v37, v1, vcc
; %bb.2402:                             ;   in Loop: Header=BB4_1836 Depth=2
	s_or_b64 exec, exec, s[90:91]
.LBB4_2403:                             ;   in Loop: Header=BB4_1836 Depth=2
	s_or_b64 exec, exec, s[88:89]
.LBB4_2404:                             ;   in Loop: Header=BB4_1836 Depth=2
	s_or_b64 exec, exec, s[20:21]
	v_cmp_ne_u16_e32 vcc, 0, v18
	s_and_saveexec_b64 s[20:21], vcc
	s_cbranch_execz .LBB4_2412
; %bb.2405:                             ;   in Loop: Header=BB4_1836 Depth=2
	v_cmp_ne_u16_e32 vcc, s52, v18
	v_bfrev_b32_e32 v0, 1
	s_and_saveexec_b64 s[88:89], vcc
	s_cbranch_execz .LBB4_2411
; %bb.2406:                             ;   in Loop: Header=BB4_1836 Depth=2
	v_and_b32_e32 v0, 0x7c, v18
	v_and_b32_e32 v2, 3, v18
	v_cmp_ne_u32_e32 vcc, s53, v0
                                        ; implicit-def: $vgpr0
	s_and_saveexec_b64 s[90:91], vcc
	s_xor_b64 s[90:91], exec, s[90:91]
	s_cbranch_execz .LBB4_2408
; %bb.2407:                             ;   in Loop: Header=BB4_1836 Depth=2
	v_ffbh_u32_e32 v20, v2
	v_min_u32_e32 v22, 32, v20
	v_and_b32_e32 v0, 0xff, v18
	v_mov_b32_e32 v19, v35
	v_subrev_u32_e32 v20, 29, v22
	v_bfe_u32 v0, v0, 2, 5
	v_lshlrev_b64 v[19:20], v20, v[18:19]
	v_sub_u32_e32 v20, 30, v22
	v_cmp_eq_u32_e32 vcc, 0, v0
	v_and_b32_e32 v19, 3, v19
	v_cndmask_b32_e32 v0, v0, v20, vcc
	v_and_b32_sdwa v18, sext(v18), s54 dst_sel:DWORD dst_unused:UNUSED_PAD src0_sel:WORD_0 src1_sel:DWORD
	v_cndmask_b32_e32 v2, v2, v19, vcc
	v_lshl_add_u32 v0, v0, 23, v18
	v_lshl_or_b32 v0, v2, 21, v0
	v_add_u32_e32 v0, 0x38000000, v0
                                        ; implicit-def: $vgpr2
                                        ; implicit-def: $vgpr18
.LBB4_2408:                             ;   in Loop: Header=BB4_1836 Depth=2
	s_andn2_saveexec_b64 s[90:91], s[90:91]
; %bb.2409:                             ;   in Loop: Header=BB4_1836 Depth=2
	v_cmp_lt_i16_e32 vcc, -1, v18
	v_cndmask_b32_e32 v0, v5, v36, vcc
	v_cmp_eq_u32_e32 vcc, 0, v2
	v_cndmask_b32_e32 v0, v37, v0, vcc
; %bb.2410:                             ;   in Loop: Header=BB4_1836 Depth=2
	s_or_b64 exec, exec, s[90:91]
.LBB4_2411:                             ;   in Loop: Header=BB4_1836 Depth=2
	s_or_b64 exec, exec, s[88:89]
.LBB4_2412:                             ;   in Loop: Header=BB4_1836 Depth=2
	s_or_b64 exec, exec, s[20:21]
	v_mul_f32_e32 v0, v1, v0
	v_and_b32_e32 v1, 0x7f800000, v0
	v_mov_b32_e32 v2, v35
	v_cmp_ne_u64_e32 vcc, s[60:61], v[1:2]
	v_and_b32_e32 v34, 0x7fffff, v0
                                        ; implicit-def: $vgpr19
	s_and_saveexec_b64 s[20:21], vcc
	s_xor_b64 s[88:89], exec, s[20:21]
	s_cbranch_execz .LBB4_2430
; %bb.2413:                             ;   in Loop: Header=BB4_1836 Depth=2
	v_and_b32_e32 v1, 0x7fffffff, v0
	v_mov_b32_e32 v2, v35
	v_cmp_gt_u64_e32 vcc, s[62:63], v[1:2]
	v_and_b32_sdwa v18, v0, s55 dst_sel:DWORD dst_unused:UNUSED_PAD src0_sel:BYTE_3 src1_sel:DWORD
                                        ; implicit-def: $vgpr19
	s_and_saveexec_b64 s[20:21], vcc
	s_xor_b64 s[90:91], exec, s[20:21]
	s_cbranch_execz .LBB4_2427
; %bb.2414:                             ;   in Loop: Header=BB4_1836 Depth=2
	v_cmp_ne_u32_e32 vcc, 0, v0
	v_mov_b32_e32 v19, 0
	s_and_saveexec_b64 s[92:93], vcc
	s_cbranch_execz .LBB4_2426
; %bb.2415:                             ;   in Loop: Header=BB4_1836 Depth=2
	v_bfe_u32 v19, v0, 23, 8
	v_cmp_gt_u32_e64 s[20:21], s64, v19
	v_sub_u32_e32 v0, 0x71, v19
	v_cmp_eq_u32_e32 vcc, 0, v19
	v_cndmask_b32_e64 v0, 0, v0, s[20:21]
	v_mov_b32_e32 v2, 0x70
	v_cndmask_b32_e32 v20, v0, v2, vcc
	v_or_b32_e32 v1, 0x800000, v34
	v_add_u32_e32 v0, 21, v20
	v_cndmask_b32_e32 v34, v1, v34, vcc
	v_lshlrev_b64 v[0:1], v0, -1
	v_add_u32_e32 v2, 20, v20
	v_lshlrev_b64 v[51:52], v2, 1
	v_bfi_b32 v1, v1, 0, 0
	v_bfi_b32 v0, v0, 0, v34
	v_cmp_eq_u64_e64 s[20:21], v[0:1], v[51:52]
	v_lshrrev_b64 v[0:1], v20, v[34:35]
	v_mov_b32_e32 v2, v1
	v_mov_b32_e32 v1, v0
	s_and_saveexec_b64 s[94:95], s[20:21]
; %bb.2416:                             ;   in Loop: Header=BB4_1836 Depth=2
	v_bfe_u32 v1, v0, 21, 1
	v_add_co_u32_e64 v1, s[20:21], v0, v1
	v_add_co_u32_e64 v1, s[20:21], -1, v1
; %bb.2417:                             ;   in Loop: Header=BB4_1836 Depth=2
	s_or_b64 exec, exec, s[94:95]
	v_add_u32_e32 v2, 0xffffff81, v19
	v_mov_b32_e32 v19, 0xffffff82
	v_cndmask_b32_e32 v2, v2, v19, vcc
	v_lshrrev_b32_e32 v19, 23, v0
	v_add3_u32 v20, v20, v2, v19
	v_add_u32_e32 v19, 14, v20
	v_and_b32_e32 v1, 0x1fffff, v1
	v_add_u32_e32 v34, v1, v0
	v_cmp_ne_u32_e32 vcc, 0, v19
                                        ; implicit-def: $vgpr0_vgpr1
                                        ; implicit-def: $vgpr2
	s_and_saveexec_b64 s[20:21], vcc
	s_xor_b64 s[20:21], exec, s[20:21]
; %bb.2418:                             ;   in Loop: Header=BB4_1836 Depth=2
	v_cmp_lt_u64_e32 vcc, s[72:73], v[34:35]
	v_add_u32_e32 v0, 15, v20
	v_cndmask_b32_e32 v2, v19, v0, vcc
	v_cndmask_b32_e64 v0, 0, 1, vcc
	v_lshrrev_b64 v[0:1], v0, v[34:35]
; %bb.2419:                             ;   in Loop: Header=BB4_1836 Depth=2
	s_andn2_saveexec_b64 s[20:21], s[20:21]
; %bb.2420:                             ;   in Loop: Header=BB4_1836 Depth=2
	v_mov_b32_e32 v0, v34
	v_bfe_u32 v2, v34, 23, 1
	v_mov_b32_e32 v1, v35
; %bb.2421:                             ;   in Loop: Header=BB4_1836 Depth=2
	s_or_b64 exec, exec, s[20:21]
	v_lshrrev_b64 v[0:1], 21, v[0:1]
	v_cmp_gt_i32_e32 vcc, 32, v2
	v_cndmask_b32_e32 v1, 0, v1, vcc
	v_cndmask_b32_e32 v0, 3, v0, vcc
	v_cmp_ne_u64_e32 vcc, 0, v[0:1]
	v_cmp_ne_u32_e64 s[20:21], 0, v2
	s_or_b64 s[20:21], s[20:21], vcc
                                        ; implicit-def: $vgpr19
	s_and_saveexec_b64 s[94:95], s[20:21]
	s_xor_b64 s[20:21], exec, s[94:95]
; %bb.2422:                             ;   in Loop: Header=BB4_1836 Depth=2
	v_min_i32_e32 v1, 31, v2
	v_lshl_or_b32 v1, v1, 2, v18
	v_and_or_b32 v19, v0, 3, v1
                                        ; implicit-def: $vgpr18
; %bb.2423:                             ;   in Loop: Header=BB4_1836 Depth=2
	s_andn2_saveexec_b64 s[20:21], s[20:21]
; %bb.2424:                             ;   in Loop: Header=BB4_1836 Depth=2
	v_mov_b32_e32 v19, v18
; %bb.2425:                             ;   in Loop: Header=BB4_1836 Depth=2
	s_or_b64 exec, exec, s[20:21]
.LBB4_2426:                             ;   in Loop: Header=BB4_1836 Depth=2
	s_or_b64 exec, exec, s[92:93]
                                        ; implicit-def: $vgpr18
.LBB4_2427:                             ;   in Loop: Header=BB4_1836 Depth=2
	s_andn2_saveexec_b64 s[20:21], s[90:91]
; %bb.2428:                             ;   in Loop: Header=BB4_1836 Depth=2
	v_or_b32_e32 v19, 0x7b, v18
; %bb.2429:                             ;   in Loop: Header=BB4_1836 Depth=2
	s_or_b64 exec, exec, s[20:21]
                                        ; implicit-def: $vgpr0
.LBB4_2430:                             ;   in Loop: Header=BB4_1836 Depth=2
	s_andn2_saveexec_b64 s[20:21], s[88:89]
	s_cbranch_execz .LBB4_2436
; %bb.2431:                             ;   in Loop: Header=BB4_1836 Depth=2
	v_cmp_ne_u64_e32 vcc, 0, v[34:35]
                                        ; implicit-def: $vgpr19
	s_and_saveexec_b64 s[88:89], vcc
	s_xor_b64 s[88:89], exec, s[88:89]
; %bb.2432:                             ;   in Loop: Header=BB4_1836 Depth=2
	v_or_b32_sdwa v19, v0, s65 dst_sel:DWORD dst_unused:UNUSED_PAD src0_sel:BYTE_3 src1_sel:DWORD
                                        ; implicit-def: $vgpr0
; %bb.2433:                             ;   in Loop: Header=BB4_1836 Depth=2
	s_andn2_saveexec_b64 s[88:89], s[88:89]
; %bb.2434:                             ;   in Loop: Header=BB4_1836 Depth=2
	v_cmp_lt_i32_e32 vcc, -1, v0
	v_mov_b32_e32 v0, 0x7c
	v_cndmask_b32_e32 v19, -4, v0, vcc
; %bb.2435:                             ;   in Loop: Header=BB4_1836 Depth=2
	s_or_b64 exec, exec, s[88:89]
.LBB4_2436:                             ;   in Loop: Header=BB4_1836 Depth=2
	s_or_b64 exec, exec, s[20:21]
	v_cmp_ne_u16_e32 vcc, 0, v17
	v_mov_b32_e32 v0, 0
	v_mov_b32_e32 v1, 0
	s_and_saveexec_b64 s[20:21], vcc
	s_cbranch_execz .LBB4_2444
; %bb.2437:                             ;   in Loop: Header=BB4_1836 Depth=2
	v_cmp_ne_u16_e32 vcc, s52, v17
	v_bfrev_b32_e32 v1, 1
	s_and_saveexec_b64 s[88:89], vcc
	s_cbranch_execz .LBB4_2443
; %bb.2438:                             ;   in Loop: Header=BB4_1836 Depth=2
	v_and_b32_e32 v1, 0x7c, v17
	v_and_b32_e32 v2, 3, v17
	v_cmp_ne_u32_e32 vcc, s53, v1
                                        ; implicit-def: $vgpr1
	s_and_saveexec_b64 s[90:91], vcc
	s_xor_b64 s[90:91], exec, s[90:91]
	s_cbranch_execz .LBB4_2440
; %bb.2439:                             ;   in Loop: Header=BB4_1836 Depth=2
	v_ffbh_u32_e32 v20, v2
	v_min_u32_e32 v20, 32, v20
	v_and_b32_e32 v1, 0xff, v17
	v_mov_b32_e32 v18, v35
	v_subrev_u32_e32 v22, 29, v20
	v_bfe_u32 v1, v1, 2, 5
	v_lshlrev_b64 v[51:52], v22, v[17:18]
	v_sub_u32_e32 v18, 30, v20
	v_cmp_eq_u32_e32 vcc, 0, v1
	v_and_b32_e32 v20, 3, v51
	v_cndmask_b32_e32 v1, v1, v18, vcc
	v_and_b32_sdwa v17, sext(v17), s54 dst_sel:DWORD dst_unused:UNUSED_PAD src0_sel:WORD_0 src1_sel:DWORD
	v_cndmask_b32_e32 v2, v2, v20, vcc
	v_lshl_add_u32 v1, v1, 23, v17
	v_lshl_or_b32 v1, v2, 21, v1
	v_add_u32_e32 v1, 0x38000000, v1
                                        ; implicit-def: $vgpr2
                                        ; implicit-def: $vgpr17
.LBB4_2440:                             ;   in Loop: Header=BB4_1836 Depth=2
	s_andn2_saveexec_b64 s[90:91], s[90:91]
; %bb.2441:                             ;   in Loop: Header=BB4_1836 Depth=2
	v_cmp_lt_i16_e32 vcc, -1, v17
	v_cndmask_b32_e32 v1, v5, v36, vcc
	v_cmp_eq_u32_e32 vcc, 0, v2
	v_cndmask_b32_e32 v1, v37, v1, vcc
; %bb.2442:                             ;   in Loop: Header=BB4_1836 Depth=2
	s_or_b64 exec, exec, s[90:91]
.LBB4_2443:                             ;   in Loop: Header=BB4_1836 Depth=2
	s_or_b64 exec, exec, s[88:89]
.LBB4_2444:                             ;   in Loop: Header=BB4_1836 Depth=2
	s_or_b64 exec, exec, s[20:21]
	v_cmp_ne_u16_e32 vcc, 0, v16
	s_and_saveexec_b64 s[20:21], vcc
	s_cbranch_execz .LBB4_2452
; %bb.2445:                             ;   in Loop: Header=BB4_1836 Depth=2
	v_cmp_ne_u16_e32 vcc, s52, v16
	v_bfrev_b32_e32 v0, 1
	s_and_saveexec_b64 s[88:89], vcc
	s_cbranch_execz .LBB4_2451
; %bb.2446:                             ;   in Loop: Header=BB4_1836 Depth=2
	v_and_b32_e32 v0, 0x7c, v16
	v_and_b32_e32 v2, 3, v16
	v_cmp_ne_u32_e32 vcc, s53, v0
                                        ; implicit-def: $vgpr0
	s_and_saveexec_b64 s[90:91], vcc
	s_xor_b64 s[90:91], exec, s[90:91]
	s_cbranch_execz .LBB4_2448
; %bb.2447:                             ;   in Loop: Header=BB4_1836 Depth=2
	v_ffbh_u32_e32 v18, v2
	v_min_u32_e32 v20, 32, v18
	v_and_b32_e32 v0, 0xff, v16
	v_mov_b32_e32 v17, v35
	v_subrev_u32_e32 v18, 29, v20
	v_bfe_u32 v0, v0, 2, 5
	v_lshlrev_b64 v[17:18], v18, v[16:17]
	v_sub_u32_e32 v18, 30, v20
	v_cmp_eq_u32_e32 vcc, 0, v0
	v_and_b32_e32 v17, 3, v17
	v_cndmask_b32_e32 v0, v0, v18, vcc
	v_and_b32_sdwa v16, sext(v16), s54 dst_sel:DWORD dst_unused:UNUSED_PAD src0_sel:WORD_0 src1_sel:DWORD
	v_cndmask_b32_e32 v2, v2, v17, vcc
	v_lshl_add_u32 v0, v0, 23, v16
	v_lshl_or_b32 v0, v2, 21, v0
	v_add_u32_e32 v0, 0x38000000, v0
                                        ; implicit-def: $vgpr2
                                        ; implicit-def: $vgpr16
.LBB4_2448:                             ;   in Loop: Header=BB4_1836 Depth=2
	s_andn2_saveexec_b64 s[90:91], s[90:91]
; %bb.2449:                             ;   in Loop: Header=BB4_1836 Depth=2
	v_cmp_lt_i16_e32 vcc, -1, v16
	v_cndmask_b32_e32 v0, v5, v36, vcc
	v_cmp_eq_u32_e32 vcc, 0, v2
	v_cndmask_b32_e32 v0, v37, v0, vcc
; %bb.2450:                             ;   in Loop: Header=BB4_1836 Depth=2
	s_or_b64 exec, exec, s[90:91]
.LBB4_2451:                             ;   in Loop: Header=BB4_1836 Depth=2
	s_or_b64 exec, exec, s[88:89]
.LBB4_2452:                             ;   in Loop: Header=BB4_1836 Depth=2
	s_or_b64 exec, exec, s[20:21]
	v_mul_f32_e32 v0, v1, v0
	v_and_b32_e32 v1, 0x7f800000, v0
	v_mov_b32_e32 v2, v35
	v_cmp_ne_u64_e32 vcc, s[60:61], v[1:2]
	v_and_b32_e32 v34, 0x7fffff, v0
                                        ; implicit-def: $vgpr1
	s_and_saveexec_b64 s[20:21], vcc
	s_xor_b64 s[88:89], exec, s[20:21]
	s_cbranch_execz .LBB4_2470
; %bb.2453:                             ;   in Loop: Header=BB4_1836 Depth=2
	v_and_b32_e32 v1, 0x7fffffff, v0
	v_mov_b32_e32 v2, v35
	v_cmp_gt_u64_e32 vcc, s[62:63], v[1:2]
	v_and_b32_sdwa v16, v0, s55 dst_sel:DWORD dst_unused:UNUSED_PAD src0_sel:BYTE_3 src1_sel:DWORD
                                        ; implicit-def: $vgpr1
	s_and_saveexec_b64 s[20:21], vcc
	s_xor_b64 s[90:91], exec, s[20:21]
	s_cbranch_execz .LBB4_2467
; %bb.2454:                             ;   in Loop: Header=BB4_1836 Depth=2
	v_cmp_ne_u32_e32 vcc, 0, v0
	v_mov_b32_e32 v1, 0
	s_and_saveexec_b64 s[92:93], vcc
	s_cbranch_execz .LBB4_2466
; %bb.2455:                             ;   in Loop: Header=BB4_1836 Depth=2
	v_bfe_u32 v17, v0, 23, 8
	v_cmp_gt_u32_e64 s[20:21], s64, v17
	v_sub_u32_e32 v0, 0x71, v17
	v_cmp_eq_u32_e32 vcc, 0, v17
	v_cndmask_b32_e64 v0, 0, v0, s[20:21]
	v_mov_b32_e32 v2, 0x70
	v_cndmask_b32_e32 v18, v0, v2, vcc
	v_or_b32_e32 v1, 0x800000, v34
	v_add_u32_e32 v0, 21, v18
	v_cndmask_b32_e32 v34, v1, v34, vcc
	v_lshlrev_b64 v[0:1], v0, -1
	v_add_u32_e32 v2, 20, v18
	v_lshlrev_b64 v[51:52], v2, 1
	v_bfi_b32 v1, v1, 0, 0
	v_bfi_b32 v0, v0, 0, v34
	v_cmp_eq_u64_e64 s[20:21], v[0:1], v[51:52]
	v_lshrrev_b64 v[0:1], v18, v[34:35]
	v_mov_b32_e32 v2, v1
	v_mov_b32_e32 v1, v0
	s_and_saveexec_b64 s[94:95], s[20:21]
; %bb.2456:                             ;   in Loop: Header=BB4_1836 Depth=2
	v_bfe_u32 v1, v0, 21, 1
	v_add_co_u32_e64 v1, s[20:21], v0, v1
	v_add_co_u32_e64 v1, s[20:21], -1, v1
; %bb.2457:                             ;   in Loop: Header=BB4_1836 Depth=2
	s_or_b64 exec, exec, s[94:95]
	v_add_u32_e32 v2, 0xffffff81, v17
	v_mov_b32_e32 v17, 0xffffff82
	v_cndmask_b32_e32 v2, v2, v17, vcc
	v_lshrrev_b32_e32 v17, 23, v0
	v_add3_u32 v18, v18, v2, v17
	v_add_u32_e32 v17, 14, v18
	v_and_b32_e32 v1, 0x1fffff, v1
	v_add_u32_e32 v34, v1, v0
	v_cmp_ne_u32_e32 vcc, 0, v17
                                        ; implicit-def: $vgpr0_vgpr1
                                        ; implicit-def: $vgpr2
	s_and_saveexec_b64 s[20:21], vcc
	s_xor_b64 s[20:21], exec, s[20:21]
; %bb.2458:                             ;   in Loop: Header=BB4_1836 Depth=2
	v_cmp_lt_u64_e32 vcc, s[72:73], v[34:35]
	v_add_u32_e32 v0, 15, v18
	v_cndmask_b32_e32 v2, v17, v0, vcc
	v_cndmask_b32_e64 v0, 0, 1, vcc
	v_lshrrev_b64 v[0:1], v0, v[34:35]
; %bb.2459:                             ;   in Loop: Header=BB4_1836 Depth=2
	s_andn2_saveexec_b64 s[20:21], s[20:21]
; %bb.2460:                             ;   in Loop: Header=BB4_1836 Depth=2
	v_mov_b32_e32 v0, v34
	v_bfe_u32 v2, v34, 23, 1
	v_mov_b32_e32 v1, v35
; %bb.2461:                             ;   in Loop: Header=BB4_1836 Depth=2
	s_or_b64 exec, exec, s[20:21]
	v_lshrrev_b64 v[0:1], 21, v[0:1]
	v_cmp_gt_i32_e32 vcc, 32, v2
	v_cndmask_b32_e32 v1, 0, v1, vcc
	v_cndmask_b32_e32 v0, 3, v0, vcc
	v_cmp_ne_u64_e32 vcc, 0, v[0:1]
	v_cmp_ne_u32_e64 s[20:21], 0, v2
	s_or_b64 s[20:21], s[20:21], vcc
                                        ; implicit-def: $vgpr1
	s_and_saveexec_b64 s[94:95], s[20:21]
	s_xor_b64 s[20:21], exec, s[94:95]
; %bb.2462:                             ;   in Loop: Header=BB4_1836 Depth=2
	v_min_i32_e32 v1, 31, v2
	v_lshl_or_b32 v1, v1, 2, v16
	v_and_or_b32 v1, v0, 3, v1
                                        ; implicit-def: $vgpr16
; %bb.2463:                             ;   in Loop: Header=BB4_1836 Depth=2
	s_andn2_saveexec_b64 s[20:21], s[20:21]
; %bb.2464:                             ;   in Loop: Header=BB4_1836 Depth=2
	v_mov_b32_e32 v1, v16
; %bb.2465:                             ;   in Loop: Header=BB4_1836 Depth=2
	s_or_b64 exec, exec, s[20:21]
.LBB4_2466:                             ;   in Loop: Header=BB4_1836 Depth=2
	s_or_b64 exec, exec, s[92:93]
                                        ; implicit-def: $vgpr16
.LBB4_2467:                             ;   in Loop: Header=BB4_1836 Depth=2
	s_andn2_saveexec_b64 s[20:21], s[90:91]
; %bb.2468:                             ;   in Loop: Header=BB4_1836 Depth=2
	v_or_b32_e32 v1, 0x7b, v16
; %bb.2469:                             ;   in Loop: Header=BB4_1836 Depth=2
	s_or_b64 exec, exec, s[20:21]
                                        ; implicit-def: $vgpr0
.LBB4_2470:                             ;   in Loop: Header=BB4_1836 Depth=2
	s_andn2_saveexec_b64 s[20:21], s[88:89]
	s_cbranch_execz .LBB4_1835
; %bb.2471:                             ;   in Loop: Header=BB4_1836 Depth=2
	v_cmp_ne_u64_e32 vcc, 0, v[34:35]
                                        ; implicit-def: $vgpr1
	s_and_saveexec_b64 s[88:89], vcc
	s_xor_b64 s[88:89], exec, s[88:89]
; %bb.2472:                             ;   in Loop: Header=BB4_1836 Depth=2
	v_or_b32_sdwa v1, v0, s65 dst_sel:DWORD dst_unused:UNUSED_PAD src0_sel:BYTE_3 src1_sel:DWORD
                                        ; implicit-def: $vgpr0
; %bb.2473:                             ;   in Loop: Header=BB4_1836 Depth=2
	s_andn2_saveexec_b64 s[88:89], s[88:89]
	s_cbranch_execz .LBB4_1834
; %bb.2474:                             ;   in Loop: Header=BB4_1836 Depth=2
	v_cmp_lt_i32_e32 vcc, -1, v0
	v_mov_b32_e32 v0, 0x7c
	v_cndmask_b32_e32 v1, -4, v0, vcc
	s_branch .LBB4_1834
.LBB4_2475:                             ;   in Loop: Header=BB4_49 Depth=1
	s_or_b64 exec, exec, s[78:79]
	buffer_load_dword v44, off, s[0:3], s33 offset:180 ; 4-byte Folded Reload
	buffer_load_dword v60, off, s[0:3], s33 offset:168 ; 4-byte Folded Reload
	;; [unrolled: 1-line block ×12, first 2 shown]
	v_mov_b32_e32 v58, 1
	v_mov_b32_e32 v59, 0xc8
.LBB4_2476:                             ;   in Loop: Header=BB4_49 Depth=1
	s_or_b64 exec, exec, s[24:25]
	s_waitcnt vmcnt(0)
	v_and_b32_e32 v0, 0xfffffc00, v11
	v_cmp_ne_u32_e32 vcc, v11, v0
	s_and_b64 exec, exec, vcc
	s_cbranch_execz .LBB4_2520
; %bb.2477:                             ;   in Loop: Header=BB4_49 Depth=1
	v_add_u32_e32 v1, v12, v1
	v_and_b32_e32 v1, 0xffffffc0, v1
	v_sub_u32_e32 v1, v12, v1
	v_lshlrev_b32_e32 v2, 6, v4
	v_sub_u32_e32 v1, v1, v2
	v_and_b32_e32 v2, 0x3ff, v11
	v_sub_u32_e32 v4, v2, v1
	v_cmp_lt_i32_e32 vcc, 0, v4
	s_and_b64 exec, exec, vcc
	s_cbranch_execz .LBB4_2520
; %bb.2478:                             ;   in Loop: Header=BB4_49 Depth=1
	v_add3_u32 v12, v0, v10, v1
	s_trap 2
	ds_read_b128 v[0:3], v0
	v_ashrrev_i32_e32 v13, 31, v12
	s_mov_b64 s[24:25], 0
	s_waitcnt lgkmcnt(0)
	v_add_co_u32_e32 v0, vcc, v0, v12
	ds_read_b64 v[10:11], v0
	v_addc_co_u32_e32 v1, vcc, v1, v13, vcc
	v_add_co_u32_e32 v2, vcc, v2, v12
	v_addc_co_u32_e32 v3, vcc, v3, v13, vcc
	s_waitcnt lgkmcnt(0)
	v_add_co_u32_e32 v10, vcc, v10, v12
	v_addc_co_u32_e32 v11, vcc, v11, v13, vcc
	s_branch .LBB4_2481
.LBB4_2479:                             ;   in Loop: Header=BB4_2481 Depth=2
	s_or_b64 exec, exec, s[78:79]
.LBB4_2480:                             ;   in Loop: Header=BB4_2481 Depth=2
	s_or_b64 exec, exec, s[20:21]
	v_add_co_u32_e32 v0, vcc, v0, v57
	v_addc_co_u32_e32 v1, vcc, 0, v1, vcc
	v_add_co_u32_e32 v2, vcc, v2, v57
	v_addc_co_u32_e32 v3, vcc, 0, v3, vcc
	v_sub_u32_e32 v4, v4, v57
	v_cmp_gt_i32_e32 vcc, 1, v4
	flat_store_byte v[10:11], v13 glc slc
	s_or_b64 s[24:25], vcc, s[24:25]
	v_add_co_u32_e32 v10, vcc, v10, v57
	v_addc_co_u32_e32 v11, vcc, 0, v11, vcc
	s_andn2_b64 exec, exec, s[24:25]
	s_cbranch_execz .LBB4_2520
.LBB4_2481:                             ;   Parent Loop BB4_49 Depth=1
                                        ; =>  This Inner Loop Header: Depth=2
	flat_load_sbyte v34, v[0:1] glc slc
	flat_load_sbyte v12, v[2:3] glc slc
	v_mov_b32_e32 v13, 0
	v_mov_b32_e32 v14, 0
	s_waitcnt vmcnt(0) lgkmcnt(0)
	v_cmp_ne_u16_e32 vcc, 0, v34
	s_and_saveexec_b64 s[20:21], vcc
	s_cbranch_execz .LBB4_2489
; %bb.2482:                             ;   in Loop: Header=BB4_2481 Depth=2
	v_cmp_ne_u16_e32 vcc, s52, v34
	v_bfrev_b32_e32 v14, 1
	s_and_saveexec_b64 s[78:79], vcc
	s_cbranch_execz .LBB4_2488
; %bb.2483:                             ;   in Loop: Header=BB4_2481 Depth=2
	v_and_b32_e32 v14, 0x7c, v34
	v_and_b32_e32 v15, 3, v34
	v_cmp_ne_u32_e32 vcc, s53, v14
                                        ; implicit-def: $vgpr14
	s_and_saveexec_b64 s[88:89], vcc
	s_xor_b64 s[88:89], exec, s[88:89]
	s_cbranch_execz .LBB4_2485
; %bb.2484:                             ;   in Loop: Header=BB4_2481 Depth=2
	v_ffbh_u32_e32 v16, v15
	v_min_u32_e32 v18, 32, v16
	v_subrev_u32_e32 v16, 29, v18
	v_and_b32_e32 v14, 0xff, v34
	v_lshlrev_b64 v[16:17], v16, v[34:35]
	v_bfe_u32 v14, v14, 2, 5
	v_sub_u32_e32 v17, 30, v18
	v_and_b32_e32 v16, 3, v16
	v_cmp_eq_u32_e32 vcc, 0, v14
	v_cndmask_b32_e32 v14, v14, v17, vcc
	v_cndmask_b32_e32 v15, v15, v16, vcc
	v_and_b32_sdwa v16, sext(v34), s54 dst_sel:DWORD dst_unused:UNUSED_PAD src0_sel:WORD_0 src1_sel:DWORD
	v_lshl_add_u32 v14, v14, 23, v16
	v_lshl_or_b32 v14, v15, 21, v14
	v_add_u32_e32 v14, 0x38000000, v14
                                        ; implicit-def: $vgpr15
.LBB4_2485:                             ;   in Loop: Header=BB4_2481 Depth=2
	s_andn2_saveexec_b64 s[88:89], s[88:89]
; %bb.2486:                             ;   in Loop: Header=BB4_2481 Depth=2
	v_cmp_lt_i16_e32 vcc, -1, v34
	v_cndmask_b32_e32 v14, v5, v36, vcc
	v_cmp_eq_u32_e32 vcc, 0, v15
	v_cndmask_b32_e32 v14, v37, v14, vcc
; %bb.2487:                             ;   in Loop: Header=BB4_2481 Depth=2
	s_or_b64 exec, exec, s[88:89]
.LBB4_2488:                             ;   in Loop: Header=BB4_2481 Depth=2
	s_or_b64 exec, exec, s[78:79]
.LBB4_2489:                             ;   in Loop: Header=BB4_2481 Depth=2
	s_or_b64 exec, exec, s[20:21]
	v_cmp_ne_u16_e32 vcc, 0, v12
	s_and_saveexec_b64 s[20:21], vcc
	s_cbranch_execz .LBB4_2497
; %bb.2490:                             ;   in Loop: Header=BB4_2481 Depth=2
	v_cmp_ne_u16_e32 vcc, s52, v12
	v_bfrev_b32_e32 v13, 1
	s_and_saveexec_b64 s[78:79], vcc
	s_cbranch_execz .LBB4_2496
; %bb.2491:                             ;   in Loop: Header=BB4_2481 Depth=2
	v_and_b32_e32 v13, 0x7c, v12
	v_and_b32_e32 v15, 3, v12
	v_cmp_ne_u32_e32 vcc, s53, v13
                                        ; implicit-def: $vgpr13
	s_and_saveexec_b64 s[88:89], vcc
	s_xor_b64 s[88:89], exec, s[88:89]
	s_cbranch_execz .LBB4_2493
; %bb.2492:                             ;   in Loop: Header=BB4_2481 Depth=2
	v_ffbh_u32_e32 v18, v15
	v_and_b32_e32 v13, 0xff, v12
	v_min_u32_e32 v18, 32, v18
	v_bfe_u32 v16, v13, 2, 5
	v_mov_b32_e32 v13, v35
	v_subrev_u32_e32 v19, 29, v18
	v_and_b32_sdwa v17, sext(v12), s54 dst_sel:DWORD dst_unused:UNUSED_PAD src0_sel:WORD_0 src1_sel:DWORD
	v_lshlrev_b64 v[12:13], v19, v[12:13]
	v_sub_u32_e32 v13, 30, v18
	v_cmp_eq_u32_e32 vcc, 0, v16
	v_and_b32_e32 v12, 3, v12
	v_cndmask_b32_e32 v13, v16, v13, vcc
	v_cndmask_b32_e32 v12, v15, v12, vcc
	v_lshl_add_u32 v13, v13, 23, v17
	v_lshl_or_b32 v12, v12, 21, v13
	v_add_u32_e32 v13, 0x38000000, v12
                                        ; implicit-def: $vgpr12
                                        ; implicit-def: $vgpr15
.LBB4_2493:                             ;   in Loop: Header=BB4_2481 Depth=2
	s_andn2_saveexec_b64 s[88:89], s[88:89]
; %bb.2494:                             ;   in Loop: Header=BB4_2481 Depth=2
	v_cmp_lt_i16_e32 vcc, -1, v12
	v_cndmask_b32_e32 v12, v5, v36, vcc
	v_cmp_eq_u32_e32 vcc, 0, v15
	v_cndmask_b32_e32 v13, v37, v12, vcc
; %bb.2495:                             ;   in Loop: Header=BB4_2481 Depth=2
	s_or_b64 exec, exec, s[88:89]
.LBB4_2496:                             ;   in Loop: Header=BB4_2481 Depth=2
	s_or_b64 exec, exec, s[78:79]
.LBB4_2497:                             ;   in Loop: Header=BB4_2481 Depth=2
	s_or_b64 exec, exec, s[20:21]
	v_mul_f32_e32 v12, v14, v13
	v_and_b32_e32 v13, 0x7f800000, v12
	v_mov_b32_e32 v14, v35
	v_cmp_ne_u64_e32 vcc, s[60:61], v[13:14]
	v_and_b32_e32 v34, 0x7fffff, v12
                                        ; implicit-def: $vgpr13
	s_and_saveexec_b64 s[20:21], vcc
	s_xor_b64 s[78:79], exec, s[20:21]
	s_cbranch_execz .LBB4_2515
; %bb.2498:                             ;   in Loop: Header=BB4_2481 Depth=2
	v_and_b32_e32 v13, 0x7fffffff, v12
	v_mov_b32_e32 v14, v35
	v_cmp_gt_u64_e32 vcc, s[62:63], v[13:14]
	v_and_b32_sdwa v15, v12, s55 dst_sel:DWORD dst_unused:UNUSED_PAD src0_sel:BYTE_3 src1_sel:DWORD
                                        ; implicit-def: $vgpr13
	s_and_saveexec_b64 s[20:21], vcc
	s_xor_b64 s[88:89], exec, s[20:21]
	s_cbranch_execz .LBB4_2512
; %bb.2499:                             ;   in Loop: Header=BB4_2481 Depth=2
	v_cmp_ne_u32_e32 vcc, 0, v12
	v_mov_b32_e32 v13, 0
	s_and_saveexec_b64 s[90:91], vcc
	s_cbranch_execz .LBB4_2511
; %bb.2500:                             ;   in Loop: Header=BB4_2481 Depth=2
	v_bfe_u32 v16, v12, 23, 8
	v_cmp_gt_u32_e64 s[20:21], s64, v16
	v_sub_u32_e32 v12, 0x71, v16
	v_cmp_eq_u32_e32 vcc, 0, v16
	v_cndmask_b32_e64 v12, 0, v12, s[20:21]
	v_mov_b32_e32 v14, 0x70
	v_cndmask_b32_e32 v17, v12, v14, vcc
	v_or_b32_e32 v13, 0x800000, v34
	v_add_u32_e32 v12, 21, v17
	v_cndmask_b32_e32 v34, v13, v34, vcc
	v_lshlrev_b64 v[12:13], v12, -1
	v_add_u32_e32 v14, 20, v17
	v_lshlrev_b64 v[18:19], v14, 1
	v_bfi_b32 v13, v13, 0, 0
	v_bfi_b32 v12, v12, 0, v34
	v_cmp_eq_u64_e64 s[20:21], v[12:13], v[18:19]
	v_lshrrev_b64 v[12:13], v17, v[34:35]
	v_mov_b32_e32 v14, v13
	v_mov_b32_e32 v13, v12
	s_and_saveexec_b64 s[92:93], s[20:21]
; %bb.2501:                             ;   in Loop: Header=BB4_2481 Depth=2
	v_bfe_u32 v13, v12, 21, 1
	v_add_co_u32_e64 v13, s[20:21], v12, v13
	v_add_co_u32_e64 v13, s[20:21], -1, v13
; %bb.2502:                             ;   in Loop: Header=BB4_2481 Depth=2
	s_or_b64 exec, exec, s[92:93]
	v_add_u32_e32 v14, 0xffffff81, v16
	v_mov_b32_e32 v16, 0xffffff82
	v_cndmask_b32_e32 v14, v14, v16, vcc
	v_lshrrev_b32_e32 v16, 23, v12
	v_add3_u32 v17, v17, v14, v16
	v_add_u32_e32 v16, 14, v17
	v_and_b32_e32 v13, 0x1fffff, v13
	v_add_u32_e32 v34, v13, v12
	v_cmp_ne_u32_e32 vcc, 0, v16
                                        ; implicit-def: $vgpr12_vgpr13
                                        ; implicit-def: $vgpr14
	s_and_saveexec_b64 s[20:21], vcc
	s_xor_b64 s[20:21], exec, s[20:21]
; %bb.2503:                             ;   in Loop: Header=BB4_2481 Depth=2
	v_cmp_lt_u64_e32 vcc, s[72:73], v[34:35]
	v_add_u32_e32 v12, 15, v17
	v_cndmask_b32_e32 v14, v16, v12, vcc
	v_cndmask_b32_e64 v12, 0, 1, vcc
	v_lshrrev_b64 v[12:13], v12, v[34:35]
; %bb.2504:                             ;   in Loop: Header=BB4_2481 Depth=2
	s_andn2_saveexec_b64 s[20:21], s[20:21]
; %bb.2505:                             ;   in Loop: Header=BB4_2481 Depth=2
	v_mov_b32_e32 v12, v34
	v_bfe_u32 v14, v34, 23, 1
	v_mov_b32_e32 v13, v35
; %bb.2506:                             ;   in Loop: Header=BB4_2481 Depth=2
	s_or_b64 exec, exec, s[20:21]
	v_lshrrev_b64 v[12:13], 21, v[12:13]
	v_cmp_gt_i32_e32 vcc, 32, v14
	v_cndmask_b32_e32 v13, 0, v13, vcc
	v_cndmask_b32_e32 v12, 3, v12, vcc
	v_cmp_ne_u64_e32 vcc, 0, v[12:13]
	v_cmp_ne_u32_e64 s[20:21], 0, v14
	s_or_b64 s[20:21], s[20:21], vcc
                                        ; implicit-def: $vgpr13
	s_and_saveexec_b64 s[92:93], s[20:21]
	s_xor_b64 s[20:21], exec, s[92:93]
; %bb.2507:                             ;   in Loop: Header=BB4_2481 Depth=2
	v_min_i32_e32 v13, 31, v14
	v_lshl_or_b32 v13, v13, 2, v15
	v_and_or_b32 v13, v12, 3, v13
                                        ; implicit-def: $vgpr15
; %bb.2508:                             ;   in Loop: Header=BB4_2481 Depth=2
	s_andn2_saveexec_b64 s[20:21], s[20:21]
; %bb.2509:                             ;   in Loop: Header=BB4_2481 Depth=2
	v_mov_b32_e32 v13, v15
; %bb.2510:                             ;   in Loop: Header=BB4_2481 Depth=2
	s_or_b64 exec, exec, s[20:21]
.LBB4_2511:                             ;   in Loop: Header=BB4_2481 Depth=2
	s_or_b64 exec, exec, s[90:91]
                                        ; implicit-def: $vgpr15
.LBB4_2512:                             ;   in Loop: Header=BB4_2481 Depth=2
	s_andn2_saveexec_b64 s[20:21], s[88:89]
; %bb.2513:                             ;   in Loop: Header=BB4_2481 Depth=2
	v_or_b32_e32 v13, 0x7b, v15
; %bb.2514:                             ;   in Loop: Header=BB4_2481 Depth=2
	s_or_b64 exec, exec, s[20:21]
                                        ; implicit-def: $vgpr12
.LBB4_2515:                             ;   in Loop: Header=BB4_2481 Depth=2
	s_andn2_saveexec_b64 s[20:21], s[78:79]
	s_cbranch_execz .LBB4_2480
; %bb.2516:                             ;   in Loop: Header=BB4_2481 Depth=2
	v_cmp_ne_u64_e32 vcc, 0, v[34:35]
                                        ; implicit-def: $vgpr13
	s_and_saveexec_b64 s[78:79], vcc
	s_xor_b64 s[78:79], exec, s[78:79]
; %bb.2517:                             ;   in Loop: Header=BB4_2481 Depth=2
	v_or_b32_sdwa v13, v12, s65 dst_sel:DWORD dst_unused:UNUSED_PAD src0_sel:BYTE_3 src1_sel:DWORD
                                        ; implicit-def: $vgpr12
; %bb.2518:                             ;   in Loop: Header=BB4_2481 Depth=2
	s_andn2_saveexec_b64 s[78:79], s[78:79]
	s_cbranch_execz .LBB4_2479
; %bb.2519:                             ;   in Loop: Header=BB4_2481 Depth=2
	v_cmp_lt_i32_e32 vcc, -1, v12
	v_mov_b32_e32 v12, 0x7c
	v_cndmask_b32_e32 v13, -4, v12, vcc
	s_branch .LBB4_2479
.LBB4_2520:                             ;   in Loop: Header=BB4_49 Depth=1
	s_or_b64 exec, exec, s[22:23]
	buffer_load_dword v0, off, s[0:3], s33 offset:148 ; 4-byte Folded Reload
	s_waitcnt vmcnt(0)
	v_cmp_ne_u32_e64 s[20:21], 0, v0
	s_and_saveexec_b64 s[22:23], s[10:11]
	s_cbranch_execz .LBB4_2539
.LBB4_2521:                             ;   in Loop: Header=BB4_49 Depth=1
	s_and_saveexec_b64 s[24:25], s[44:45]
	s_xor_b64 s[24:25], exec, s[24:25]
	s_cbranch_execz .LBB4_2536
; %bb.2522:                             ;   in Loop: Header=BB4_49 Depth=1
	s_and_saveexec_b64 s[78:79], s[12:13]
	s_cbranch_execz .LBB4_2535
; %bb.2523:                             ;   in Loop: Header=BB4_49 Depth=1
	s_mov_b64 s[90:91], exec
	v_mbcnt_lo_u32_b32 v0, s90, 0
	v_mbcnt_hi_u32_b32 v0, s91, v0
	v_cmp_eq_u32_e32 vcc, 0, v0
	s_waitcnt vmcnt(0) lgkmcnt(0)
	buffer_wbinvl1_vol
	s_and_saveexec_b64 s[88:89], vcc
	s_cbranch_execz .LBB4_2525
; %bb.2524:                             ;   in Loop: Header=BB4_49 Depth=1
	s_bcnt1_i32_b64 s90, s[90:91]
	v_mov_b32_e32 v34, s90
	ds_add_u64 v0, v[34:35]
	s_trap 2
.LBB4_2525:                             ;   in Loop: Header=BB4_49 Depth=1
	s_or_b64 exec, exec, s[88:89]
	s_trap 2
	ds_read_b64 v[0:1], v0
	s_waitcnt lgkmcnt(0)
	buffer_load_dword v2, off, s[0:3], s33 offset:60 ; 4-byte Folded Reload
	buffer_load_dword v3, off, s[0:3], s33 offset:64 ; 4-byte Folded Reload
	;; [unrolled: 1-line block ×3, first 2 shown]
	s_waitcnt vmcnt(0)
	v_add_co_u32_e32 v2, vcc, v2, v4
	v_addc_co_u32_e32 v3, vcc, 0, v3, vcc
	buffer_store_dword v2, off, s[0:3], s33 offset:60 ; 4-byte Folded Spill
	s_nop 0
	buffer_store_dword v3, off, s[0:3], s33 offset:64 ; 4-byte Folded Spill
	v_cmp_lt_u64_e32 vcc, v[0:1], v[2:3]
	s_and_saveexec_b64 s[88:89], vcc
	s_cbranch_execz .LBB4_2534
; %bb.2526:                             ;   in Loop: Header=BB4_49 Depth=1
	s_mov_b32 s36, 0
	s_mov_b64 s[90:91], 0
                                        ; implicit-def: $sgpr92_sgpr93
                                        ; implicit-def: $sgpr94_sgpr95
	s_branch .LBB4_2528
.LBB4_2527:                             ;   in Loop: Header=BB4_2528 Depth=2
	s_or_b64 exec, exec, s[34:35]
	s_and_b64 vcc, exec, vcc
	s_or_b64 s[90:91], vcc, s[90:91]
	s_andn2_b64 s[92:93], s[92:93], exec
	s_and_b64 vcc, s[94:95], exec
	s_or_b64 s[92:93], s[92:93], vcc
	s_andn2_b64 exec, exec, s[90:91]
	s_cbranch_execz .LBB4_2532
.LBB4_2528:                             ;   Parent Loop BB4_49 Depth=1
                                        ; =>  This Inner Loop Header: Depth=2
	s_add_i32 s36, s36, 1
	s_cmpk_lg_i32 s36, 0x2710
	s_cselect_b64 s[30:31], -1, 0
	s_and_b64 vcc, exec, s[30:31]
	s_cbranch_vccz .LBB4_2530
; %bb.2529:                             ;   in Loop: Header=BB4_2528 Depth=2
	s_mov_b64 vcc, -1
	s_or_b64 s[94:95], s[94:95], exec
	s_and_saveexec_b64 s[34:35], s[30:31]
	s_cbranch_execz .LBB4_2527
	s_branch .LBB4_2531
.LBB4_2530:                             ;   in Loop: Header=BB4_2528 Depth=2
	s_trap 2
	ds_read_b64 v[0:1], v0
	s_andn2_b64 s[30:31], s[30:31], exec
	s_mov_b32 s36, 0
	s_waitcnt vmcnt(0) lgkmcnt(0)
	flat_load_dword v0, v[0:1] glc
	s_waitcnt vmcnt(0) lgkmcnt(0)
	buffer_wbinvl1_vol
	v_cmp_eq_u32_e32 vcc, 0, v0
	s_and_b64 vcc, vcc, exec
	s_or_b64 s[30:31], s[30:31], vcc
	s_mov_b64 vcc, -1
	s_or_b64 s[94:95], s[94:95], exec
	s_and_saveexec_b64 s[34:35], s[30:31]
	s_cbranch_execz .LBB4_2527
.LBB4_2531:                             ;   in Loop: Header=BB4_2528 Depth=2
	s_sleep 1
	s_trap 2
	ds_read_b64 v[0:1], v0
	s_waitcnt lgkmcnt(0)
	buffer_load_dword v2, off, s[0:3], s33 offset:60 ; 4-byte Folded Reload
	buffer_load_dword v3, off, s[0:3], s33 offset:64 ; 4-byte Folded Reload
	s_andn2_b64 s[94:95], s[94:95], exec
	s_waitcnt vmcnt(0)
	v_cmp_ge_u64_e32 vcc, v[0:1], v[2:3]
	s_orn2_b64 vcc, vcc, exec
	s_branch .LBB4_2527
.LBB4_2532:                             ;   in Loop: Header=BB4_49 Depth=1
	s_or_b64 exec, exec, s[90:91]
	s_and_saveexec_b64 s[90:91], s[92:93]
	s_xor_b64 s[90:91], exec, s[90:91]
	s_cbranch_execz .LBB4_2534
; %bb.2533:                             ;   in Loop: Header=BB4_49 Depth=1
	ds_write_b32 v0, v58
	s_trap 2
.LBB4_2534:                             ;   in Loop: Header=BB4_49 Depth=1
	s_or_b64 exec, exec, s[88:89]
	;;#ASMSTART
	s_wakeup
	;;#ASMEND
.LBB4_2535:                             ;   in Loop: Header=BB4_49 Depth=1
	s_or_b64 exec, exec, s[78:79]
.LBB4_2536:                             ;   in Loop: Header=BB4_49 Depth=1
	s_andn2_saveexec_b64 s[24:25], s[24:25]
	s_cbranch_execz .LBB4_2538
; %bb.2537:                             ;   in Loop: Header=BB4_49 Depth=1
	s_waitcnt vmcnt(0) lgkmcnt(0)
	buffer_wbinvl1_vol
	s_barrier
.LBB4_2538:                             ;   in Loop: Header=BB4_49 Depth=1
	s_or_b64 exec, exec, s[24:25]
.LBB4_2539:                             ;   in Loop: Header=BB4_49 Depth=1
	s_or_b64 exec, exec, s[22:23]
	v_and_b32_e32 v0, 16, v56
	v_cmp_ne_u32_e32 vcc, 0, v0
	s_and_b64 s[22:23], vcc, s[20:21]
	s_and_saveexec_b64 s[20:21], s[22:23]
	s_cbranch_execz .LBB4_2541
; %bb.2540:                             ;   in Loop: Header=BB4_49 Depth=1
	s_waitcnt vmcnt(0) lgkmcnt(0)
	buffer_wbinvl1_vol
.LBB4_2541:                             ;   in Loop: Header=BB4_49 Depth=1
	s_or_b64 exec, exec, s[20:21]
	v_cmp_ne_u32_e32 vcc, 0, v0
	s_xor_b64 s[20:21], s[18:19], -1
	s_and_b64 s[22:23], vcc, s[20:21]
	s_and_saveexec_b64 s[20:21], s[22:23]
	s_cbranch_execz .LBB4_2543
; %bb.2542:                             ;   in Loop: Header=BB4_49 Depth=1
	buffer_load_dword v0, off, s[0:3], s33 offset:136 ; 4-byte Folded Reload
	buffer_load_dword v1, off, s[0:3], s33 offset:140 ; 4-byte Folded Reload
	s_waitcnt vmcnt(0)
	flat_store_dword v[0:1], v58
.LBB4_2543:                             ;   in Loop: Header=BB4_49 Depth=1
	s_or_b64 exec, exec, s[20:21]
	v_and_b32_e32 v0, 48, v56
	v_cmp_ne_u32_e32 vcc, 0, v0
	s_and_saveexec_b64 s[20:21], vcc
	s_cbranch_execz .LBB4_2545
; %bb.2544:                             ;   in Loop: Header=BB4_49 Depth=1
	v_add_co_u32_e32 v8, vcc, 1, v8
	v_addc_co_u32_e32 v9, vcc, 0, v9, vcc
	flat_store_dwordx2 v[32:33], v[8:9]
.LBB4_2545:                             ;   in Loop: Header=BB4_49 Depth=1
	s_or_b64 exec, exec, s[20:21]
	buffer_load_dword v0, off, s[0:3], s33 offset:72 ; 4-byte Folded Reload
	buffer_load_dword v1, off, s[0:3], s33 offset:76 ; 4-byte Folded Reload
.LBB4_2546:                             ;   in Loop: Header=BB4_49 Depth=1
	s_or_b64 exec, exec, s[76:77]
	s_and_saveexec_b64 s[22:23], s[74:75]
	s_cbranch_execz .LBB4_48
; %bb.2547:                             ;   in Loop: Header=BB4_49 Depth=1
	buffer_load_dword v1, off, s[0:3], s33 offset:112 ; 4-byte Folded Reload
	buffer_load_dword v2, off, s[0:3], s33 offset:116 ; 4-byte Folded Reload
	s_waitcnt vmcnt(0)
	v_sub_u32_e32 v0, v1, v0
	buffer_load_dword v1, off, s[0:3], s33 offset:72 ; 4-byte Folded Reload
	buffer_load_dword v2, off, s[0:3], s33 offset:76 ; 4-byte Folded Reload
	s_waitcnt vmcnt(0)
	v_min_i32_e32 v0, v1, v0
	v_and_b32_e32 v1, 12, v56
	v_cmp_ne_u32_e32 vcc, 0, v1
	s_and_saveexec_b64 s[24:25], vcc
	s_cbranch_execz .LBB4_2571
; %bb.2548:                             ;   in Loop: Header=BB4_49 Depth=1
	v_and_b32_e32 v4, 8, v56
	v_add_co_u32_e32 v10, vcc, v38, v4
	v_addc_co_u32_e32 v11, vcc, 0, v39, vcc
	s_waitcnt lgkmcnt(0)
	v_add_co_u32_e32 v2, vcc, 1, v8
	v_addc_co_u32_e32 v3, vcc, 0, v9, vcc
	v_cmp_lt_u64_e32 vcc, v[10:11], v[2:3]
	s_and_saveexec_b64 s[74:75], vcc
	s_cbranch_execz .LBB4_2560
; %bb.2549:                             ;   in Loop: Header=BB4_49 Depth=1
	v_and_b32_e32 v1, 64, v56
	s_mov_b32 s38, 0
	v_cmp_eq_u32_e32 vcc, 0, v1
	s_mov_b64 s[76:77], 0
                                        ; implicit-def: $sgpr78_sgpr79
                                        ; implicit-def: $sgpr88_sgpr89
                                        ; implicit-def: $sgpr90_sgpr91
	s_branch .LBB4_2553
.LBB4_2550:                             ;   in Loop: Header=BB4_2553 Depth=2
	s_waitcnt vmcnt(0) lgkmcnt(0)
	v_add_co_u32_e64 v9, s[20:21], v38, v4
	v_addc_co_u32_e64 v10, s[20:21], 0, v39, s[20:21]
	v_cmp_ge_u64_e64 s[20:21], v[9:10], v[2:3]
	s_or_b64 s[30:31], s[30:31], exec
	s_orn2_b64 s[94:95], s[20:21], exec
.LBB4_2551:                             ;   in Loop: Header=BB4_2553 Depth=2
	s_or_b64 exec, exec, s[36:37]
	s_andn2_b64 s[20:21], s[90:91], exec
	s_and_b64 s[90:91], s[30:31], exec
	s_or_b64 s[90:91], s[20:21], s[90:91]
	s_andn2_b64 s[20:21], s[88:89], exec
	s_and_b64 s[88:89], s[94:95], exec
	s_or_b64 s[88:89], s[20:21], s[88:89]
.LBB4_2552:                             ;   in Loop: Header=BB4_2553 Depth=2
	s_or_b64 exec, exec, s[92:93]
	s_and_b64 s[20:21], exec, s[88:89]
	s_or_b64 s[76:77], s[20:21], s[76:77]
	s_andn2_b64 s[20:21], s[78:79], exec
	s_and_b64 s[78:79], s[90:91], exec
	s_or_b64 s[78:79], s[20:21], s[78:79]
	s_andn2_b64 exec, exec, s[76:77]
	s_cbranch_execz .LBB4_2557
.LBB4_2553:                             ;   Parent Loop BB4_49 Depth=1
                                        ; =>  This Inner Loop Header: Depth=2
	s_sleep 1
	s_waitcnt vmcnt(0) lgkmcnt(0)
	flat_load_dwordx2 v[38:39], v[32:33] glc
	s_or_b64 s[90:91], s[90:91], exec
	s_or_b64 s[88:89], s[88:89], exec
                                        ; implicit-def: $vgpr1
	s_and_saveexec_b64 s[92:93], vcc
	s_cbranch_execz .LBB4_2552
; %bb.2554:                             ;   in Loop: Header=BB4_2553 Depth=2
	s_cmpk_lt_i32 s38, 0x270f
	s_cselect_b64 s[34:35], -1, 0
	s_cmpk_gt_i32 s38, 0x270e
	s_mov_b64 s[94:95], -1
	s_cbranch_scc0 .LBB4_2556
; %bb.2555:                             ;   in Loop: Header=BB4_2553 Depth=2
	s_trap 2
	ds_read_b64 v[9:10], v0
	s_andn2_b64 s[34:35], s[34:35], exec
	s_mov_b32 s38, 0
	s_mov_b64 s[30:31], 0
	s_waitcnt vmcnt(0) lgkmcnt(0)
	flat_load_dword v1, v[9:10] glc
	s_waitcnt vmcnt(0) lgkmcnt(0)
	buffer_wbinvl1_vol
	v_cmp_eq_u32_e64 s[20:21], 0, v1
	s_and_b64 s[20:21], s[20:21], exec
	s_or_b64 s[34:35], s[34:35], s[20:21]
	s_and_saveexec_b64 s[36:37], s[34:35]
	s_cbranch_execz .LBB4_2551
	s_branch .LBB4_2550
.LBB4_2556:                             ;   in Loop: Header=BB4_2553 Depth=2
	s_add_i32 s38, s38, 1
	s_mov_b64 s[30:31], -1
                                        ; implicit-def: $vgpr1
	s_and_saveexec_b64 s[36:37], s[34:35]
	s_cbranch_execz .LBB4_2551
	s_branch .LBB4_2550
.LBB4_2557:                             ;   in Loop: Header=BB4_49 Depth=1
	s_or_b64 exec, exec, s[76:77]
	s_xor_b64 s[20:21], s[78:79], -1
	s_and_saveexec_b64 s[76:77], s[20:21]
	s_xor_b64 s[20:21], exec, s[76:77]
	s_cbranch_execz .LBB4_2559
; %bb.2558:                             ;   in Loop: Header=BB4_49 Depth=1
	v_or_b32_e32 v56, 64, v56
	s_waitcnt lgkmcnt(0)
	ds_write_b32 v0, v1
	s_trap 2
.LBB4_2559:                             ;   in Loop: Header=BB4_49 Depth=1
	s_or_b64 exec, exec, s[20:21]
.LBB4_2560:                             ;   in Loop: Header=BB4_49 Depth=1
	s_or_b64 exec, exec, s[74:75]
	v_and_b32_e32 v1, 0x108, v56
	v_cmp_ne_u32_e32 vcc, s51, v1
	v_and_b32_e32 v12, 7, v8
	;;#ASMSTART
	s_wakeup
	;;#ASMEND
	s_and_saveexec_b64 s[20:21], vcc
	s_xor_b64 s[20:21], exec, s[20:21]
	s_andn2_saveexec_b64 s[20:21], s[20:21]
	s_cbranch_execz .LBB4_2562
; %bb.2561:                             ;   in Loop: Header=BB4_49 Depth=1
	v_mad_u64_u32 v[8:9], s[74:75], v12, 24, v[6:7]
	v_ashrrev_i32_e32 v1, 31, v0
	flat_store_dwordx2 v[8:9], v[0:1] offset:8
.LBB4_2562:                             ;   in Loop: Header=BB4_49 Depth=1
	s_or_b64 exec, exec, s[20:21]
	v_and_b32_e32 v1, 0x100, v56
	v_cmp_ne_u32_e32 vcc, 0, v1
	s_mov_b64 s[20:21], -1
                                        ; implicit-def: $vgpr8_vgpr9
	s_and_saveexec_b64 s[74:75], vcc
	s_cbranch_execz .LBB4_2566
; %bb.2563:                             ;   in Loop: Header=BB4_49 Depth=1
	v_mad_u64_u32 v[10:11], s[20:21], v12, 24, v[6:7]
	v_mov_b32_e32 v1, v11
	v_mad_u64_u32 v[8:9], s[20:21], v35, 24, v[1:2]
	v_mov_b32_e32 v11, v8
	flat_load_dword v1, v[10:11]
                                        ; implicit-def: $vgpr8_vgpr9
	s_waitcnt vmcnt(0) lgkmcnt(0)
	v_cmp_ne_u32_e32 vcc, 1, v1
	v_cmp_eq_u32_e64 s[20:21], 1, v1
	s_and_saveexec_b64 s[76:77], s[20:21]
	s_cbranch_execz .LBB4_2565
; %bb.2564:                             ;   in Loop: Header=BB4_49 Depth=1
	flat_load_dword v8, v[10:11] offset:4 glc
	s_waitcnt vmcnt(0) lgkmcnt(0)
	v_ashrrev_i32_e32 v9, 31, v8
.LBB4_2565:                             ;   in Loop: Header=BB4_49 Depth=1
	s_or_b64 exec, exec, s[76:77]
	s_orn2_b64 s[20:21], vcc, exec
.LBB4_2566:                             ;   in Loop: Header=BB4_49 Depth=1
	s_or_b64 exec, exec, s[74:75]
	s_and_saveexec_b64 s[74:75], s[20:21]
	s_cbranch_execz .LBB4_2568
; %bb.2567:                             ;   in Loop: Header=BB4_49 Depth=1
	buffer_load_dword v8, off, s[0:3], s33 offset:144 ; 4-byte Folded Reload
	v_mul_lo_u32 v10, v12, v45
	s_waitcnt vmcnt(0)
	v_mul_lo_u32 v1, v35, v8
	v_mad_u64_u32 v[8:9], s[20:21], v12, v8, 0
	v_add3_u32 v9, v9, v10, v1
.LBB4_2568:                             ;   in Loop: Header=BB4_49 Depth=1
	s_or_b64 exec, exec, s[74:75]
	buffer_load_dword v10, off, s[0:3], s33 offset:104 ; 4-byte Folded Reload
	buffer_load_dword v11, off, s[0:3], s33 offset:108 ; 4-byte Folded Reload
	v_cmp_eq_u32_e32 vcc, 0, v4
	v_mov_b32_e32 v1, 0x90
	v_cndmask_b32_e32 v1, v59, v1, vcc
	v_add_u32_e32 v1, v0, v1
	s_waitcnt vmcnt(0)
	v_add_co_u32_e32 v8, vcc, v10, v8
	v_addc_co_u32_e32 v9, vcc, v11, v9, vcc
	ds_write_b64 v1, v[8:9] offset:584
	v_and_b32_e32 v1, 0x2000, v56
	v_cmp_ne_u32_e32 vcc, 0, v1
	s_and_saveexec_b64 s[20:21], vcc
	s_cbranch_execz .LBB4_2570
; %bb.2569:                             ;   in Loop: Header=BB4_49 Depth=1
	ds_read_b64 v[8:9], v0 offset:872
	s_waitcnt lgkmcnt(0)
	v_add_co_u32_e32 v8, vcc, 1, v8
	v_addc_co_u32_e32 v9, vcc, 0, v9, vcc
	ds_write_b64 v0, v[8:9] offset:872
.LBB4_2570:                             ;   in Loop: Header=BB4_49 Depth=1
	s_or_b64 exec, exec, s[20:21]
	v_mov_b32_e32 v9, v3
	v_mov_b32_e32 v8, v2
.LBB4_2571:                             ;   in Loop: Header=BB4_49 Depth=1
	s_or_b64 exec, exec, s[24:25]
	s_and_saveexec_b64 s[20:21], s[10:11]
	s_cbranch_execz .LBB4_2590
; %bb.2572:                             ;   in Loop: Header=BB4_49 Depth=1
	s_and_saveexec_b64 s[24:25], s[44:45]
	s_xor_b64 s[24:25], exec, s[24:25]
	s_cbranch_execz .LBB4_2587
; %bb.2573:                             ;   in Loop: Header=BB4_49 Depth=1
	s_and_saveexec_b64 s[74:75], s[12:13]
	s_cbranch_execz .LBB4_2586
; %bb.2574:                             ;   in Loop: Header=BB4_49 Depth=1
	s_mov_b64 s[78:79], exec
	v_mbcnt_lo_u32_b32 v1, s78, 0
	v_mbcnt_hi_u32_b32 v1, s79, v1
	v_cmp_eq_u32_e32 vcc, 0, v1
	s_waitcnt lgkmcnt(0)
	buffer_wbinvl1_vol
	s_and_saveexec_b64 s[76:77], vcc
	s_cbranch_execz .LBB4_2576
; %bb.2575:                             ;   in Loop: Header=BB4_49 Depth=1
	s_bcnt1_i32_b64 s78, s[78:79]
	v_mov_b32_e32 v34, s78
	ds_add_u64 v0, v[34:35]
	s_trap 2
.LBB4_2576:                             ;   in Loop: Header=BB4_49 Depth=1
	s_or_b64 exec, exec, s[76:77]
	s_trap 2
	ds_read_b64 v[1:2], v0
	s_waitcnt lgkmcnt(0)
	buffer_load_dword v3, off, s[0:3], s33 offset:60 ; 4-byte Folded Reload
	buffer_load_dword v4, off, s[0:3], s33 offset:64 ; 4-byte Folded Reload
	;; [unrolled: 1-line block ×3, first 2 shown]
	s_waitcnt vmcnt(0)
	v_add_co_u32_e32 v3, vcc, v3, v10
	v_addc_co_u32_e32 v4, vcc, 0, v4, vcc
	buffer_store_dword v3, off, s[0:3], s33 offset:60 ; 4-byte Folded Spill
	s_nop 0
	buffer_store_dword v4, off, s[0:3], s33 offset:64 ; 4-byte Folded Spill
	v_cmp_lt_u64_e32 vcc, v[1:2], v[3:4]
	s_and_saveexec_b64 s[76:77], vcc
	s_cbranch_execz .LBB4_2585
; %bb.2577:                             ;   in Loop: Header=BB4_49 Depth=1
	s_mov_b32 s30, 0
	s_mov_b64 s[78:79], 0
                                        ; implicit-def: $sgpr88_sgpr89
                                        ; implicit-def: $sgpr90_sgpr91
	s_branch .LBB4_2579
.LBB4_2578:                             ;   in Loop: Header=BB4_2579 Depth=2
	s_or_b64 exec, exec, s[94:95]
	s_and_b64 s[92:93], exec, vcc
	s_or_b64 s[78:79], s[92:93], s[78:79]
	s_andn2_b64 s[88:89], s[88:89], exec
	s_and_b64 s[92:93], s[90:91], exec
	s_or_b64 s[88:89], s[88:89], s[92:93]
	s_andn2_b64 exec, exec, s[78:79]
	s_cbranch_execz .LBB4_2583
.LBB4_2579:                             ;   Parent Loop BB4_49 Depth=1
                                        ; =>  This Inner Loop Header: Depth=2
	s_add_i32 s30, s30, 1
	s_cmpk_lg_i32 s30, 0x2710
	s_cselect_b64 s[92:93], -1, 0
	s_and_b64 vcc, exec, s[92:93]
	s_cbranch_vccz .LBB4_2581
; %bb.2580:                             ;   in Loop: Header=BB4_2579 Depth=2
	s_mov_b64 vcc, -1
	s_or_b64 s[90:91], s[90:91], exec
	s_and_saveexec_b64 s[94:95], s[92:93]
	s_cbranch_execz .LBB4_2578
	s_branch .LBB4_2582
.LBB4_2581:                             ;   in Loop: Header=BB4_2579 Depth=2
	s_trap 2
	ds_read_b64 v[1:2], v0
	s_andn2_b64 s[92:93], s[92:93], exec
	s_mov_b32 s30, 0
	s_waitcnt vmcnt(0) lgkmcnt(0)
	flat_load_dword v1, v[1:2] glc
	s_waitcnt vmcnt(0) lgkmcnt(0)
	buffer_wbinvl1_vol
	v_cmp_eq_u32_e32 vcc, 0, v1
	s_and_b64 s[94:95], vcc, exec
	s_or_b64 s[92:93], s[92:93], s[94:95]
	s_mov_b64 vcc, -1
	s_or_b64 s[90:91], s[90:91], exec
	s_and_saveexec_b64 s[94:95], s[92:93]
	s_cbranch_execz .LBB4_2578
.LBB4_2582:                             ;   in Loop: Header=BB4_2579 Depth=2
	s_sleep 1
	s_trap 2
	ds_read_b64 v[1:2], v0
	s_waitcnt lgkmcnt(0)
	buffer_load_dword v3, off, s[0:3], s33 offset:60 ; 4-byte Folded Reload
	buffer_load_dword v4, off, s[0:3], s33 offset:64 ; 4-byte Folded Reload
	s_andn2_b64 s[90:91], s[90:91], exec
	s_waitcnt vmcnt(0)
	v_cmp_ge_u64_e32 vcc, v[1:2], v[3:4]
	s_orn2_b64 vcc, vcc, exec
	s_branch .LBB4_2578
.LBB4_2583:                             ;   in Loop: Header=BB4_49 Depth=1
	s_or_b64 exec, exec, s[78:79]
	s_and_saveexec_b64 s[78:79], s[88:89]
	s_xor_b64 s[78:79], exec, s[78:79]
	s_cbranch_execz .LBB4_2585
; %bb.2584:                             ;   in Loop: Header=BB4_49 Depth=1
	ds_write_b32 v0, v58
	s_trap 2
.LBB4_2585:                             ;   in Loop: Header=BB4_49 Depth=1
	s_or_b64 exec, exec, s[76:77]
	;;#ASMSTART
	s_wakeup
	;;#ASMEND
.LBB4_2586:                             ;   in Loop: Header=BB4_49 Depth=1
	s_or_b64 exec, exec, s[74:75]
.LBB4_2587:                             ;   in Loop: Header=BB4_49 Depth=1
	s_andn2_saveexec_b64 s[24:25], s[24:25]
	s_cbranch_execz .LBB4_2589
; %bb.2588:                             ;   in Loop: Header=BB4_49 Depth=1
	s_waitcnt vmcnt(0) lgkmcnt(0)
	buffer_wbinvl1_vol
	s_barrier
.LBB4_2589:                             ;   in Loop: Header=BB4_49 Depth=1
	s_or_b64 exec, exec, s[24:25]
.LBB4_2590:                             ;   in Loop: Header=BB4_49 Depth=1
	s_or_b64 exec, exec, s[20:21]
	s_trap 2
	ds_read_b32 v1, v0
	v_cmp_lt_i32_e32 vcc, 0, v0
	v_and_b32_e32 v0, 16, v56
	s_waitcnt lgkmcnt(0)
	v_readfirstlane_b32 s20, v1
	s_cmp_eq_u32 s20, 0
	s_cselect_b64 s[20:21], -1, 0
	s_and_b64 s[20:21], vcc, s[20:21]
	v_cmp_ne_u32_e32 vcc, 0, v0
	s_and_b64 s[24:25], vcc, s[20:21]
	s_and_saveexec_b64 s[20:21], s[24:25]
	s_cbranch_execz .LBB4_2592
; %bb.2591:                             ;   in Loop: Header=BB4_49 Depth=1
	s_waitcnt vmcnt(0)
	buffer_wbinvl1_vol
.LBB4_2592:                             ;   in Loop: Header=BB4_49 Depth=1
	s_or_b64 exec, exec, s[20:21]
	v_cmp_ne_u32_e32 vcc, 0, v0
	s_xor_b64 s[20:21], s[18:19], -1
	s_and_b64 s[24:25], vcc, s[20:21]
	s_and_saveexec_b64 s[20:21], s[24:25]
	s_cbranch_execz .LBB4_2594
; %bb.2593:                             ;   in Loop: Header=BB4_49 Depth=1
	buffer_load_dword v0, off, s[0:3], s33 offset:136 ; 4-byte Folded Reload
	buffer_load_dword v1, off, s[0:3], s33 offset:140 ; 4-byte Folded Reload
	s_waitcnt vmcnt(0)
	flat_store_dword v[0:1], v58
.LBB4_2594:                             ;   in Loop: Header=BB4_49 Depth=1
	s_or_b64 exec, exec, s[20:21]
	v_and_b32_e32 v0, 48, v56
	v_cmp_ne_u32_e32 vcc, 0, v0
	s_and_saveexec_b64 s[20:21], vcc
	s_cbranch_execz .LBB4_47
; %bb.2595:                             ;   in Loop: Header=BB4_49 Depth=1
	v_add_co_u32_e32 v8, vcc, 1, v8
	v_addc_co_u32_e32 v9, vcc, 0, v9, vcc
	flat_store_dwordx2 v[32:33], v[8:9]
	s_branch .LBB4_47
.LBB4_2596:
	s_or_b64 exec, exec, s[46:47]
	buffer_load_dword v30, off, s[0:3], s33 offset:204 ; 4-byte Folded Reload
	buffer_load_dword v31, off, s[0:3], s33 offset:208 ; 4-byte Folded Reload
	;; [unrolled: 1-line block ×4, first 2 shown]
.LBB4_2597:
	s_or_b64 exec, exec, s[42:43]
                                        ; implicit-def: $vgpr0
                                        ; implicit-def: $vgpr54_vgpr55
                                        ; implicit-def: $vgpr48_vgpr49
                                        ; kill: killed $vgpr0
                                        ; implicit-def: $vgpr38_vgpr39
                                        ; implicit-def: $vgpr32_vgpr33
                                        ; implicit-def: $vgpr47
                                        ; implicit-def: $vgpr20
                                        ; implicit-def: $vgpr36
                                        ; implicit-def: $vgpr0_vgpr1
                                        ; kill: killed $vgpr0_vgpr1
.LBB4_2598:
	s_andn2_saveexec_b64 s[24:25], s[40:41]
	s_cbranch_execz .LBB4_5144
; %bb.2599:
	s_waitcnt vmcnt(0)
	v_mov_b32_e32 v45, 0
	v_cmp_ne_u64_e32 vcc, 0, v[48:49]
	v_mov_b32_e32 v46, 0
	s_and_saveexec_b64 s[40:41], vcc
	s_cbranch_execz .LBB4_5143
; %bb.2600:
	v_and_b32_e32 v0, 63, v60
	v_cmp_eq_u32_e64 s[12:13], 0, v0
	v_ashrrev_i32_e32 v0, 31, v47
	v_lshrrev_b32_e32 v0, 26, v0
	v_add_u32_e32 v0, v47, v0
	v_ashrrev_i32_e32 v45, 6, v0
	v_and_b32_e32 v0, 0xffffffc0, v0
	v_sub_u32_e32 v2, v47, v0
	v_lshlrev_b32_e32 v0, 11, v45
	v_lshl_add_u32 v0, v2, 4, v0
	buffer_store_dword v30, off, s[0:3], s33 offset:204 ; 4-byte Folded Spill
	s_nop 0
	buffer_store_dword v31, off, s[0:3], s33 offset:208 ; 4-byte Folded Spill
	s_trap 2
	v_lshrrev_b32_e32 v1, 6, v44
	buffer_store_dword v0, off, s[0:3], s33 offset:224 ; 4-byte Folded Spill
	v_ashrrev_i32_e32 v0, 31, v0
	s_ashr_i32 s6, s48, 31
	buffer_store_dword v0, off, s[0:3], s33 offset:228 ; 4-byte Folded Spill
	v_lshlrev_b32_e32 v0, 11, v1
	s_lshr_b32 s6, s6, 24
	buffer_store_dword v2, off, s[0:3], s33 offset:220 ; 4-byte Folded Spill
	buffer_store_dword v0, off, s[0:3], s33 offset:136 ; 4-byte Folded Spill
	;; [unrolled: 1-line block ×3, first 2 shown]
	v_lshlrev_b32_e32 v0, 10, v1
	s_add_i32 s6, s48, s6
	v_cmp_eq_u32_e32 vcc, 64, v44
	buffer_store_dword v0, off, s[0:3], s33 offset:112 ; 4-byte Folded Spill
	v_mov_b32_e32 v52, 0
	v_mov_b32_e32 v0, 0
	s_mov_b32 s56, -1
	v_mov_b32_e32 v10, v36
	s_ashr_i32 s38, s6, 8
	v_cmp_ge_i32_e64 s[6:7], v47, v44
	v_cmp_ne_u32_e64 s[10:11], 64, v44
	v_cmp_ne_u32_sdwa s[42:43], v44, v61 src0_sel:DWORD src1_sel:WORD_0
	v_mov_b32_e32 v51, 0
	s_movk_i32 s39, 0xffc0
	v_cmp_le_i32_e64 s[14:15], v2, v20
	v_cmp_gt_i32_e64 s[16:17], 1, v2
	v_and_b32_e32 v46, 0x3fc0, v44
	s_mov_b64 s[44:45], 0
	v_mov_b32_e32 v53, 0
	v_mov_b32_e32 v1, 0
	s_xor_b64 s[46:47], vcc, -1
	s_movk_i32 s49, 0xff80
	s_movk_i32 s50, 0x7c
	s_brev_b32 s51, 1
	s_mov_b32 s57, 0xffffff
	s_mov_b64 s[58:59], 0x7f800000
	s_movk_i32 s52, 0x80
	s_mov_b64 s[60:61], 0x47600001
	s_movk_i32 s53, 0x72
	;; [unrolled: 2-line block ×3, first 2 shown]
	s_mov_b32 s55, 0x7c0000
	s_brev_b32 s64, 62
	s_mov_b32 s65, 0x3ffffc00
	v_mov_b32_e32 v43, -1
	v_mov_b32_e32 v5, 0xff800000
	v_mov_b32_e32 v11, v37
	;; [unrolled: 1-line block ×4, first 2 shown]
	buffer_store_dword v0, off, s[0:3], s33 offset:60 ; 4-byte Folded Spill
	s_nop 0
	buffer_store_dword v1, off, s[0:3], s33 offset:64 ; 4-byte Folded Spill
	buffer_store_dword v47, off, s[0:3], s33 offset:184 ; 4-byte Folded Spill
	;; [unrolled: 1-line block ×8, first 2 shown]
	s_nop 0
	buffer_store_dword v49, off, s[0:3], s33 offset:92 ; 4-byte Folded Spill
	buffer_store_dword v50, off, s[0:3], s33 offset:96 ; 4-byte Folded Spill
	buffer_store_dword v51, off, s[0:3], s33 offset:100 ; 4-byte Folded Spill
	buffer_store_dword v54, off, s[0:3], s33 offset:152 ; 4-byte Folded Spill
	s_nop 0
	buffer_store_dword v55, off, s[0:3], s33 offset:156 ; 4-byte Folded Spill
	buffer_store_dword v10, off, s[0:3], s33 offset:120 ; 4-byte Folded Spill
	s_nop 0
	buffer_store_dword v11, off, s[0:3], s33 offset:124 ; 4-byte Folded Spill
	s_branch .LBB4_2603
.LBB4_2601:                             ;   in Loop: Header=BB4_2603 Depth=1
	s_or_b64 exec, exec, s[18:19]
.LBB4_2602:                             ;   in Loop: Header=BB4_2603 Depth=1
	s_or_b64 exec, exec, s[20:21]
	buffer_load_dword v10, off, s[0:3], s33 offset:120 ; 4-byte Folded Reload
	buffer_load_dword v11, off, s[0:3], s33 offset:124 ; 4-byte Folded Reload
	;; [unrolled: 1-line block ×6, first 2 shown]
	s_waitcnt vmcnt(0)
	v_mov_b32_e32 v49, v1
	v_add_co_u32_e32 v52, vcc, v52, v10
	v_addc_co_u32_e32 v53, vcc, 0, v53, vcc
	v_mov_b32_e32 v48, v0
	v_cmp_ge_u64_e32 vcc, v[52:53], v[48:49]
	s_or_b64 s[44:45], vcc, s[44:45]
	s_andn2_b64 exec, exec, s[44:45]
	s_cbranch_execz .LBB4_5142
.LBB4_2603:                             ; =>This Loop Header: Depth=1
                                        ;     Child Loop BB4_2612 Depth 2
                                        ;     Child Loop BB4_2636 Depth 2
	;; [unrolled: 1-line block ×10, first 2 shown]
	v_sub_co_u32_e32 v0, vcc, v48, v52
	v_subb_co_u32_e32 v1, vcc, v49, v53, vcc
	v_cmp_lt_u64_e32 vcc, v[10:11], v[0:1]
	v_mov_b32_e32 v4, v51
	v_cndmask_b32_e32 v2, v0, v10, vcc
	v_cndmask_b32_e64 v3, v1, 0, vcc
	v_mov_b32_e32 v1, v2
	v_add_u32_e32 v0, 15, v2
	buffer_store_dword v1, off, s[0:3], s33 offset:128 ; 4-byte Folded Spill
	s_nop 0
	buffer_store_dword v2, off, s[0:3], s33 offset:132 ; 4-byte Folded Spill
	v_and_b32_e32 v0, 0x7ffffff0, v0
	v_max_i32_e32 v0, s38, v0
	buffer_store_dword v0, off, s[0:3], s33 offset:72 ; 4-byte Folded Spill
	v_cmp_eq_u64_e32 vcc, 0, v[2:3]
	s_or_b64 s[72:73], s[6:7], vcc
	s_xor_b64 s[18:19], s[72:73], -1
	s_and_saveexec_b64 s[74:75], s[18:19]
	s_cbranch_execz .LBB4_5096
; %bb.2604:                             ;   in Loop: Header=BB4_2603 Depth=1
	s_and_saveexec_b64 s[18:19], s[4:5]
	s_cbranch_execz .LBB4_2606
; %bb.2605:                             ;   in Loop: Header=BB4_2603 Depth=1
	s_trap 2
	ds_read2_b64 v[0:3], v0 offset1:1
	v_add_co_u32_e32 v4, vcc, v52, v54
	v_addc_co_u32_e32 v12, vcc, v53, v55, vcc
	s_waitcnt lgkmcnt(0)
	ds_read_b64 v[10:11], v0
	v_add_co_u32_e32 v0, vcc, v0, v4
	v_addc_co_u32_e32 v1, vcc, v1, v12, vcc
	ds_write_b64 v0, v[0:1]
	v_add_co_u32_e32 v0, vcc, v2, v4
	v_addc_co_u32_e32 v1, vcc, v3, v12, vcc
	ds_write_b64 v0, v[0:1]
	s_waitcnt lgkmcnt(2)
	v_add_co_u32_e32 v0, vcc, v10, v4
	v_addc_co_u32_e32 v1, vcc, v11, v12, vcc
	v_cmp_ne_u64_e32 vcc, 0, v[10:11]
	v_cndmask_b32_e32 v1, 0, v1, vcc
	v_cndmask_b32_e32 v0, 0, v0, vcc
	ds_write_b64 v0, v[0:1]
.LBB4_2606:                             ;   in Loop: Header=BB4_2603 Depth=1
	s_or_b64 exec, exec, s[18:19]
	v_and_b32_e32 v0, 4, v56
	v_cmp_ne_u32_e32 vcc, 0, v0
	s_and_saveexec_b64 s[20:21], vcc
	s_cbranch_execz .LBB4_2628
; %bb.2607:                             ;   in Loop: Header=BB4_2603 Depth=1
	s_waitcnt lgkmcnt(0)
	v_add_co_u32_e32 v0, vcc, 1, v8
	v_addc_co_u32_e32 v1, vcc, 0, v9, vcc
	v_cmp_lt_u64_e32 vcc, v[38:39], v[0:1]
	s_and_saveexec_b64 s[22:23], vcc
	s_cbranch_execz .LBB4_2619
; %bb.2608:                             ;   in Loop: Header=BB4_2603 Depth=1
	v_and_b32_e32 v2, 64, v56
	s_mov_b32 s66, 0
	v_cmp_eq_u32_e32 vcc, 0, v2
	s_mov_b64 s[76:77], 0
                                        ; implicit-def: $sgpr78_sgpr79
                                        ; implicit-def: $sgpr88_sgpr89
                                        ; implicit-def: $sgpr90_sgpr91
	s_branch .LBB4_2612
.LBB4_2609:                             ;   in Loop: Header=BB4_2612 Depth=2
	s_waitcnt vmcnt(0) lgkmcnt(0)
	v_cmp_ge_u64_e64 s[18:19], v[38:39], v[0:1]
	s_or_b64 s[30:31], s[30:31], exec
	s_orn2_b64 s[94:95], s[18:19], exec
.LBB4_2610:                             ;   in Loop: Header=BB4_2612 Depth=2
	s_or_b64 exec, exec, s[36:37]
	s_andn2_b64 s[18:19], s[90:91], exec
	s_and_b64 s[90:91], s[30:31], exec
	s_or_b64 s[90:91], s[18:19], s[90:91]
	s_andn2_b64 s[18:19], s[88:89], exec
	s_and_b64 s[88:89], s[94:95], exec
	s_or_b64 s[88:89], s[18:19], s[88:89]
.LBB4_2611:                             ;   in Loop: Header=BB4_2612 Depth=2
	s_or_b64 exec, exec, s[92:93]
	s_and_b64 s[18:19], exec, s[88:89]
	s_or_b64 s[76:77], s[18:19], s[76:77]
	s_andn2_b64 s[18:19], s[78:79], exec
	s_and_b64 s[78:79], s[90:91], exec
	s_or_b64 s[78:79], s[18:19], s[78:79]
	s_andn2_b64 exec, exec, s[76:77]
	s_cbranch_execz .LBB4_2616
.LBB4_2612:                             ;   Parent Loop BB4_2603 Depth=1
                                        ; =>  This Inner Loop Header: Depth=2
	s_sleep 1
	s_waitcnt vmcnt(0) lgkmcnt(0)
	flat_load_dwordx2 v[38:39], v[32:33] glc
	s_or_b64 s[90:91], s[90:91], exec
	s_or_b64 s[88:89], s[88:89], exec
                                        ; implicit-def: $vgpr2
	s_and_saveexec_b64 s[92:93], vcc
	s_cbranch_execz .LBB4_2611
; %bb.2613:                             ;   in Loop: Header=BB4_2612 Depth=2
	s_cmpk_lt_i32 s66, 0x270f
	s_cselect_b64 s[34:35], -1, 0
	s_cmpk_gt_i32 s66, 0x270e
	s_mov_b64 s[94:95], -1
	s_cbranch_scc0 .LBB4_2615
; %bb.2614:                             ;   in Loop: Header=BB4_2612 Depth=2
	s_trap 2
	ds_read_b64 v[2:3], v0
	s_andn2_b64 s[34:35], s[34:35], exec
	s_mov_b32 s66, 0
	s_mov_b64 s[30:31], 0
	s_waitcnt vmcnt(0) lgkmcnt(0)
	flat_load_dword v2, v[2:3] glc
	s_waitcnt vmcnt(0) lgkmcnt(0)
	buffer_wbinvl1_vol
	v_cmp_eq_u32_e64 s[18:19], 0, v2
	s_and_b64 s[18:19], s[18:19], exec
	s_or_b64 s[34:35], s[34:35], s[18:19]
	s_and_saveexec_b64 s[36:37], s[34:35]
	s_cbranch_execz .LBB4_2610
	s_branch .LBB4_2609
.LBB4_2615:                             ;   in Loop: Header=BB4_2612 Depth=2
	s_add_i32 s66, s66, 1
	s_mov_b64 s[30:31], -1
                                        ; implicit-def: $vgpr2
	s_and_saveexec_b64 s[36:37], s[34:35]
	s_cbranch_execz .LBB4_2610
	s_branch .LBB4_2609
.LBB4_2616:                             ;   in Loop: Header=BB4_2603 Depth=1
	s_or_b64 exec, exec, s[76:77]
	s_xor_b64 s[18:19], s[78:79], -1
	s_and_saveexec_b64 s[76:77], s[18:19]
	s_xor_b64 s[18:19], exec, s[76:77]
	s_cbranch_execz .LBB4_2618
; %bb.2617:                             ;   in Loop: Header=BB4_2603 Depth=1
	v_or_b32_e32 v56, 64, v56
	s_waitcnt lgkmcnt(0)
	ds_write_b32 v0, v2
	s_trap 2
.LBB4_2618:                             ;   in Loop: Header=BB4_2603 Depth=1
	s_or_b64 exec, exec, s[18:19]
.LBB4_2619:                             ;   in Loop: Header=BB4_2603 Depth=1
	s_or_b64 exec, exec, s[22:23]
	v_and_b32_e32 v2, 0x100, v56
	v_cmp_ne_u32_e32 vcc, 0, v2
	v_and_b32_e32 v4, 7, v8
	s_mov_b64 s[18:19], -1
	;;#ASMSTART
	s_wakeup
	;;#ASMEND
                                        ; implicit-def: $vgpr2_vgpr3
	s_and_saveexec_b64 s[22:23], vcc
	s_cbranch_execz .LBB4_2623
; %bb.2620:                             ;   in Loop: Header=BB4_2603 Depth=1
	v_mad_u64_u32 v[8:9], s[18:19], v4, 24, v[6:7]
	flat_load_dword v2, v[8:9]
	s_waitcnt vmcnt(0) lgkmcnt(0)
	v_cmp_ne_u32_e32 vcc, 1, v2
	v_cmp_eq_u32_e64 s[18:19], 1, v2
                                        ; implicit-def: $vgpr2_vgpr3
	s_and_saveexec_b64 s[76:77], s[18:19]
	s_cbranch_execz .LBB4_2622
; %bb.2621:                             ;   in Loop: Header=BB4_2603 Depth=1
	flat_load_dword v2, v[8:9] offset:4 glc
	s_waitcnt vmcnt(0) lgkmcnt(0)
	v_ashrrev_i32_e32 v3, 31, v2
.LBB4_2622:                             ;   in Loop: Header=BB4_2603 Depth=1
	s_or_b64 exec, exec, s[76:77]
	s_orn2_b64 s[18:19], vcc, exec
.LBB4_2623:                             ;   in Loop: Header=BB4_2603 Depth=1
	s_or_b64 exec, exec, s[22:23]
	s_and_saveexec_b64 s[22:23], s[18:19]
	s_cbranch_execz .LBB4_2625
; %bb.2624:                             ;   in Loop: Header=BB4_2603 Depth=1
	buffer_load_dword v2, off, s[0:3], s33 offset:144 ; 4-byte Folded Reload
	s_waitcnt vmcnt(0)
	v_mad_i64_i32 v[2:3], s[18:19], v4, v2, 0
.LBB4_2625:                             ;   in Loop: Header=BB4_2603 Depth=1
	s_or_b64 exec, exec, s[22:23]
	buffer_load_dword v8, off, s[0:3], s33 offset:104 ; 4-byte Folded Reload
	buffer_load_dword v9, off, s[0:3], s33 offset:108 ; 4-byte Folded Reload
	s_waitcnt vmcnt(0)
	v_add_co_u32_e32 v2, vcc, v8, v2
	v_addc_co_u32_e32 v3, vcc, v9, v3, vcc
	ds_write_b64 v0, v[2:3] offset:728
	v_and_b32_e32 v2, 0x2000, v56
	v_cmp_ne_u32_e32 vcc, 0, v2
	s_and_saveexec_b64 s[18:19], vcc
	s_cbranch_execz .LBB4_2627
; %bb.2626:                             ;   in Loop: Header=BB4_2603 Depth=1
	ds_read_b64 v[2:3], v0 offset:872
	s_waitcnt lgkmcnt(0)
	v_add_co_u32_e32 v2, vcc, 1, v2
	v_addc_co_u32_e32 v3, vcc, 0, v3, vcc
	ds_write_b64 v0, v[2:3] offset:872
.LBB4_2627:                             ;   in Loop: Header=BB4_2603 Depth=1
	s_or_b64 exec, exec, s[18:19]
	v_mov_b32_e32 v9, v1
	v_mov_b32_e32 v8, v0
.LBB4_2628:                             ;   in Loop: Header=BB4_2603 Depth=1
	s_or_b64 exec, exec, s[20:21]
	s_and_saveexec_b64 s[18:19], s[10:11]
	s_cbranch_execz .LBB4_2647
; %bb.2629:                             ;   in Loop: Header=BB4_2603 Depth=1
	s_and_saveexec_b64 s[20:21], s[42:43]
	s_xor_b64 s[20:21], exec, s[20:21]
	s_cbranch_execz .LBB4_2644
; %bb.2630:                             ;   in Loop: Header=BB4_2603 Depth=1
	s_and_saveexec_b64 s[22:23], s[12:13]
	s_cbranch_execz .LBB4_2643
; %bb.2631:                             ;   in Loop: Header=BB4_2603 Depth=1
	s_mov_b64 s[78:79], exec
	v_mbcnt_lo_u32_b32 v0, s78, 0
	v_mbcnt_hi_u32_b32 v0, s79, v0
	v_cmp_eq_u32_e32 vcc, 0, v0
	s_waitcnt vmcnt(0) lgkmcnt(0)
	buffer_wbinvl1_vol
	s_and_saveexec_b64 s[76:77], vcc
	s_cbranch_execz .LBB4_2633
; %bb.2632:                             ;   in Loop: Header=BB4_2603 Depth=1
	s_bcnt1_i32_b64 s78, s[78:79]
	v_mov_b32_e32 v50, s78
	ds_add_u64 v0, v[50:51]
	s_trap 2
.LBB4_2633:                             ;   in Loop: Header=BB4_2603 Depth=1
	s_or_b64 exec, exec, s[76:77]
	s_trap 2
	ds_read_b64 v[0:1], v0
	s_waitcnt lgkmcnt(0)
	buffer_load_dword v2, off, s[0:3], s33 offset:60 ; 4-byte Folded Reload
	buffer_load_dword v3, off, s[0:3], s33 offset:64 ; 4-byte Folded Reload
	;; [unrolled: 1-line block ×3, first 2 shown]
	s_waitcnt vmcnt(0)
	v_add_co_u32_e32 v2, vcc, v2, v4
	v_addc_co_u32_e32 v3, vcc, 0, v3, vcc
	buffer_store_dword v2, off, s[0:3], s33 offset:60 ; 4-byte Folded Spill
	s_nop 0
	buffer_store_dword v3, off, s[0:3], s33 offset:64 ; 4-byte Folded Spill
	v_cmp_lt_u64_e32 vcc, v[0:1], v[2:3]
	s_and_saveexec_b64 s[76:77], vcc
	s_cbranch_execz .LBB4_2642
; %bb.2634:                             ;   in Loop: Header=BB4_2603 Depth=1
	s_mov_b32 s30, 0
	s_mov_b64 s[78:79], 0
                                        ; implicit-def: $sgpr88_sgpr89
                                        ; implicit-def: $sgpr90_sgpr91
	s_branch .LBB4_2636
.LBB4_2635:                             ;   in Loop: Header=BB4_2636 Depth=2
	s_or_b64 exec, exec, s[94:95]
	s_and_b64 s[92:93], exec, vcc
	s_or_b64 s[78:79], s[92:93], s[78:79]
	s_andn2_b64 s[88:89], s[88:89], exec
	s_and_b64 s[92:93], s[90:91], exec
	s_or_b64 s[88:89], s[88:89], s[92:93]
	s_andn2_b64 exec, exec, s[78:79]
	s_cbranch_execz .LBB4_2640
.LBB4_2636:                             ;   Parent Loop BB4_2603 Depth=1
                                        ; =>  This Inner Loop Header: Depth=2
	s_add_i32 s30, s30, 1
	s_cmpk_lg_i32 s30, 0x2710
	s_cselect_b64 s[92:93], -1, 0
	s_and_b64 vcc, exec, s[92:93]
	s_cbranch_vccz .LBB4_2638
; %bb.2637:                             ;   in Loop: Header=BB4_2636 Depth=2
	s_mov_b64 vcc, -1
	s_or_b64 s[90:91], s[90:91], exec
	s_and_saveexec_b64 s[94:95], s[92:93]
	s_cbranch_execz .LBB4_2635
	s_branch .LBB4_2639
.LBB4_2638:                             ;   in Loop: Header=BB4_2636 Depth=2
	s_trap 2
	ds_read_b64 v[0:1], v0
	s_andn2_b64 s[92:93], s[92:93], exec
	s_mov_b32 s30, 0
	s_waitcnt vmcnt(0) lgkmcnt(0)
	flat_load_dword v0, v[0:1] glc
	s_waitcnt vmcnt(0) lgkmcnt(0)
	buffer_wbinvl1_vol
	v_cmp_eq_u32_e32 vcc, 0, v0
	s_and_b64 s[94:95], vcc, exec
	s_or_b64 s[92:93], s[92:93], s[94:95]
	s_mov_b64 vcc, -1
	s_or_b64 s[90:91], s[90:91], exec
	s_and_saveexec_b64 s[94:95], s[92:93]
	s_cbranch_execz .LBB4_2635
.LBB4_2639:                             ;   in Loop: Header=BB4_2636 Depth=2
	s_sleep 1
	s_trap 2
	ds_read_b64 v[0:1], v0
	s_waitcnt lgkmcnt(0)
	buffer_load_dword v2, off, s[0:3], s33 offset:60 ; 4-byte Folded Reload
	buffer_load_dword v3, off, s[0:3], s33 offset:64 ; 4-byte Folded Reload
	s_andn2_b64 s[90:91], s[90:91], exec
	s_waitcnt vmcnt(0)
	v_cmp_ge_u64_e32 vcc, v[0:1], v[2:3]
	s_orn2_b64 vcc, vcc, exec
	s_branch .LBB4_2635
.LBB4_2640:                             ;   in Loop: Header=BB4_2603 Depth=1
	s_or_b64 exec, exec, s[78:79]
	s_and_saveexec_b64 s[78:79], s[88:89]
	s_xor_b64 s[78:79], exec, s[78:79]
	s_cbranch_execz .LBB4_2642
; %bb.2641:                             ;   in Loop: Header=BB4_2603 Depth=1
	v_mov_b32_e32 v0, 1
	ds_write_b32 v0, v0
	s_trap 2
.LBB4_2642:                             ;   in Loop: Header=BB4_2603 Depth=1
	s_or_b64 exec, exec, s[76:77]
	;;#ASMSTART
	s_wakeup
	;;#ASMEND
.LBB4_2643:                             ;   in Loop: Header=BB4_2603 Depth=1
	s_or_b64 exec, exec, s[22:23]
.LBB4_2644:                             ;   in Loop: Header=BB4_2603 Depth=1
	s_andn2_saveexec_b64 s[20:21], s[20:21]
	s_cbranch_execz .LBB4_2646
; %bb.2645:                             ;   in Loop: Header=BB4_2603 Depth=1
	s_waitcnt vmcnt(0) lgkmcnt(0)
	buffer_wbinvl1_vol
	s_barrier
.LBB4_2646:                             ;   in Loop: Header=BB4_2603 Depth=1
	s_or_b64 exec, exec, s[20:21]
.LBB4_2647:                             ;   in Loop: Header=BB4_2603 Depth=1
	s_or_b64 exec, exec, s[18:19]
	s_trap 2
	ds_read_b32 v0, v0
	v_and_b32_e32 v1, 0x4000, v56
	v_cmp_ne_u32_e32 vcc, 0, v1
	s_and_b64 s[20:21], s[46:47], vcc
	s_and_saveexec_b64 s[18:19], s[20:21]
	s_cbranch_execz .LBB4_2666
; %bb.2648:                             ;   in Loop: Header=BB4_2603 Depth=1
	s_and_saveexec_b64 s[20:21], s[42:43]
	s_xor_b64 s[20:21], exec, s[20:21]
	s_cbranch_execz .LBB4_2663
; %bb.2649:                             ;   in Loop: Header=BB4_2603 Depth=1
	s_and_saveexec_b64 s[22:23], s[12:13]
	s_cbranch_execz .LBB4_2662
; %bb.2650:                             ;   in Loop: Header=BB4_2603 Depth=1
	s_mov_b64 s[78:79], exec
	v_mbcnt_lo_u32_b32 v1, s78, 0
	v_mbcnt_hi_u32_b32 v1, s79, v1
	v_cmp_eq_u32_e32 vcc, 0, v1
	s_waitcnt vmcnt(0) lgkmcnt(0)
	buffer_wbinvl1_vol
	s_and_saveexec_b64 s[76:77], vcc
	s_cbranch_execz .LBB4_2652
; %bb.2651:                             ;   in Loop: Header=BB4_2603 Depth=1
	s_bcnt1_i32_b64 s78, s[78:79]
	v_mov_b32_e32 v50, s78
	ds_add_u64 v0, v[50:51]
	s_trap 2
.LBB4_2652:                             ;   in Loop: Header=BB4_2603 Depth=1
	s_or_b64 exec, exec, s[76:77]
	s_trap 2
	ds_read_b64 v[1:2], v0
	s_waitcnt lgkmcnt(0)
	buffer_load_dword v3, off, s[0:3], s33 offset:60 ; 4-byte Folded Reload
	buffer_load_dword v4, off, s[0:3], s33 offset:64 ; 4-byte Folded Reload
	;; [unrolled: 1-line block ×3, first 2 shown]
	s_waitcnt vmcnt(0)
	v_add_co_u32_e32 v3, vcc, v3, v10
	v_addc_co_u32_e32 v4, vcc, 0, v4, vcc
	buffer_store_dword v3, off, s[0:3], s33 offset:60 ; 4-byte Folded Spill
	s_nop 0
	buffer_store_dword v4, off, s[0:3], s33 offset:64 ; 4-byte Folded Spill
	v_cmp_lt_u64_e32 vcc, v[1:2], v[3:4]
	s_and_saveexec_b64 s[76:77], vcc
	s_cbranch_execz .LBB4_2661
; %bb.2653:                             ;   in Loop: Header=BB4_2603 Depth=1
	s_mov_b32 s30, 0
	s_mov_b64 s[78:79], 0
                                        ; implicit-def: $sgpr88_sgpr89
                                        ; implicit-def: $sgpr90_sgpr91
	s_branch .LBB4_2655
.LBB4_2654:                             ;   in Loop: Header=BB4_2655 Depth=2
	s_or_b64 exec, exec, s[94:95]
	s_and_b64 s[92:93], exec, vcc
	s_or_b64 s[78:79], s[92:93], s[78:79]
	s_andn2_b64 s[88:89], s[88:89], exec
	s_and_b64 s[92:93], s[90:91], exec
	s_or_b64 s[88:89], s[88:89], s[92:93]
	s_andn2_b64 exec, exec, s[78:79]
	s_cbranch_execz .LBB4_2659
.LBB4_2655:                             ;   Parent Loop BB4_2603 Depth=1
                                        ; =>  This Inner Loop Header: Depth=2
	s_add_i32 s30, s30, 1
	s_cmpk_lg_i32 s30, 0x2710
	s_cselect_b64 s[92:93], -1, 0
	s_and_b64 vcc, exec, s[92:93]
	s_cbranch_vccz .LBB4_2657
; %bb.2656:                             ;   in Loop: Header=BB4_2655 Depth=2
	s_mov_b64 vcc, -1
	s_or_b64 s[90:91], s[90:91], exec
	s_and_saveexec_b64 s[94:95], s[92:93]
	s_cbranch_execz .LBB4_2654
	s_branch .LBB4_2658
.LBB4_2657:                             ;   in Loop: Header=BB4_2655 Depth=2
	s_trap 2
	ds_read_b64 v[1:2], v0
	s_andn2_b64 s[92:93], s[92:93], exec
	s_mov_b32 s30, 0
	s_waitcnt vmcnt(0) lgkmcnt(0)
	flat_load_dword v1, v[1:2] glc
	s_waitcnt vmcnt(0) lgkmcnt(0)
	buffer_wbinvl1_vol
	v_cmp_eq_u32_e32 vcc, 0, v1
	s_and_b64 s[94:95], vcc, exec
	s_or_b64 s[92:93], s[92:93], s[94:95]
	s_mov_b64 vcc, -1
	s_or_b64 s[90:91], s[90:91], exec
	s_and_saveexec_b64 s[94:95], s[92:93]
	s_cbranch_execz .LBB4_2654
.LBB4_2658:                             ;   in Loop: Header=BB4_2655 Depth=2
	s_sleep 1
	s_trap 2
	ds_read_b64 v[1:2], v0
	s_waitcnt lgkmcnt(0)
	buffer_load_dword v3, off, s[0:3], s33 offset:60 ; 4-byte Folded Reload
	buffer_load_dword v4, off, s[0:3], s33 offset:64 ; 4-byte Folded Reload
	s_andn2_b64 s[90:91], s[90:91], exec
	s_waitcnt vmcnt(0)
	v_cmp_ge_u64_e32 vcc, v[1:2], v[3:4]
	s_orn2_b64 vcc, vcc, exec
	s_branch .LBB4_2654
.LBB4_2659:                             ;   in Loop: Header=BB4_2603 Depth=1
	s_or_b64 exec, exec, s[78:79]
	s_and_saveexec_b64 s[78:79], s[88:89]
	s_xor_b64 s[78:79], exec, s[78:79]
	s_cbranch_execz .LBB4_2661
; %bb.2660:                             ;   in Loop: Header=BB4_2603 Depth=1
	v_mov_b32_e32 v1, 1
	ds_write_b32 v0, v1
	s_trap 2
.LBB4_2661:                             ;   in Loop: Header=BB4_2603 Depth=1
	s_or_b64 exec, exec, s[76:77]
	;;#ASMSTART
	s_wakeup
	;;#ASMEND
.LBB4_2662:                             ;   in Loop: Header=BB4_2603 Depth=1
	s_or_b64 exec, exec, s[22:23]
.LBB4_2663:                             ;   in Loop: Header=BB4_2603 Depth=1
	s_andn2_saveexec_b64 s[20:21], s[20:21]
	s_cbranch_execz .LBB4_2665
; %bb.2664:                             ;   in Loop: Header=BB4_2603 Depth=1
	s_waitcnt vmcnt(0) lgkmcnt(0)
	buffer_wbinvl1_vol
	s_barrier
.LBB4_2665:                             ;   in Loop: Header=BB4_2603 Depth=1
	s_or_b64 exec, exec, s[20:21]
.LBB4_2666:                             ;   in Loop: Header=BB4_2603 Depth=1
	s_or_b64 exec, exec, s[18:19]
	s_trap 2
	s_waitcnt lgkmcnt(0)
	ds_read_b64 v[3:4], v0
	buffer_load_dword v1, off, s[0:3], s33 offset:128 ; 4-byte Folded Reload
	buffer_load_dword v2, off, s[0:3], s33 offset:132 ; 4-byte Folded Reload
	;; [unrolled: 1-line block ×3, first 2 shown]
	s_waitcnt lgkmcnt(0)
	v_cmp_eq_u64_e32 vcc, 0, v[3:4]
	s_waitcnt vmcnt(0)
	v_min_u32_e32 v2, v2, v1
	buffer_store_dword v2, off, s[0:3], s33 offset:72 ; 4-byte Folded Spill
	s_cbranch_vccnz .LBB4_2674
; %bb.2667:                             ;   in Loop: Header=BB4_2603 Depth=1
	buffer_store_dword v3, off, s[0:3], s33 offset:160 ; 4-byte Folded Spill
	s_nop 0
	buffer_store_dword v4, off, s[0:3], s33 offset:164 ; 4-byte Folded Spill
	s_trap 2
	ds_read_b64 v[2:3], v0
	s_waitcnt lgkmcnt(0)
	v_cmp_eq_u64_e32 vcc, 0, v[2:3]
	s_cbranch_vccnz .LBB4_2674
; %bb.2668:                             ;   in Loop: Header=BB4_2603 Depth=1
	s_mov_b64 s[20:21], -1
	s_and_saveexec_b64 s[18:19], s[14:15]
	s_cbranch_execz .LBB4_2670
; %bb.2669:                             ;   in Loop: Header=BB4_2603 Depth=1
	ds_read_b32 v1, v0 offset:720
	s_waitcnt lgkmcnt(0)
	v_and_b32_e32 v1, 15, v1
	v_cmp_eq_u32_e32 vcc, 0, v1
	s_orn2_b64 s[20:21], vcc, exec
.LBB4_2670:                             ;   in Loop: Header=BB4_2603 Depth=1
	s_or_b64 exec, exec, s[18:19]
	s_and_saveexec_b64 s[18:19], s[16:17]
	s_cbranch_execz .LBB4_2672
; %bb.2671:                             ;   in Loop: Header=BB4_2603 Depth=1
	ds_read_b32 v1, v0 offset:784
	s_waitcnt lgkmcnt(0)
	v_and_b32_e32 v1, 15, v1
	v_cmp_eq_u32_e32 vcc, 0, v1
	s_and_b64 s[22:23], s[20:21], vcc
	s_andn2_b64 s[20:21], s[20:21], exec
	s_and_b64 s[22:23], s[22:23], exec
	s_or_b64 s[20:21], s[20:21], s[22:23]
.LBB4_2672:                             ;   in Loop: Header=BB4_2603 Depth=1
	s_or_b64 exec, exec, s[18:19]
	v_cmp_eq_u32_e32 vcc, 0, v0
	buffer_load_dword v0, off, s[0:3], s33 offset:72 ; 4-byte Folded Reload
	s_xor_b64 s[20:21], s[20:21], -1
	s_mov_b64 s[18:19], -1
	v_mov_b32_e32 v10, 0
	v_mov_b32_e32 v12, v47
	s_waitcnt vmcnt(0)
	v_cndmask_b32_e32 v1, 0, v0, vcc
	v_cndmask_b32_e64 v0, 0, 1, s[20:21]
	v_cmp_ne_u32_e32 vcc, 0, v0
	v_mov_b32_e32 v11, v1
	v_mov_b32_e32 v0, v45
	buffer_store_dword v1, off, s[0:3], s33 offset:148 ; 4-byte Folded Spill
	s_cbranch_vccz .LBB4_2675
; %bb.2673:                             ;   in Loop: Header=BB4_2603 Depth=1
	s_and_saveexec_b64 s[20:21], s[18:19]
	s_cbranch_execnz .LBB4_4384
	s_branch .LBB4_5072
.LBB4_2674:                             ;   in Loop: Header=BB4_2603 Depth=1
	s_mov_b64 s[18:19], 0
	s_and_saveexec_b64 s[20:21], s[10:11]
	s_cbranch_execnz .LBB4_5073
	s_branch .LBB4_5091
.LBB4_2675:                             ;   in Loop: Header=BB4_2603 Depth=1
	buffer_store_dword v2, off, s[0:3], s33 offset:188 ; 4-byte Folded Spill
	s_nop 0
	buffer_store_dword v3, off, s[0:3], s33 offset:192 ; 4-byte Folded Spill
	buffer_load_dword v0, off, s[0:3], s33 offset:148 ; 4-byte Folded Reload
	s_waitcnt vmcnt(0)
	v_lshrrev_b32_e32 v0, 11, v0
	v_sub_u32_e32 v3, v0, v45
	v_cmp_lt_i32_e32 vcc, 0, v3
	s_and_saveexec_b64 s[20:21], vcc
	s_cbranch_execz .LBB4_3831
; %bb.2676:                             ;   in Loop: Header=BB4_2603 Depth=1
	buffer_store_dword v56, off, s[0:3], s33 offset:176 ; 4-byte Folded Spill
	s_trap 2
	ds_read_b64 v[0:1], v0
	buffer_load_dword v2, off, s[0:3], s33 offset:224 ; 4-byte Folded Reload
	buffer_load_dword v10, off, s[0:3], s33 offset:160 ; 4-byte Folded Reload
	;; [unrolled: 1-line block ×4, first 2 shown]
	s_mov_b64 s[22:23], 0
	s_waitcnt vmcnt(2)
	v_add_co_u32_e32 v44, vcc, v10, v2
	s_waitcnt vmcnt(0)
	v_addc_co_u32_e32 v45, vcc, v11, v4, vcc
	s_waitcnt lgkmcnt(0)
	v_add_co_u32_e32 v46, vcc, v0, v2
	v_addc_co_u32_e32 v47, vcc, v1, v4, vcc
	buffer_load_dword v0, off, s[0:3], s33 offset:188 ; 4-byte Folded Reload
	buffer_load_dword v1, off, s[0:3], s33 offset:192 ; 4-byte Folded Reload
	s_waitcnt vmcnt(1)
	v_add_co_u32_e32 v55, vcc, v0, v2
	s_waitcnt vmcnt(0)
	v_addc_co_u32_e32 v56, vcc, v1, v4, vcc
	s_branch .LBB4_2679
.LBB4_2677:                             ;   in Loop: Header=BB4_2679 Depth=2
	s_or_b64 exec, exec, s[76:77]
.LBB4_2678:                             ;   in Loop: Header=BB4_2679 Depth=2
	s_or_b64 exec, exec, s[18:19]
	v_lshl_or_b32 v1, v31, 8, v30
	v_lshlrev_b32_e32 v2, 16, v34
	v_lshlrev_b32_e32 v12, 24, v18
	v_or3_b32 v17, v1, v2, v12
	buffer_load_dword v1, off, s[0:3], s33 offset:80 ; 4-byte Folded Reload
	buffer_load_dword v2, off, s[0:3], s33 offset:84 ; 4-byte Folded Reload
	v_lshlrev_b32_e32 v12, 24, v29
	v_lshlrev_b32_e32 v0, 24, v0
	s_waitcnt vmcnt(0)
	v_lshl_or_b32 v1, v2, 8, v1
	v_lshlrev_b32_e32 v2, 16, v28
	v_or3_b32 v16, v1, v2, v12
	v_lshl_or_b32 v1, v22, 8, v19
	v_lshlrev_b32_e32 v2, 16, v23
	v_lshlrev_b32_e32 v12, 24, v35
	v_or3_b32 v18, v1, v2, v12
	v_lshlrev_b32_e32 v1, 24, v20
	v_lshlrev_b32_e32 v2, 16, v4
	v_lshl_or_b32 v4, v49, 8, v48
	v_or3_b32 v19, v4, v2, v1
	v_lshl_or_b32 v1, v58, 8, v57
	v_lshlrev_b32_e32 v2, 16, v59
	v_lshlrev_b32_e32 v4, 24, v10
	v_or3_b32 v13, v1, v2, v4
	v_lshl_or_b32 v1, v24, 8, v21
	v_lshlrev_b32_e32 v2, 16, v25
	v_lshlrev_b32_e32 v4, 24, v54
	;; [unrolled: 4-line block ×3, first 2 shown]
	v_or3_b32 v14, v1, v2, v4
	v_lshlrev_b32_e32 v1, 16, v40
	v_lshl_or_b32 v2, v62, 8, v61
	v_or3_b32 v15, v2, v1, v0
	global_store_dwordx4 v[55:56], v[16:19], off glc slc
	global_store_dwordx4 v[55:56], v[12:15], off offset:1024 glc slc
	buffer_load_dword v1, off, s[0:3], s33 offset:136 ; 4-byte Folded Reload
	buffer_load_dword v0, off, s[0:3], s33 offset:68 ; 4-byte Folded Reload
	s_waitcnt vmcnt(1)
	v_add_co_u32_e32 v44, vcc, v44, v1
	v_addc_co_u32_e32 v45, vcc, 0, v45, vcc
	v_add_co_u32_e32 v46, vcc, v46, v1
	v_addc_co_u32_e32 v47, vcc, 0, v47, vcc
	s_waitcnt vmcnt(0)
	v_sub_u32_e32 v3, v3, v0
	v_cmp_gt_i32_e32 vcc, 1, v3
	s_or_b64 s[22:23], vcc, s[22:23]
	v_add_co_u32_e32 v55, vcc, v55, v1
	v_addc_co_u32_e32 v56, vcc, 0, v56, vcc
	s_andn2_b64 exec, exec, s[22:23]
	s_cbranch_execz .LBB4_3830
.LBB4_2679:                             ;   Parent Loop BB4_2603 Depth=1
                                        ; =>  This Inner Loop Header: Depth=2
	global_load_dwordx4 v[22:25], v[44:45], off glc slc
	global_load_dwordx4 v[14:17], v[44:45], off offset:1024 glc slc
	global_load_dwordx4 v[18:21], v[46:47], off glc slc
	global_load_dwordx4 v[10:13], v[46:47], off offset:1024 glc slc
	v_mov_b32_e32 v0, 0
	v_mov_b32_e32 v1, 0
	s_waitcnt vmcnt(3)
	v_cmp_ne_u16_sdwa s[76:77], v22, v51 src0_sel:BYTE_0 src1_sel:DWORD
	s_and_saveexec_b64 s[18:19], s[76:77]
	s_cbranch_execz .LBB4_2687
; %bb.2680:                             ;   in Loop: Header=BB4_2679 Depth=2
	v_cmp_ne_u16_sdwa s[78:79], sext(v22), s49 src0_sel:BYTE_0 src1_sel:DWORD
	v_bfrev_b32_e32 v1, 1
	s_and_saveexec_b64 s[76:77], s[78:79]
	s_cbranch_execz .LBB4_2686
; %bb.2681:                             ;   in Loop: Header=BB4_2679 Depth=2
	v_and_b32_e32 v1, 0x7c, v22
	v_and_b32_e32 v2, 3, v22
	v_cmp_ne_u32_e32 vcc, s50, v1
                                        ; implicit-def: $vgpr1
	s_and_saveexec_b64 s[78:79], vcc
	s_xor_b64 s[78:79], exec, s[78:79]
	s_cbranch_execz .LBB4_2683
; %bb.2682:                             ;   in Loop: Header=BB4_2679 Depth=2
	v_ffbh_u32_e32 v4, v2
	v_min_u32_e32 v4, 32, v4
	v_bfe_u32 v1, v22, 2, 5
	v_subrev_u32_e32 v26, 29, v4
	v_lshlrev_b64 v[26:27], v26, v[22:23]
	v_sub_u32_e32 v4, 30, v4
	v_cmp_eq_u32_e32 vcc, 0, v1
	v_cndmask_b32_e32 v1, v1, v4, vcc
	v_lshlrev_b32_e32 v4, 24, v22
	v_and_b32_e32 v26, 3, v26
	v_and_b32_e32 v4, 0x80000000, v4
	v_cndmask_b32_e32 v2, v2, v26, vcc
	v_lshl_add_u32 v1, v1, 23, v4
	v_lshl_or_b32 v1, v2, 21, v1
	v_add_u32_e32 v1, 0x38000000, v1
                                        ; implicit-def: $vgpr2
.LBB4_2683:                             ;   in Loop: Header=BB4_2679 Depth=2
	s_andn2_saveexec_b64 s[78:79], s[78:79]
; %bb.2684:                             ;   in Loop: Header=BB4_2679 Depth=2
	v_cmp_gt_i16_sdwa vcc, sext(v22), v43 src0_sel:BYTE_0 src1_sel:DWORD
	v_cndmask_b32_e32 v1, v5, v36, vcc
	v_cmp_eq_u32_e32 vcc, 0, v2
	v_cndmask_b32_e32 v1, v37, v1, vcc
; %bb.2685:                             ;   in Loop: Header=BB4_2679 Depth=2
	s_or_b64 exec, exec, s[78:79]
.LBB4_2686:                             ;   in Loop: Header=BB4_2679 Depth=2
	s_or_b64 exec, exec, s[76:77]
.LBB4_2687:                             ;   in Loop: Header=BB4_2679 Depth=2
	s_or_b64 exec, exec, s[18:19]
	s_waitcnt vmcnt(1)
	v_cmp_ne_u16_sdwa s[76:77], v18, v51 src0_sel:BYTE_0 src1_sel:DWORD
	s_and_saveexec_b64 s[18:19], s[76:77]
	s_cbranch_execz .LBB4_2695
; %bb.2688:                             ;   in Loop: Header=BB4_2679 Depth=2
	v_cmp_ne_u16_sdwa s[78:79], sext(v18), s49 src0_sel:BYTE_0 src1_sel:DWORD
	v_bfrev_b32_e32 v0, 1
	s_and_saveexec_b64 s[76:77], s[78:79]
	s_cbranch_execz .LBB4_2694
; %bb.2689:                             ;   in Loop: Header=BB4_2679 Depth=2
	v_and_b32_e32 v0, 0x7c, v18
	v_and_b32_e32 v2, 3, v18
	v_cmp_ne_u32_e32 vcc, s50, v0
                                        ; implicit-def: $vgpr0
	s_and_saveexec_b64 s[78:79], vcc
	s_xor_b64 s[78:79], exec, s[78:79]
	s_cbranch_execz .LBB4_2691
; %bb.2690:                             ;   in Loop: Header=BB4_2679 Depth=2
	v_ffbh_u32_e32 v4, v2
	v_min_u32_e32 v4, 32, v4
	v_bfe_u32 v0, v18, 2, 5
	v_subrev_u32_e32 v26, 29, v4
	v_lshlrev_b64 v[26:27], v26, v[18:19]
	v_sub_u32_e32 v4, 30, v4
	v_cmp_eq_u32_e32 vcc, 0, v0
	v_cndmask_b32_e32 v0, v0, v4, vcc
	v_lshlrev_b32_e32 v4, 24, v18
	v_and_b32_e32 v26, 3, v26
	v_and_b32_e32 v4, 0x80000000, v4
	v_cndmask_b32_e32 v2, v2, v26, vcc
	v_lshl_add_u32 v0, v0, 23, v4
	v_lshl_or_b32 v0, v2, 21, v0
	v_add_u32_e32 v0, 0x38000000, v0
                                        ; implicit-def: $vgpr2
.LBB4_2691:                             ;   in Loop: Header=BB4_2679 Depth=2
	s_andn2_saveexec_b64 s[78:79], s[78:79]
; %bb.2692:                             ;   in Loop: Header=BB4_2679 Depth=2
	v_cmp_gt_i16_sdwa vcc, sext(v18), v43 src0_sel:BYTE_0 src1_sel:DWORD
	v_cndmask_b32_e32 v0, v5, v36, vcc
	v_cmp_eq_u32_e32 vcc, 0, v2
	v_cndmask_b32_e32 v0, v37, v0, vcc
; %bb.2693:                             ;   in Loop: Header=BB4_2679 Depth=2
	s_or_b64 exec, exec, s[78:79]
.LBB4_2694:                             ;   in Loop: Header=BB4_2679 Depth=2
	s_or_b64 exec, exec, s[76:77]
.LBB4_2695:                             ;   in Loop: Header=BB4_2679 Depth=2
	s_or_b64 exec, exec, s[18:19]
	v_mul_f32_e32 v0, v1, v0
	v_and_b32_e32 v1, 0x7f800000, v0
	v_mov_b32_e32 v2, v51
	v_cmp_ne_u64_e32 vcc, s[58:59], v[1:2]
	v_and_b32_e32 v50, 0x7fffff, v0
                                        ; implicit-def: $vgpr1
                                        ; kill: killed $vgpr1
	s_and_saveexec_b64 s[18:19], vcc
	s_xor_b64 s[76:77], exec, s[18:19]
	s_cbranch_execz .LBB4_2709
; %bb.2696:                             ;   in Loop: Header=BB4_2679 Depth=2
	v_and_b32_e32 v1, 0x7fffffff, v0
	v_mov_b32_e32 v2, v51
	v_cmp_gt_u64_e32 vcc, s[60:61], v[1:2]
	v_and_b32_sdwa v4, v0, s52 dst_sel:DWORD dst_unused:UNUSED_PAD src0_sel:BYTE_3 src1_sel:DWORD
                                        ; implicit-def: $vgpr1
                                        ; kill: killed $vgpr1
	s_and_saveexec_b64 s[18:19], vcc
	s_xor_b64 s[78:79], exec, s[18:19]
	s_cbranch_execz .LBB4_2706
; %bb.2697:                             ;   in Loop: Header=BB4_2679 Depth=2
	v_mov_b32_e32 v1, 0
	v_cmp_ne_u32_e32 vcc, 0, v0
	buffer_store_dword v1, off, s[0:3], s33 offset:80 ; 4-byte Folded Spill
	s_and_saveexec_b64 s[88:89], vcc
	s_cbranch_execz .LBB4_2705
; %bb.2698:                             ;   in Loop: Header=BB4_2679 Depth=2
	v_bfe_u32 v26, v0, 23, 8
	v_cmp_gt_u32_e64 s[18:19], s53, v26
	v_sub_u32_e32 v0, 0x71, v26
	v_cmp_eq_u32_e32 vcc, 0, v26
	v_cndmask_b32_e64 v0, 0, v0, s[18:19]
	v_mov_b32_e32 v2, 0x70
	v_cndmask_b32_e32 v27, v0, v2, vcc
	v_or_b32_e32 v1, 0x800000, v50
	v_add_u32_e32 v0, 21, v27
	v_cndmask_b32_e32 v50, v1, v50, vcc
	v_lshlrev_b64 v[0:1], v0, -1
	v_add_u32_e32 v2, 20, v27
	v_lshlrev_b64 v[28:29], v2, 1
	v_bfi_b32 v1, v1, 0, 0
	v_bfi_b32 v0, v0, 0, v50
	v_cmp_eq_u64_e64 s[18:19], v[0:1], v[28:29]
	v_lshrrev_b64 v[0:1], v27, v[50:51]
	v_mov_b32_e32 v2, v1
	v_mov_b32_e32 v1, v0
	s_and_saveexec_b64 s[90:91], s[18:19]
; %bb.2699:                             ;   in Loop: Header=BB4_2679 Depth=2
	v_bfe_u32 v1, v0, 21, 1
	v_add_co_u32_e64 v1, s[18:19], v0, v1
	v_add_co_u32_e64 v1, s[18:19], -1, v1
; %bb.2700:                             ;   in Loop: Header=BB4_2679 Depth=2
	s_or_b64 exec, exec, s[90:91]
	v_add_u32_e32 v2, 0xffffff81, v26
	v_mov_b32_e32 v26, 0xffffff82
	v_cndmask_b32_e32 v2, v2, v26, vcc
	v_lshrrev_b32_e32 v26, 23, v0
	v_add3_u32 v27, v27, v2, v26
	v_add_u32_e32 v26, 14, v27
	v_and_b32_e32 v1, 0x1fffff, v1
	v_add_u32_e32 v50, v1, v0
	v_cmp_ne_u32_e32 vcc, 0, v26
                                        ; implicit-def: $vgpr0_vgpr1
                                        ; implicit-def: $vgpr2
	s_and_saveexec_b64 s[18:19], vcc
	s_xor_b64 s[18:19], exec, s[18:19]
; %bb.2701:                             ;   in Loop: Header=BB4_2679 Depth=2
	v_cmp_lt_u64_e32 vcc, s[62:63], v[50:51]
	v_add_u32_e32 v0, 15, v27
	v_cndmask_b32_e32 v2, v26, v0, vcc
	v_cndmask_b32_e64 v0, 0, 1, vcc
	v_lshrrev_b64 v[0:1], v0, v[50:51]
; %bb.2702:                             ;   in Loop: Header=BB4_2679 Depth=2
	s_andn2_saveexec_b64 s[18:19], s[18:19]
; %bb.2703:                             ;   in Loop: Header=BB4_2679 Depth=2
	v_mov_b32_e32 v0, v50
	v_bfe_u32 v2, v50, 23, 1
	v_mov_b32_e32 v1, v51
; %bb.2704:                             ;   in Loop: Header=BB4_2679 Depth=2
	s_or_b64 exec, exec, s[18:19]
	v_lshrrev_b64 v[0:1], 21, v[0:1]
	v_cmp_gt_i32_e32 vcc, 32, v2
	v_cndmask_b32_e32 v1, 0, v1, vcc
	v_cndmask_b32_e32 v0, 3, v0, vcc
	v_cmp_eq_u64_e64 s[18:19], 0, v[0:1]
	v_min_i32_e32 v1, 31, v2
	v_lshlrev_b32_e32 v1, 2, v1
	v_cmp_eq_u32_e32 vcc, 0, v2
	v_and_b32_e32 v1, 0xfc, v1
	v_and_or_b32 v0, v0, 3, v1
	s_and_b64 s[18:19], vcc, s[18:19]
	v_cndmask_b32_e64 v0, v0, 0, s[18:19]
	v_or_b32_e32 v0, v0, v4
	buffer_store_dword v0, off, s[0:3], s33 offset:80 ; 4-byte Folded Spill
.LBB4_2705:                             ;   in Loop: Header=BB4_2679 Depth=2
	s_or_b64 exec, exec, s[88:89]
                                        ; implicit-def: $vgpr4
.LBB4_2706:                             ;   in Loop: Header=BB4_2679 Depth=2
	s_andn2_saveexec_b64 s[18:19], s[78:79]
	s_cbranch_execz .LBB4_2708
; %bb.2707:                             ;   in Loop: Header=BB4_2679 Depth=2
	v_or_b32_e32 v0, 0x7b, v4
	buffer_store_dword v0, off, s[0:3], s33 offset:80 ; 4-byte Folded Spill
.LBB4_2708:                             ;   in Loop: Header=BB4_2679 Depth=2
	s_or_b64 exec, exec, s[18:19]
                                        ; implicit-def: $vgpr0
.LBB4_2709:                             ;   in Loop: Header=BB4_2679 Depth=2
	s_andn2_saveexec_b64 s[18:19], s[76:77]
	s_cbranch_execz .LBB4_2715
; %bb.2710:                             ;   in Loop: Header=BB4_2679 Depth=2
	v_cmp_ne_u64_e32 vcc, 0, v[50:51]
                                        ; implicit-def: $vgpr1
                                        ; kill: killed $vgpr1
	s_and_saveexec_b64 s[76:77], vcc
	s_xor_b64 s[76:77], exec, s[76:77]
	s_cbranch_execz .LBB4_2712
; %bb.2711:                             ;   in Loop: Header=BB4_2679 Depth=2
	v_or_b32_sdwa v0, v0, s54 dst_sel:DWORD dst_unused:UNUSED_PAD src0_sel:BYTE_3 src1_sel:DWORD
	buffer_store_dword v0, off, s[0:3], s33 offset:80 ; 4-byte Folded Spill
                                        ; implicit-def: $vgpr0
.LBB4_2712:                             ;   in Loop: Header=BB4_2679 Depth=2
	s_andn2_saveexec_b64 s[76:77], s[76:77]
	s_cbranch_execz .LBB4_2714
; %bb.2713:                             ;   in Loop: Header=BB4_2679 Depth=2
	v_cmp_lt_i32_e32 vcc, -1, v0
	v_bfrev_b32_e32 v0, 0.5
	v_mov_b32_e32 v1, 0x7c
	v_cndmask_b32_e32 v0, v0, v1, vcc
	buffer_store_dword v0, off, s[0:3], s33 offset:80 ; 4-byte Folded Spill
.LBB4_2714:                             ;   in Loop: Header=BB4_2679 Depth=2
	s_or_b64 exec, exec, s[76:77]
.LBB4_2715:                             ;   in Loop: Header=BB4_2679 Depth=2
	s_or_b64 exec, exec, s[18:19]
	v_lshrrev_b16_e32 v50, 8, v22
	v_cmp_ne_u16_e32 vcc, 0, v50
	v_mov_b32_e32 v0, 0
	v_mov_b32_e32 v1, 0
	s_and_saveexec_b64 s[18:19], vcc
	s_cbranch_execz .LBB4_2723
; %bb.2716:                             ;   in Loop: Header=BB4_2679 Depth=2
	v_cmp_ne_u16_e32 vcc, s52, v50
	v_bfrev_b32_e32 v1, 1
	s_and_saveexec_b64 s[76:77], vcc
	s_cbranch_execz .LBB4_2722
; %bb.2717:                             ;   in Loop: Header=BB4_2679 Depth=2
	v_and_b32_e32 v1, 0x7c, v50
	v_and_b32_e32 v2, 3, v50
	v_cmp_ne_u32_e32 vcc, s50, v1
                                        ; implicit-def: $vgpr1
	s_and_saveexec_b64 s[78:79], vcc
	s_xor_b64 s[78:79], exec, s[78:79]
	s_cbranch_execz .LBB4_2719
; %bb.2718:                             ;   in Loop: Header=BB4_2679 Depth=2
	v_ffbh_u32_e32 v4, v2
	v_min_u32_e32 v4, 32, v4
	v_bfe_u32 v1, v50, 2, 5
	v_subrev_u32_e32 v26, 29, v4
	v_lshlrev_b64 v[27:28], v26, v[50:51]
	v_sub_u32_e32 v4, 30, v4
	v_cmp_eq_u32_e32 vcc, 0, v1
	v_cndmask_b32_e32 v1, v1, v4, vcc
	v_lshlrev_b32_e32 v4, 16, v22
	v_and_b32_e32 v26, 3, v27
	v_and_b32_e32 v4, 0x80000000, v4
	v_cndmask_b32_e32 v2, v2, v26, vcc
	v_lshl_add_u32 v1, v1, 23, v4
	v_lshl_or_b32 v1, v2, 21, v1
	v_add_u32_e32 v1, 0x38000000, v1
                                        ; implicit-def: $vgpr2
.LBB4_2719:                             ;   in Loop: Header=BB4_2679 Depth=2
	s_andn2_saveexec_b64 s[78:79], s[78:79]
; %bb.2720:                             ;   in Loop: Header=BB4_2679 Depth=2
	v_cmp_lt_i16_e32 vcc, -1, v22
	v_cndmask_b32_e32 v1, v5, v36, vcc
	v_cmp_eq_u32_e32 vcc, 0, v2
	v_cndmask_b32_e32 v1, v37, v1, vcc
; %bb.2721:                             ;   in Loop: Header=BB4_2679 Depth=2
	s_or_b64 exec, exec, s[78:79]
.LBB4_2722:                             ;   in Loop: Header=BB4_2679 Depth=2
	s_or_b64 exec, exec, s[76:77]
.LBB4_2723:                             ;   in Loop: Header=BB4_2679 Depth=2
	s_or_b64 exec, exec, s[18:19]
	v_lshrrev_b16_e32 v50, 8, v18
	v_cmp_ne_u16_e32 vcc, 0, v50
	s_and_saveexec_b64 s[18:19], vcc
	s_cbranch_execz .LBB4_2731
; %bb.2724:                             ;   in Loop: Header=BB4_2679 Depth=2
	v_cmp_ne_u16_e32 vcc, s52, v50
	v_bfrev_b32_e32 v0, 1
	s_and_saveexec_b64 s[76:77], vcc
	s_cbranch_execz .LBB4_2730
; %bb.2725:                             ;   in Loop: Header=BB4_2679 Depth=2
	v_and_b32_e32 v0, 0x7c, v50
	v_and_b32_e32 v2, 3, v50
	v_cmp_ne_u32_e32 vcc, s50, v0
                                        ; implicit-def: $vgpr0
	s_and_saveexec_b64 s[78:79], vcc
	s_xor_b64 s[78:79], exec, s[78:79]
	s_cbranch_execz .LBB4_2727
; %bb.2726:                             ;   in Loop: Header=BB4_2679 Depth=2
	v_ffbh_u32_e32 v4, v2
	v_min_u32_e32 v4, 32, v4
	v_bfe_u32 v0, v50, 2, 5
	v_subrev_u32_e32 v26, 29, v4
	v_lshlrev_b64 v[27:28], v26, v[50:51]
	v_sub_u32_e32 v4, 30, v4
	v_cmp_eq_u32_e32 vcc, 0, v0
	v_cndmask_b32_e32 v0, v0, v4, vcc
	v_lshlrev_b32_e32 v4, 16, v18
	v_and_b32_e32 v26, 3, v27
	v_and_b32_e32 v4, 0x80000000, v4
	v_cndmask_b32_e32 v2, v2, v26, vcc
	v_lshl_add_u32 v0, v0, 23, v4
	v_lshl_or_b32 v0, v2, 21, v0
	v_add_u32_e32 v0, 0x38000000, v0
                                        ; implicit-def: $vgpr2
.LBB4_2727:                             ;   in Loop: Header=BB4_2679 Depth=2
	s_andn2_saveexec_b64 s[78:79], s[78:79]
; %bb.2728:                             ;   in Loop: Header=BB4_2679 Depth=2
	v_cmp_lt_i16_e32 vcc, -1, v18
	v_cndmask_b32_e32 v0, v5, v36, vcc
	v_cmp_eq_u32_e32 vcc, 0, v2
	v_cndmask_b32_e32 v0, v37, v0, vcc
; %bb.2729:                             ;   in Loop: Header=BB4_2679 Depth=2
	s_or_b64 exec, exec, s[78:79]
.LBB4_2730:                             ;   in Loop: Header=BB4_2679 Depth=2
	s_or_b64 exec, exec, s[76:77]
.LBB4_2731:                             ;   in Loop: Header=BB4_2679 Depth=2
	s_or_b64 exec, exec, s[18:19]
	v_mul_f32_e32 v0, v1, v0
	v_and_b32_e32 v1, 0x7f800000, v0
	v_mov_b32_e32 v2, v51
	v_cmp_ne_u64_e32 vcc, s[58:59], v[1:2]
	v_and_b32_e32 v50, 0x7fffff, v0
                                        ; implicit-def: $vgpr1
                                        ; kill: killed $vgpr1
	s_and_saveexec_b64 s[18:19], vcc
	s_xor_b64 s[76:77], exec, s[18:19]
	s_cbranch_execz .LBB4_2745
; %bb.2732:                             ;   in Loop: Header=BB4_2679 Depth=2
	v_and_b32_e32 v1, 0x7fffffff, v0
	v_mov_b32_e32 v2, v51
	v_cmp_gt_u64_e32 vcc, s[60:61], v[1:2]
	v_and_b32_sdwa v4, v0, s52 dst_sel:DWORD dst_unused:UNUSED_PAD src0_sel:BYTE_3 src1_sel:DWORD
                                        ; implicit-def: $vgpr1
                                        ; kill: killed $vgpr1
	s_and_saveexec_b64 s[18:19], vcc
	s_xor_b64 s[78:79], exec, s[18:19]
	s_cbranch_execz .LBB4_2742
; %bb.2733:                             ;   in Loop: Header=BB4_2679 Depth=2
	v_mov_b32_e32 v1, 0
	v_cmp_ne_u32_e32 vcc, 0, v0
	buffer_store_dword v1, off, s[0:3], s33 offset:84 ; 4-byte Folded Spill
	s_and_saveexec_b64 s[88:89], vcc
	s_cbranch_execz .LBB4_2741
; %bb.2734:                             ;   in Loop: Header=BB4_2679 Depth=2
	v_bfe_u32 v27, v0, 23, 8
	v_cmp_gt_u32_e64 s[18:19], s53, v27
	v_sub_u32_e32 v0, 0x71, v27
	v_cmp_eq_u32_e32 vcc, 0, v27
	v_cndmask_b32_e64 v0, 0, v0, s[18:19]
	v_mov_b32_e32 v2, 0x70
	v_cndmask_b32_e32 v28, v0, v2, vcc
	v_or_b32_e32 v1, 0x800000, v50
	v_add_u32_e32 v0, 21, v28
	v_cndmask_b32_e32 v50, v1, v50, vcc
	v_lshlrev_b64 v[0:1], v0, -1
	v_add_u32_e32 v2, 20, v28
	v_lshlrev_b64 v[29:30], v2, 1
	v_bfi_b32 v1, v1, 0, 0
	v_bfi_b32 v0, v0, 0, v50
	v_cmp_eq_u64_e64 s[18:19], v[0:1], v[29:30]
	v_lshrrev_b64 v[0:1], v28, v[50:51]
	v_mov_b32_e32 v2, v1
	v_mov_b32_e32 v1, v0
	s_and_saveexec_b64 s[90:91], s[18:19]
; %bb.2735:                             ;   in Loop: Header=BB4_2679 Depth=2
	v_bfe_u32 v1, v0, 21, 1
	v_add_co_u32_e64 v1, s[18:19], v0, v1
	v_add_co_u32_e64 v1, s[18:19], -1, v1
; %bb.2736:                             ;   in Loop: Header=BB4_2679 Depth=2
	s_or_b64 exec, exec, s[90:91]
	v_add_u32_e32 v2, 0xffffff81, v27
	v_mov_b32_e32 v26, 0xffffff82
	v_cndmask_b32_e32 v2, v2, v26, vcc
	v_lshrrev_b32_e32 v26, 23, v0
	v_add3_u32 v28, v28, v2, v26
	v_add_u32_e32 v27, 14, v28
	v_and_b32_e32 v1, 0x1fffff, v1
	v_add_u32_e32 v50, v1, v0
	v_cmp_ne_u32_e32 vcc, 0, v27
                                        ; implicit-def: $vgpr0_vgpr1
                                        ; implicit-def: $vgpr2
	s_and_saveexec_b64 s[18:19], vcc
	s_xor_b64 s[18:19], exec, s[18:19]
; %bb.2737:                             ;   in Loop: Header=BB4_2679 Depth=2
	v_cmp_lt_u64_e32 vcc, s[62:63], v[50:51]
	v_add_u32_e32 v0, 15, v28
	v_cndmask_b32_e32 v2, v27, v0, vcc
	v_cndmask_b32_e64 v0, 0, 1, vcc
	v_lshrrev_b64 v[0:1], v0, v[50:51]
; %bb.2738:                             ;   in Loop: Header=BB4_2679 Depth=2
	s_andn2_saveexec_b64 s[18:19], s[18:19]
; %bb.2739:                             ;   in Loop: Header=BB4_2679 Depth=2
	v_mov_b32_e32 v0, v50
	v_bfe_u32 v2, v50, 23, 1
	v_mov_b32_e32 v1, v51
; %bb.2740:                             ;   in Loop: Header=BB4_2679 Depth=2
	s_or_b64 exec, exec, s[18:19]
	v_lshrrev_b64 v[0:1], 21, v[0:1]
	v_cmp_gt_i32_e32 vcc, 32, v2
	v_cndmask_b32_e32 v1, 0, v1, vcc
	v_cndmask_b32_e32 v0, 3, v0, vcc
	v_cmp_eq_u64_e64 s[18:19], 0, v[0:1]
	v_min_i32_e32 v1, 31, v2
	v_lshlrev_b32_e32 v1, 2, v1
	v_cmp_eq_u32_e32 vcc, 0, v2
	v_and_b32_e32 v1, 0xfc, v1
	v_and_or_b32 v0, v0, 3, v1
	s_and_b64 s[18:19], vcc, s[18:19]
	v_cndmask_b32_e64 v0, v0, 0, s[18:19]
	v_or_b32_e32 v0, v0, v4
	buffer_store_dword v0, off, s[0:3], s33 offset:84 ; 4-byte Folded Spill
.LBB4_2741:                             ;   in Loop: Header=BB4_2679 Depth=2
	s_or_b64 exec, exec, s[88:89]
                                        ; implicit-def: $vgpr4
.LBB4_2742:                             ;   in Loop: Header=BB4_2679 Depth=2
	s_andn2_saveexec_b64 s[18:19], s[78:79]
	s_cbranch_execz .LBB4_2744
; %bb.2743:                             ;   in Loop: Header=BB4_2679 Depth=2
	v_or_b32_e32 v0, 0x7b, v4
	buffer_store_dword v0, off, s[0:3], s33 offset:84 ; 4-byte Folded Spill
.LBB4_2744:                             ;   in Loop: Header=BB4_2679 Depth=2
	s_or_b64 exec, exec, s[18:19]
                                        ; implicit-def: $vgpr0
.LBB4_2745:                             ;   in Loop: Header=BB4_2679 Depth=2
	s_andn2_saveexec_b64 s[18:19], s[76:77]
	s_cbranch_execz .LBB4_2751
; %bb.2746:                             ;   in Loop: Header=BB4_2679 Depth=2
	v_cmp_ne_u64_e32 vcc, 0, v[50:51]
                                        ; implicit-def: $vgpr1
                                        ; kill: killed $vgpr1
	s_and_saveexec_b64 s[76:77], vcc
	s_xor_b64 s[76:77], exec, s[76:77]
	s_cbranch_execz .LBB4_2748
; %bb.2747:                             ;   in Loop: Header=BB4_2679 Depth=2
	v_or_b32_sdwa v0, v0, s54 dst_sel:DWORD dst_unused:UNUSED_PAD src0_sel:BYTE_3 src1_sel:DWORD
	buffer_store_dword v0, off, s[0:3], s33 offset:84 ; 4-byte Folded Spill
                                        ; implicit-def: $vgpr0
.LBB4_2748:                             ;   in Loop: Header=BB4_2679 Depth=2
	s_andn2_saveexec_b64 s[76:77], s[76:77]
	s_cbranch_execz .LBB4_2750
; %bb.2749:                             ;   in Loop: Header=BB4_2679 Depth=2
	v_cmp_lt_i32_e32 vcc, -1, v0
	v_bfrev_b32_e32 v0, 0.5
	v_mov_b32_e32 v1, 0x7c
	v_cndmask_b32_e32 v0, v0, v1, vcc
	buffer_store_dword v0, off, s[0:3], s33 offset:84 ; 4-byte Folded Spill
.LBB4_2750:                             ;   in Loop: Header=BB4_2679 Depth=2
	s_or_b64 exec, exec, s[76:77]
.LBB4_2751:                             ;   in Loop: Header=BB4_2679 Depth=2
	s_or_b64 exec, exec, s[18:19]
	v_lshrrev_b32_e32 v0, 16, v22
	v_cmp_ne_u16_sdwa s[76:77], v0, v51 src0_sel:BYTE_0 src1_sel:DWORD
	v_mov_b32_e32 v1, 0
	v_mov_b32_e32 v2, 0
	s_and_saveexec_b64 s[18:19], s[76:77]
	s_cbranch_execz .LBB4_2759
; %bb.2752:                             ;   in Loop: Header=BB4_2679 Depth=2
	v_cmp_ne_u16_sdwa s[78:79], v0, s52 src0_sel:BYTE_0 src1_sel:DWORD
	v_bfrev_b32_e32 v2, 1
	s_and_saveexec_b64 s[76:77], s[78:79]
	s_cbranch_execz .LBB4_2758
; %bb.2753:                             ;   in Loop: Header=BB4_2679 Depth=2
	v_and_b32_e32 v2, 0x7c0000, v22
	v_bfe_u32 v4, v22, 16, 2
	v_cmp_ne_u32_e32 vcc, s55, v2
                                        ; implicit-def: $vgpr2
	s_and_saveexec_b64 s[78:79], vcc
	s_xor_b64 s[78:79], exec, s[78:79]
	s_cbranch_execz .LBB4_2755
; %bb.2754:                             ;   in Loop: Header=BB4_2679 Depth=2
	v_ffbh_u32_e32 v26, v4
	v_min_u32_e32 v26, 32, v26
	v_subrev_u32_e32 v27, 29, v26
	v_lshlrev_b64 v[28:29], v27, v[0:1]
	v_bfe_u32 v2, v22, 18, 5
	v_sub_u32_e32 v0, 30, v26
	v_and_b32_e32 v26, 3, v28
	v_cmp_eq_u32_e32 vcc, 0, v2
	v_cndmask_b32_e32 v0, v2, v0, vcc
	v_cndmask_b32_e32 v2, v4, v26, vcc
	v_lshlrev_b32_e32 v4, 8, v22
	v_and_b32_e32 v4, 0x80000000, v4
	v_lshl_add_u32 v0, v0, 23, v4
	v_lshl_or_b32 v0, v2, 21, v0
	v_add_u32_e32 v2, 0x38000000, v0
                                        ; implicit-def: $vgpr4
                                        ; implicit-def: $vgpr0
.LBB4_2755:                             ;   in Loop: Header=BB4_2679 Depth=2
	s_andn2_saveexec_b64 s[78:79], s[78:79]
; %bb.2756:                             ;   in Loop: Header=BB4_2679 Depth=2
	v_cmp_gt_i16_sdwa vcc, sext(v0), v43 src0_sel:BYTE_0 src1_sel:DWORD
	v_cndmask_b32_e32 v0, v5, v36, vcc
	v_cmp_eq_u32_e32 vcc, 0, v4
	v_cndmask_b32_e32 v2, v37, v0, vcc
; %bb.2757:                             ;   in Loop: Header=BB4_2679 Depth=2
	s_or_b64 exec, exec, s[78:79]
.LBB4_2758:                             ;   in Loop: Header=BB4_2679 Depth=2
	s_or_b64 exec, exec, s[76:77]
.LBB4_2759:                             ;   in Loop: Header=BB4_2679 Depth=2
	s_or_b64 exec, exec, s[18:19]
	v_lshrrev_b32_e32 v0, 16, v18
	v_cmp_ne_u16_sdwa s[76:77], v0, v51 src0_sel:BYTE_0 src1_sel:DWORD
	s_and_saveexec_b64 s[18:19], s[76:77]
	s_cbranch_execz .LBB4_2767
; %bb.2760:                             ;   in Loop: Header=BB4_2679 Depth=2
	v_cmp_ne_u16_sdwa s[78:79], v0, s52 src0_sel:BYTE_0 src1_sel:DWORD
	v_bfrev_b32_e32 v1, 1
	s_and_saveexec_b64 s[76:77], s[78:79]
	s_cbranch_execz .LBB4_2766
; %bb.2761:                             ;   in Loop: Header=BB4_2679 Depth=2
	v_and_b32_e32 v1, 0x7c0000, v18
	v_bfe_u32 v4, v18, 16, 2
	v_cmp_ne_u32_e32 vcc, s55, v1
                                        ; implicit-def: $vgpr1
	s_and_saveexec_b64 s[78:79], vcc
	s_xor_b64 s[78:79], exec, s[78:79]
	s_cbranch_execz .LBB4_2763
; %bb.2762:                             ;   in Loop: Header=BB4_2679 Depth=2
	v_ffbh_u32_e32 v1, v4
	v_min_u32_e32 v27, 32, v1
	v_subrev_u32_e32 v1, 29, v27
	v_lshlrev_b64 v[0:1], v1, v[0:1]
	v_bfe_u32 v26, v18, 18, 5
	v_and_b32_e32 v0, 3, v0
	v_cmp_eq_u32_e32 vcc, 0, v26
	v_sub_u32_e32 v1, 30, v27
	v_cndmask_b32_e32 v0, v4, v0, vcc
	v_lshlrev_b32_e32 v4, 8, v18
	v_cndmask_b32_e32 v1, v26, v1, vcc
	v_and_b32_e32 v4, 0x80000000, v4
	v_lshl_add_u32 v1, v1, 23, v4
	v_lshl_or_b32 v0, v0, 21, v1
	v_add_u32_e32 v1, 0x38000000, v0
                                        ; implicit-def: $vgpr4
                                        ; implicit-def: $vgpr0
.LBB4_2763:                             ;   in Loop: Header=BB4_2679 Depth=2
	s_andn2_saveexec_b64 s[78:79], s[78:79]
; %bb.2764:                             ;   in Loop: Header=BB4_2679 Depth=2
	v_cmp_gt_i16_sdwa vcc, sext(v0), v43 src0_sel:BYTE_0 src1_sel:DWORD
	v_cndmask_b32_e32 v0, v5, v36, vcc
	v_cmp_eq_u32_e32 vcc, 0, v4
	v_cndmask_b32_e32 v1, v37, v0, vcc
; %bb.2765:                             ;   in Loop: Header=BB4_2679 Depth=2
	s_or_b64 exec, exec, s[78:79]
.LBB4_2766:                             ;   in Loop: Header=BB4_2679 Depth=2
	s_or_b64 exec, exec, s[76:77]
.LBB4_2767:                             ;   in Loop: Header=BB4_2679 Depth=2
	s_or_b64 exec, exec, s[18:19]
	v_mul_f32_e32 v0, v2, v1
	v_and_b32_e32 v1, 0x7f800000, v0
	v_mov_b32_e32 v2, v51
	v_cmp_ne_u64_e32 vcc, s[58:59], v[1:2]
	v_and_b32_e32 v50, 0x7fffff, v0
                                        ; implicit-def: $vgpr28
	s_and_saveexec_b64 s[18:19], vcc
	s_xor_b64 s[76:77], exec, s[18:19]
	s_cbranch_execz .LBB4_2781
; %bb.2768:                             ;   in Loop: Header=BB4_2679 Depth=2
	v_and_b32_e32 v1, 0x7fffffff, v0
	v_mov_b32_e32 v2, v51
	v_cmp_gt_u64_e32 vcc, s[60:61], v[1:2]
	v_and_b32_sdwa v4, v0, s52 dst_sel:DWORD dst_unused:UNUSED_PAD src0_sel:BYTE_3 src1_sel:DWORD
                                        ; implicit-def: $vgpr28
	s_and_saveexec_b64 s[18:19], vcc
	s_xor_b64 s[78:79], exec, s[18:19]
	s_cbranch_execz .LBB4_2778
; %bb.2769:                             ;   in Loop: Header=BB4_2679 Depth=2
	v_mov_b32_e32 v28, 0
	v_cmp_ne_u32_e32 vcc, 0, v0
	s_and_saveexec_b64 s[88:89], vcc
	s_cbranch_execz .LBB4_2777
; %bb.2770:                             ;   in Loop: Header=BB4_2679 Depth=2
	v_bfe_u32 v28, v0, 23, 8
	v_cmp_gt_u32_e64 s[18:19], s53, v28
	v_sub_u32_e32 v0, 0x71, v28
	v_cmp_eq_u32_e32 vcc, 0, v28
	v_cndmask_b32_e64 v0, 0, v0, s[18:19]
	v_mov_b32_e32 v2, 0x70
	v_cndmask_b32_e32 v29, v0, v2, vcc
	v_or_b32_e32 v1, 0x800000, v50
	v_add_u32_e32 v0, 21, v29
	v_cndmask_b32_e32 v50, v1, v50, vcc
	v_lshlrev_b64 v[0:1], v0, -1
	v_add_u32_e32 v2, 20, v29
	v_lshlrev_b64 v[30:31], v2, 1
	v_bfi_b32 v1, v1, 0, 0
	v_bfi_b32 v0, v0, 0, v50
	v_cmp_eq_u64_e64 s[18:19], v[0:1], v[30:31]
	v_lshrrev_b64 v[0:1], v29, v[50:51]
	v_mov_b32_e32 v2, v1
	v_mov_b32_e32 v1, v0
	s_and_saveexec_b64 s[90:91], s[18:19]
; %bb.2771:                             ;   in Loop: Header=BB4_2679 Depth=2
	v_bfe_u32 v1, v0, 21, 1
	v_add_co_u32_e64 v1, s[18:19], v0, v1
	v_add_co_u32_e64 v1, s[18:19], -1, v1
; %bb.2772:                             ;   in Loop: Header=BB4_2679 Depth=2
	s_or_b64 exec, exec, s[90:91]
	v_add_u32_e32 v2, 0xffffff81, v28
	v_mov_b32_e32 v26, 0xffffff82
	v_cndmask_b32_e32 v2, v2, v26, vcc
	v_lshrrev_b32_e32 v26, 23, v0
	v_add3_u32 v29, v29, v2, v26
	v_add_u32_e32 v28, 14, v29
	v_and_b32_e32 v1, 0x1fffff, v1
	v_add_u32_e32 v50, v1, v0
	v_cmp_ne_u32_e32 vcc, 0, v28
                                        ; implicit-def: $vgpr0_vgpr1
                                        ; implicit-def: $vgpr2
	s_and_saveexec_b64 s[18:19], vcc
	s_xor_b64 s[18:19], exec, s[18:19]
; %bb.2773:                             ;   in Loop: Header=BB4_2679 Depth=2
	v_cmp_lt_u64_e32 vcc, s[62:63], v[50:51]
	v_add_u32_e32 v0, 15, v29
	v_cndmask_b32_e32 v2, v28, v0, vcc
	v_cndmask_b32_e64 v0, 0, 1, vcc
	v_lshrrev_b64 v[0:1], v0, v[50:51]
; %bb.2774:                             ;   in Loop: Header=BB4_2679 Depth=2
	s_andn2_saveexec_b64 s[18:19], s[18:19]
; %bb.2775:                             ;   in Loop: Header=BB4_2679 Depth=2
	v_mov_b32_e32 v0, v50
	v_bfe_u32 v2, v50, 23, 1
	v_mov_b32_e32 v1, v51
; %bb.2776:                             ;   in Loop: Header=BB4_2679 Depth=2
	s_or_b64 exec, exec, s[18:19]
	v_lshrrev_b64 v[0:1], 21, v[0:1]
	v_cmp_gt_i32_e32 vcc, 32, v2
	v_cndmask_b32_e32 v1, 0, v1, vcc
	v_cndmask_b32_e32 v0, 3, v0, vcc
	v_cmp_eq_u64_e64 s[18:19], 0, v[0:1]
	v_min_i32_e32 v1, 31, v2
	v_lshlrev_b32_e32 v1, 2, v1
	v_cmp_eq_u32_e32 vcc, 0, v2
	v_and_b32_e32 v1, 0xfc, v1
	v_and_or_b32 v0, v0, 3, v1
	s_and_b64 s[18:19], vcc, s[18:19]
	v_cndmask_b32_e64 v0, v0, 0, s[18:19]
	v_or_b32_e32 v28, v0, v4
.LBB4_2777:                             ;   in Loop: Header=BB4_2679 Depth=2
	s_or_b64 exec, exec, s[88:89]
                                        ; implicit-def: $vgpr4
.LBB4_2778:                             ;   in Loop: Header=BB4_2679 Depth=2
	s_andn2_saveexec_b64 s[18:19], s[78:79]
; %bb.2779:                             ;   in Loop: Header=BB4_2679 Depth=2
	v_or_b32_e32 v28, 0x7b, v4
; %bb.2780:                             ;   in Loop: Header=BB4_2679 Depth=2
	s_or_b64 exec, exec, s[18:19]
                                        ; implicit-def: $vgpr0
.LBB4_2781:                             ;   in Loop: Header=BB4_2679 Depth=2
	s_andn2_saveexec_b64 s[18:19], s[76:77]
	s_cbranch_execz .LBB4_2787
; %bb.2782:                             ;   in Loop: Header=BB4_2679 Depth=2
	v_cmp_ne_u64_e32 vcc, 0, v[50:51]
                                        ; implicit-def: $vgpr28
	s_and_saveexec_b64 s[76:77], vcc
	s_xor_b64 s[76:77], exec, s[76:77]
; %bb.2783:                             ;   in Loop: Header=BB4_2679 Depth=2
	v_or_b32_sdwa v28, v0, s54 dst_sel:DWORD dst_unused:UNUSED_PAD src0_sel:BYTE_3 src1_sel:DWORD
                                        ; implicit-def: $vgpr0
; %bb.2784:                             ;   in Loop: Header=BB4_2679 Depth=2
	s_andn2_saveexec_b64 s[76:77], s[76:77]
; %bb.2785:                             ;   in Loop: Header=BB4_2679 Depth=2
	v_cmp_lt_i32_e32 vcc, -1, v0
	v_bfrev_b32_e32 v0, 0.5
	v_mov_b32_e32 v1, 0x7c
	v_cndmask_b32_e32 v28, v0, v1, vcc
; %bb.2786:                             ;   in Loop: Header=BB4_2679 Depth=2
	s_or_b64 exec, exec, s[76:77]
.LBB4_2787:                             ;   in Loop: Header=BB4_2679 Depth=2
	s_or_b64 exec, exec, s[18:19]
	v_cmp_lt_u32_e32 vcc, s57, v22
	v_mov_b32_e32 v1, 0
	v_mov_b32_e32 v2, 0
	s_and_saveexec_b64 s[18:19], vcc
	s_cbranch_execz .LBB4_2795
; %bb.2788:                             ;   in Loop: Header=BB4_2679 Depth=2
	v_lshrrev_b32_e32 v0, 24, v22
	v_cmp_ne_u32_e32 vcc, s52, v0
	v_bfrev_b32_e32 v2, 1
	s_and_saveexec_b64 s[76:77], vcc
	s_cbranch_execz .LBB4_2794
; %bb.2789:                             ;   in Loop: Header=BB4_2679 Depth=2
	v_and_b32_e32 v2, 0x7c000000, v22
	v_bfe_u32 v4, v22, 24, 2
	v_cmp_ne_u32_e32 vcc, s64, v2
                                        ; implicit-def: $vgpr2
	s_and_saveexec_b64 s[78:79], vcc
	s_xor_b64 s[78:79], exec, s[78:79]
	s_cbranch_execz .LBB4_2791
; %bb.2790:                             ;   in Loop: Header=BB4_2679 Depth=2
	v_ffbh_u32_e32 v26, v4
	v_min_u32_e32 v26, 32, v26
	v_subrev_u32_e32 v27, 29, v26
	v_lshlrev_b64 v[29:30], v27, v[0:1]
	v_bfe_u32 v2, v22, 26, 5
	v_sub_u32_e32 v0, 30, v26
	v_and_b32_e32 v26, 3, v29
	v_cmp_eq_u32_e32 vcc, 0, v2
	v_cndmask_b32_e32 v0, v2, v0, vcc
	v_cndmask_b32_e32 v2, v4, v26, vcc
	v_and_b32_e32 v4, 0x80000000, v22
	v_lshl_add_u32 v0, v0, 23, v4
	v_lshl_or_b32 v0, v2, 21, v0
	v_add_u32_e32 v2, 0x38000000, v0
                                        ; implicit-def: $vgpr4
.LBB4_2791:                             ;   in Loop: Header=BB4_2679 Depth=2
	s_andn2_saveexec_b64 s[78:79], s[78:79]
; %bb.2792:                             ;   in Loop: Header=BB4_2679 Depth=2
	v_cmp_lt_i32_e32 vcc, -1, v22
	v_cndmask_b32_e32 v0, v5, v36, vcc
	v_cmp_eq_u32_e32 vcc, 0, v4
	v_cndmask_b32_e32 v2, v37, v0, vcc
; %bb.2793:                             ;   in Loop: Header=BB4_2679 Depth=2
	s_or_b64 exec, exec, s[78:79]
.LBB4_2794:                             ;   in Loop: Header=BB4_2679 Depth=2
	s_or_b64 exec, exec, s[76:77]
.LBB4_2795:                             ;   in Loop: Header=BB4_2679 Depth=2
	s_or_b64 exec, exec, s[18:19]
	v_cmp_lt_u32_e32 vcc, s57, v18
	s_and_saveexec_b64 s[18:19], vcc
	s_cbranch_execz .LBB4_2803
; %bb.2796:                             ;   in Loop: Header=BB4_2679 Depth=2
	v_lshrrev_b32_e32 v0, 24, v18
	v_cmp_ne_u32_e32 vcc, s52, v0
	v_bfrev_b32_e32 v1, 1
	s_and_saveexec_b64 s[76:77], vcc
	s_cbranch_execz .LBB4_2802
; %bb.2797:                             ;   in Loop: Header=BB4_2679 Depth=2
	v_and_b32_e32 v1, 0x7c000000, v18
	v_bfe_u32 v4, v18, 24, 2
	v_cmp_ne_u32_e32 vcc, s64, v1
                                        ; implicit-def: $vgpr1
	s_and_saveexec_b64 s[78:79], vcc
	s_xor_b64 s[78:79], exec, s[78:79]
	s_cbranch_execz .LBB4_2799
; %bb.2798:                             ;   in Loop: Header=BB4_2679 Depth=2
	v_ffbh_u32_e32 v1, v4
	v_min_u32_e32 v27, 32, v1
	v_subrev_u32_e32 v1, 29, v27
	v_lshlrev_b64 v[0:1], v1, v[0:1]
	v_bfe_u32 v26, v18, 26, 5
	v_sub_u32_e32 v1, 30, v27
	v_and_b32_e32 v0, 3, v0
	v_cmp_eq_u32_e32 vcc, 0, v26
	v_cndmask_b32_e32 v1, v26, v1, vcc
	v_cndmask_b32_e32 v0, v4, v0, vcc
	v_and_b32_e32 v4, 0x80000000, v18
	v_lshl_add_u32 v1, v1, 23, v4
	v_lshl_or_b32 v0, v0, 21, v1
	v_add_u32_e32 v1, 0x38000000, v0
                                        ; implicit-def: $vgpr4
.LBB4_2799:                             ;   in Loop: Header=BB4_2679 Depth=2
	s_andn2_saveexec_b64 s[78:79], s[78:79]
; %bb.2800:                             ;   in Loop: Header=BB4_2679 Depth=2
	v_cmp_lt_i32_e32 vcc, -1, v18
	v_cndmask_b32_e32 v0, v5, v36, vcc
	v_cmp_eq_u32_e32 vcc, 0, v4
	v_cndmask_b32_e32 v1, v37, v0, vcc
; %bb.2801:                             ;   in Loop: Header=BB4_2679 Depth=2
	s_or_b64 exec, exec, s[78:79]
.LBB4_2802:                             ;   in Loop: Header=BB4_2679 Depth=2
	s_or_b64 exec, exec, s[76:77]
.LBB4_2803:                             ;   in Loop: Header=BB4_2679 Depth=2
	s_or_b64 exec, exec, s[18:19]
	v_mul_f32_e32 v0, v2, v1
	v_and_b32_e32 v1, 0x7f800000, v0
	v_mov_b32_e32 v2, v51
	v_cmp_ne_u64_e32 vcc, s[58:59], v[1:2]
	v_and_b32_e32 v50, 0x7fffff, v0
                                        ; implicit-def: $vgpr29
	s_and_saveexec_b64 s[18:19], vcc
	s_xor_b64 s[76:77], exec, s[18:19]
	s_cbranch_execz .LBB4_2817
; %bb.2804:                             ;   in Loop: Header=BB4_2679 Depth=2
	v_and_b32_e32 v1, 0x7fffffff, v0
	v_mov_b32_e32 v2, v51
	v_cmp_gt_u64_e32 vcc, s[60:61], v[1:2]
	v_and_b32_sdwa v4, v0, s52 dst_sel:DWORD dst_unused:UNUSED_PAD src0_sel:BYTE_3 src1_sel:DWORD
                                        ; implicit-def: $vgpr29
	s_and_saveexec_b64 s[18:19], vcc
	s_xor_b64 s[78:79], exec, s[18:19]
	s_cbranch_execz .LBB4_2814
; %bb.2805:                             ;   in Loop: Header=BB4_2679 Depth=2
	v_mov_b32_e32 v29, 0
	v_cmp_ne_u32_e32 vcc, 0, v0
	s_and_saveexec_b64 s[88:89], vcc
	s_cbranch_execz .LBB4_2813
; %bb.2806:                             ;   in Loop: Header=BB4_2679 Depth=2
	v_bfe_u32 v29, v0, 23, 8
	v_cmp_gt_u32_e64 s[18:19], s53, v29
	v_sub_u32_e32 v0, 0x71, v29
	v_cmp_eq_u32_e32 vcc, 0, v29
	v_cndmask_b32_e64 v0, 0, v0, s[18:19]
	v_mov_b32_e32 v2, 0x70
	v_cndmask_b32_e32 v30, v0, v2, vcc
	v_or_b32_e32 v1, 0x800000, v50
	v_add_u32_e32 v0, 21, v30
	v_cndmask_b32_e32 v50, v1, v50, vcc
	v_lshlrev_b64 v[0:1], v0, -1
	v_add_u32_e32 v2, 20, v30
	v_lshlrev_b64 v[34:35], v2, 1
	v_bfi_b32 v1, v1, 0, 0
	v_bfi_b32 v0, v0, 0, v50
	v_cmp_eq_u64_e64 s[18:19], v[0:1], v[34:35]
	v_lshrrev_b64 v[0:1], v30, v[50:51]
	v_mov_b32_e32 v2, v1
	v_mov_b32_e32 v1, v0
	s_and_saveexec_b64 s[90:91], s[18:19]
; %bb.2807:                             ;   in Loop: Header=BB4_2679 Depth=2
	v_bfe_u32 v1, v0, 21, 1
	v_add_co_u32_e64 v1, s[18:19], v0, v1
	v_add_co_u32_e64 v1, s[18:19], -1, v1
; %bb.2808:                             ;   in Loop: Header=BB4_2679 Depth=2
	s_or_b64 exec, exec, s[90:91]
	v_add_u32_e32 v2, 0xffffff81, v29
	v_mov_b32_e32 v26, 0xffffff82
	v_cndmask_b32_e32 v2, v2, v26, vcc
	v_lshrrev_b32_e32 v26, 23, v0
	v_add3_u32 v30, v30, v2, v26
	v_add_u32_e32 v29, 14, v30
	v_and_b32_e32 v1, 0x1fffff, v1
	v_add_u32_e32 v50, v1, v0
	v_cmp_ne_u32_e32 vcc, 0, v29
                                        ; implicit-def: $vgpr0_vgpr1
                                        ; implicit-def: $vgpr2
	s_and_saveexec_b64 s[18:19], vcc
	s_xor_b64 s[18:19], exec, s[18:19]
; %bb.2809:                             ;   in Loop: Header=BB4_2679 Depth=2
	v_cmp_lt_u64_e32 vcc, s[62:63], v[50:51]
	v_add_u32_e32 v0, 15, v30
	v_cndmask_b32_e32 v2, v29, v0, vcc
	v_cndmask_b32_e64 v0, 0, 1, vcc
	v_lshrrev_b64 v[0:1], v0, v[50:51]
; %bb.2810:                             ;   in Loop: Header=BB4_2679 Depth=2
	s_andn2_saveexec_b64 s[18:19], s[18:19]
; %bb.2811:                             ;   in Loop: Header=BB4_2679 Depth=2
	v_mov_b32_e32 v0, v50
	v_bfe_u32 v2, v50, 23, 1
	v_mov_b32_e32 v1, v51
; %bb.2812:                             ;   in Loop: Header=BB4_2679 Depth=2
	s_or_b64 exec, exec, s[18:19]
	v_lshrrev_b64 v[0:1], 21, v[0:1]
	v_cmp_gt_i32_e32 vcc, 32, v2
	v_cndmask_b32_e32 v1, 0, v1, vcc
	v_cndmask_b32_e32 v0, 3, v0, vcc
	v_cmp_eq_u64_e64 s[18:19], 0, v[0:1]
	v_min_i32_e32 v1, 31, v2
	v_lshlrev_b32_e32 v1, 2, v1
	v_cmp_eq_u32_e32 vcc, 0, v2
	v_and_b32_e32 v1, 0xfc, v1
	v_and_or_b32 v0, v0, 3, v1
	s_and_b64 s[18:19], vcc, s[18:19]
	v_cndmask_b32_e64 v0, v0, 0, s[18:19]
	v_or_b32_e32 v29, v0, v4
.LBB4_2813:                             ;   in Loop: Header=BB4_2679 Depth=2
	s_or_b64 exec, exec, s[88:89]
                                        ; implicit-def: $vgpr4
.LBB4_2814:                             ;   in Loop: Header=BB4_2679 Depth=2
	s_andn2_saveexec_b64 s[18:19], s[78:79]
; %bb.2815:                             ;   in Loop: Header=BB4_2679 Depth=2
	v_or_b32_e32 v29, 0x7b, v4
; %bb.2816:                             ;   in Loop: Header=BB4_2679 Depth=2
	s_or_b64 exec, exec, s[18:19]
                                        ; implicit-def: $vgpr0
.LBB4_2817:                             ;   in Loop: Header=BB4_2679 Depth=2
	s_andn2_saveexec_b64 s[18:19], s[76:77]
	s_cbranch_execz .LBB4_2823
; %bb.2818:                             ;   in Loop: Header=BB4_2679 Depth=2
	v_cmp_ne_u64_e32 vcc, 0, v[50:51]
                                        ; implicit-def: $vgpr29
	s_and_saveexec_b64 s[76:77], vcc
	s_xor_b64 s[76:77], exec, s[76:77]
; %bb.2819:                             ;   in Loop: Header=BB4_2679 Depth=2
	v_or_b32_sdwa v29, v0, s54 dst_sel:DWORD dst_unused:UNUSED_PAD src0_sel:BYTE_3 src1_sel:DWORD
                                        ; implicit-def: $vgpr0
; %bb.2820:                             ;   in Loop: Header=BB4_2679 Depth=2
	s_andn2_saveexec_b64 s[76:77], s[76:77]
; %bb.2821:                             ;   in Loop: Header=BB4_2679 Depth=2
	v_cmp_lt_i32_e32 vcc, -1, v0
	v_bfrev_b32_e32 v0, 0.5
	v_mov_b32_e32 v1, 0x7c
	v_cndmask_b32_e32 v29, v0, v1, vcc
; %bb.2822:                             ;   in Loop: Header=BB4_2679 Depth=2
	s_or_b64 exec, exec, s[76:77]
.LBB4_2823:                             ;   in Loop: Header=BB4_2679 Depth=2
	s_or_b64 exec, exec, s[18:19]
	v_mov_b32_e32 v50, v23
	v_cmp_ne_u16_sdwa s[76:77], v23, v51 src0_sel:BYTE_0 src1_sel:DWORD
	v_mov_b32_e32 v1, 0
	v_mov_b32_e32 v0, 0
	s_and_saveexec_b64 s[18:19], s[76:77]
	s_cbranch_execz .LBB4_2831
; %bb.2824:                             ;   in Loop: Header=BB4_2679 Depth=2
	v_cmp_ne_u16_sdwa s[78:79], v23, s52 src0_sel:BYTE_0 src1_sel:DWORD
	v_bfrev_b32_e32 v0, 1
	s_and_saveexec_b64 s[76:77], s[78:79]
	s_cbranch_execz .LBB4_2830
; %bb.2825:                             ;   in Loop: Header=BB4_2679 Depth=2
	v_and_b32_e32 v0, 0x7c, v23
	v_and_b32_e32 v2, 3, v23
	v_cmp_ne_u32_e32 vcc, s50, v0
                                        ; implicit-def: $vgpr0
	s_and_saveexec_b64 s[78:79], vcc
	s_xor_b64 s[78:79], exec, s[78:79]
	s_cbranch_execz .LBB4_2827
; %bb.2826:                             ;   in Loop: Header=BB4_2679 Depth=2
	v_ffbh_u32_e32 v4, v2
	v_min_u32_e32 v4, 32, v4
	v_bfe_u32 v0, v23, 2, 5
	v_subrev_u32_e32 v26, 29, v4
	v_lshlrev_b64 v[30:31], v26, v[50:51]
	v_sub_u32_e32 v4, 30, v4
	v_cmp_eq_u32_e32 vcc, 0, v0
	v_cndmask_b32_e32 v0, v0, v4, vcc
	v_lshlrev_b32_e32 v4, 24, v23
	v_and_b32_e32 v26, 3, v30
	v_and_b32_e32 v4, 0x80000000, v4
	v_cndmask_b32_e32 v2, v2, v26, vcc
	v_lshl_add_u32 v0, v0, 23, v4
	v_lshl_or_b32 v0, v2, 21, v0
	v_add_u32_e32 v0, 0x38000000, v0
                                        ; implicit-def: $vgpr2
.LBB4_2827:                             ;   in Loop: Header=BB4_2679 Depth=2
	s_andn2_saveexec_b64 s[78:79], s[78:79]
; %bb.2828:                             ;   in Loop: Header=BB4_2679 Depth=2
	v_cmp_gt_i16_sdwa vcc, sext(v23), v43 src0_sel:BYTE_0 src1_sel:DWORD
	v_cndmask_b32_e32 v0, v5, v36, vcc
	v_cmp_eq_u32_e32 vcc, 0, v2
	v_cndmask_b32_e32 v0, v37, v0, vcc
; %bb.2829:                             ;   in Loop: Header=BB4_2679 Depth=2
	s_or_b64 exec, exec, s[78:79]
.LBB4_2830:                             ;   in Loop: Header=BB4_2679 Depth=2
	s_or_b64 exec, exec, s[76:77]
.LBB4_2831:                             ;   in Loop: Header=BB4_2679 Depth=2
	s_or_b64 exec, exec, s[18:19]
	v_cmp_ne_u16_sdwa s[76:77], v19, v51 src0_sel:BYTE_0 src1_sel:DWORD
	s_and_saveexec_b64 s[18:19], s[76:77]
	s_cbranch_execz .LBB4_2839
; %bb.2832:                             ;   in Loop: Header=BB4_2679 Depth=2
	v_cmp_ne_u16_sdwa s[78:79], v19, s52 src0_sel:BYTE_0 src1_sel:DWORD
	v_bfrev_b32_e32 v1, 1
	s_and_saveexec_b64 s[76:77], s[78:79]
	s_cbranch_execz .LBB4_2838
; %bb.2833:                             ;   in Loop: Header=BB4_2679 Depth=2
	v_and_b32_e32 v1, 0x7c, v19
	v_and_b32_e32 v2, 3, v19
	v_cmp_ne_u32_e32 vcc, s50, v1
                                        ; implicit-def: $vgpr1
	s_and_saveexec_b64 s[78:79], vcc
	s_xor_b64 s[78:79], exec, s[78:79]
	s_cbranch_execz .LBB4_2835
; %bb.2834:                             ;   in Loop: Header=BB4_2679 Depth=2
	v_ffbh_u32_e32 v4, v2
	v_min_u32_e32 v4, 32, v4
	v_mov_b32_e32 v30, v19
	v_mov_b32_e32 v31, v51
	v_bfe_u32 v1, v19, 2, 5
	v_subrev_u32_e32 v26, 29, v4
	v_lshlrev_b64 v[30:31], v26, v[30:31]
	v_sub_u32_e32 v4, 30, v4
	v_cmp_eq_u32_e32 vcc, 0, v1
	v_cndmask_b32_e32 v1, v1, v4, vcc
	v_lshlrev_b32_e32 v4, 24, v19
	v_and_b32_e32 v26, 3, v30
	v_and_b32_e32 v4, 0x80000000, v4
	v_cndmask_b32_e32 v2, v2, v26, vcc
	v_lshl_add_u32 v1, v1, 23, v4
	v_lshl_or_b32 v1, v2, 21, v1
	v_add_u32_e32 v1, 0x38000000, v1
                                        ; implicit-def: $vgpr2
.LBB4_2835:                             ;   in Loop: Header=BB4_2679 Depth=2
	s_andn2_saveexec_b64 s[78:79], s[78:79]
; %bb.2836:                             ;   in Loop: Header=BB4_2679 Depth=2
	v_cmp_gt_i16_sdwa vcc, sext(v19), v43 src0_sel:BYTE_0 src1_sel:DWORD
	v_cndmask_b32_e32 v1, v5, v36, vcc
	v_cmp_eq_u32_e32 vcc, 0, v2
	v_cndmask_b32_e32 v1, v37, v1, vcc
; %bb.2837:                             ;   in Loop: Header=BB4_2679 Depth=2
	s_or_b64 exec, exec, s[78:79]
.LBB4_2838:                             ;   in Loop: Header=BB4_2679 Depth=2
	s_or_b64 exec, exec, s[76:77]
.LBB4_2839:                             ;   in Loop: Header=BB4_2679 Depth=2
	s_or_b64 exec, exec, s[18:19]
	v_mul_f32_e32 v2, v0, v1
	v_and_b32_e32 v30, 0x7f800000, v2
	v_mov_b32_e32 v31, v51
	v_cmp_ne_u64_e32 vcc, s[58:59], v[30:31]
	v_and_b32_e32 v0, 0x7fffff, v2
	v_mov_b32_e32 v1, v51
                                        ; implicit-def: $vgpr30
	s_and_saveexec_b64 s[18:19], vcc
	s_xor_b64 s[76:77], exec, s[18:19]
	s_cbranch_execz .LBB4_2853
; %bb.2840:                             ;   in Loop: Header=BB4_2679 Depth=2
	v_and_b32_e32 v30, 0x7fffffff, v2
	v_mov_b32_e32 v31, v51
	v_cmp_gt_u64_e32 vcc, s[60:61], v[30:31]
	v_and_b32_sdwa v4, v2, s52 dst_sel:DWORD dst_unused:UNUSED_PAD src0_sel:BYTE_3 src1_sel:DWORD
                                        ; implicit-def: $vgpr30
	s_and_saveexec_b64 s[18:19], vcc
	s_xor_b64 s[78:79], exec, s[18:19]
	s_cbranch_execz .LBB4_2850
; %bb.2841:                             ;   in Loop: Header=BB4_2679 Depth=2
	v_mov_b32_e32 v30, 0
	v_cmp_ne_u32_e32 vcc, 0, v2
	s_and_saveexec_b64 s[88:89], vcc
	s_cbranch_execz .LBB4_2849
; %bb.2842:                             ;   in Loop: Header=BB4_2679 Depth=2
	v_bfe_u32 v30, v2, 23, 8
	v_cmp_gt_u32_e64 s[18:19], s53, v30
	v_sub_u32_e32 v2, 0x71, v30
	v_cmp_eq_u32_e32 vcc, 0, v30
	v_cndmask_b32_e64 v2, 0, v2, s[18:19]
	v_mov_b32_e32 v27, 0x70
	v_cndmask_b32_e32 v31, v2, v27, vcc
	v_add_u32_e32 v2, 21, v31
	v_or_b32_e32 v26, 0x800000, v0
	v_lshlrev_b64 v[34:35], v2, -1
	v_cndmask_b32_e32 v0, v26, v0, vcc
	v_add_u32_e32 v2, 20, v31
	v_bfi_b32 v34, v34, 0, v0
	v_lshlrev_b64 v[48:49], v2, 1
	v_lshrrev_b64 v[0:1], v31, v[0:1]
	v_bfi_b32 v35, v35, 0, 0
	v_cmp_eq_u64_e64 s[18:19], v[34:35], v[48:49]
	v_mov_b32_e32 v2, v1
	v_mov_b32_e32 v1, v0
	s_and_saveexec_b64 s[90:91], s[18:19]
; %bb.2843:                             ;   in Loop: Header=BB4_2679 Depth=2
	v_bfe_u32 v1, v0, 21, 1
	v_add_co_u32_e64 v1, s[18:19], v0, v1
	v_add_co_u32_e64 v1, s[18:19], -1, v1
; %bb.2844:                             ;   in Loop: Header=BB4_2679 Depth=2
	s_or_b64 exec, exec, s[90:91]
	v_add_u32_e32 v2, 0xffffff81, v30
	v_mov_b32_e32 v26, 0xffffff82
	v_cndmask_b32_e32 v2, v2, v26, vcc
	v_lshrrev_b32_e32 v26, 23, v0
	v_add3_u32 v31, v31, v2, v26
	v_add_u32_e32 v30, 14, v31
	v_and_b32_e32 v1, 0x1fffff, v1
	v_add_u32_e32 v0, v1, v0
	v_mov_b32_e32 v1, v51
	v_cmp_ne_u32_e32 vcc, 0, v30
                                        ; implicit-def: $vgpr2
	s_and_saveexec_b64 s[18:19], vcc
	s_xor_b64 s[18:19], exec, s[18:19]
; %bb.2845:                             ;   in Loop: Header=BB4_2679 Depth=2
	v_cmp_lt_u64_e32 vcc, s[62:63], v[0:1]
	v_add_u32_e32 v2, 15, v31
	v_cndmask_b32_e64 v26, 0, 1, vcc
	v_cndmask_b32_e32 v2, v30, v2, vcc
	v_lshrrev_b64 v[0:1], v26, v[0:1]
; %bb.2846:                             ;   in Loop: Header=BB4_2679 Depth=2
	s_andn2_saveexec_b64 s[18:19], s[18:19]
; %bb.2847:                             ;   in Loop: Header=BB4_2679 Depth=2
	v_bfe_u32 v2, v0, 23, 1
; %bb.2848:                             ;   in Loop: Header=BB4_2679 Depth=2
	s_or_b64 exec, exec, s[18:19]
	v_lshrrev_b64 v[0:1], 21, v[0:1]
	v_cmp_gt_i32_e32 vcc, 32, v2
	v_cndmask_b32_e32 v1, 0, v1, vcc
	v_cndmask_b32_e32 v0, 3, v0, vcc
	v_cmp_eq_u64_e64 s[18:19], 0, v[0:1]
	v_min_i32_e32 v1, 31, v2
	v_lshlrev_b32_e32 v1, 2, v1
	v_cmp_eq_u32_e32 vcc, 0, v2
	v_and_b32_e32 v1, 0xfc, v1
	v_and_or_b32 v0, v0, 3, v1
	s_and_b64 s[18:19], vcc, s[18:19]
	v_cndmask_b32_e64 v0, v0, 0, s[18:19]
	v_or_b32_e32 v30, v0, v4
.LBB4_2849:                             ;   in Loop: Header=BB4_2679 Depth=2
	s_or_b64 exec, exec, s[88:89]
                                        ; implicit-def: $vgpr4
.LBB4_2850:                             ;   in Loop: Header=BB4_2679 Depth=2
	s_andn2_saveexec_b64 s[18:19], s[78:79]
; %bb.2851:                             ;   in Loop: Header=BB4_2679 Depth=2
	v_or_b32_e32 v30, 0x7b, v4
; %bb.2852:                             ;   in Loop: Header=BB4_2679 Depth=2
	s_or_b64 exec, exec, s[18:19]
                                        ; implicit-def: $vgpr2
                                        ; implicit-def: $vgpr0_vgpr1
.LBB4_2853:                             ;   in Loop: Header=BB4_2679 Depth=2
	s_andn2_saveexec_b64 s[18:19], s[76:77]
	s_cbranch_execz .LBB4_2859
; %bb.2854:                             ;   in Loop: Header=BB4_2679 Depth=2
	v_cmp_ne_u64_e32 vcc, 0, v[0:1]
                                        ; implicit-def: $vgpr30
	s_and_saveexec_b64 s[76:77], vcc
	s_xor_b64 s[76:77], exec, s[76:77]
; %bb.2855:                             ;   in Loop: Header=BB4_2679 Depth=2
	v_or_b32_sdwa v30, v2, s54 dst_sel:DWORD dst_unused:UNUSED_PAD src0_sel:BYTE_3 src1_sel:DWORD
                                        ; implicit-def: $vgpr2
; %bb.2856:                             ;   in Loop: Header=BB4_2679 Depth=2
	s_andn2_saveexec_b64 s[76:77], s[76:77]
; %bb.2857:                             ;   in Loop: Header=BB4_2679 Depth=2
	v_cmp_lt_i32_e32 vcc, -1, v2
	v_bfrev_b32_e32 v0, 0.5
	v_mov_b32_e32 v1, 0x7c
	v_cndmask_b32_e32 v30, v0, v1, vcc
; %bb.2858:                             ;   in Loop: Header=BB4_2679 Depth=2
	s_or_b64 exec, exec, s[76:77]
.LBB4_2859:                             ;   in Loop: Header=BB4_2679 Depth=2
	s_or_b64 exec, exec, s[18:19]
	v_lshrrev_b16_e32 v0, 8, v50
	v_cmp_ne_u16_e32 vcc, 0, v0
	v_mov_b32_e32 v2, 0
	v_mov_b32_e32 v1, 0
	s_and_saveexec_b64 s[18:19], vcc
	s_cbranch_execz .LBB4_2867
; %bb.2860:                             ;   in Loop: Header=BB4_2679 Depth=2
	v_cmp_ne_u16_e32 vcc, s52, v0
	v_bfrev_b32_e32 v1, 1
	s_and_saveexec_b64 s[76:77], vcc
	s_cbranch_execz .LBB4_2866
; %bb.2861:                             ;   in Loop: Header=BB4_2679 Depth=2
	v_and_b32_e32 v1, 0x7c, v0
	v_and_b32_e32 v4, 3, v0
	v_cmp_ne_u32_e32 vcc, s50, v1
                                        ; implicit-def: $vgpr1
	s_and_saveexec_b64 s[78:79], vcc
	s_xor_b64 s[78:79], exec, s[78:79]
	s_cbranch_execz .LBB4_2863
; %bb.2862:                             ;   in Loop: Header=BB4_2679 Depth=2
	v_ffbh_u32_e32 v27, v4
	v_min_u32_e32 v27, 32, v27
	v_mov_b32_e32 v1, v51
	v_subrev_u32_e32 v31, 29, v27
	v_bfe_u32 v26, v0, 2, 5
	v_lshlrev_b64 v[0:1], v31, v[0:1]
	v_cmp_eq_u32_e32 vcc, 0, v26
	v_and_b32_e32 v0, 3, v0
	v_sub_u32_e32 v1, 30, v27
	v_cndmask_b32_e32 v0, v4, v0, vcc
	v_lshlrev_b32_e32 v4, 16, v50
	v_cndmask_b32_e32 v1, v26, v1, vcc
	v_and_b32_e32 v4, 0x80000000, v4
	v_lshl_add_u32 v1, v1, 23, v4
	v_lshl_or_b32 v0, v0, 21, v1
	v_add_u32_e32 v1, 0x38000000, v0
                                        ; implicit-def: $vgpr4
.LBB4_2863:                             ;   in Loop: Header=BB4_2679 Depth=2
	s_andn2_saveexec_b64 s[78:79], s[78:79]
; %bb.2864:                             ;   in Loop: Header=BB4_2679 Depth=2
	v_cmp_lt_i16_e32 vcc, -1, v50
	v_cndmask_b32_e32 v0, v5, v36, vcc
	v_cmp_eq_u32_e32 vcc, 0, v4
	v_cndmask_b32_e32 v1, v37, v0, vcc
; %bb.2865:                             ;   in Loop: Header=BB4_2679 Depth=2
	s_or_b64 exec, exec, s[78:79]
.LBB4_2866:                             ;   in Loop: Header=BB4_2679 Depth=2
	s_or_b64 exec, exec, s[76:77]
.LBB4_2867:                             ;   in Loop: Header=BB4_2679 Depth=2
	s_or_b64 exec, exec, s[18:19]
	v_lshrrev_b16_e32 v50, 8, v19
	v_cmp_ne_u16_e32 vcc, 0, v50
	s_and_saveexec_b64 s[18:19], vcc
	s_cbranch_execz .LBB4_2875
; %bb.2868:                             ;   in Loop: Header=BB4_2679 Depth=2
	v_cmp_ne_u16_e32 vcc, s52, v50
	v_bfrev_b32_e32 v2, 1
	s_and_saveexec_b64 s[76:77], vcc
	s_cbranch_execz .LBB4_2874
; %bb.2869:                             ;   in Loop: Header=BB4_2679 Depth=2
	v_and_b32_e32 v2, 0x7c, v50
	v_and_b32_e32 v0, 3, v50
	v_cmp_ne_u32_e32 vcc, s50, v2
                                        ; implicit-def: $vgpr2
	s_and_saveexec_b64 s[78:79], vcc
	s_xor_b64 s[78:79], exec, s[78:79]
	s_cbranch_execz .LBB4_2871
; %bb.2870:                             ;   in Loop: Header=BB4_2679 Depth=2
	v_ffbh_u32_e32 v4, v0
	v_min_u32_e32 v4, 32, v4
	v_bfe_u32 v2, v50, 2, 5
	v_subrev_u32_e32 v26, 29, v4
	v_lshlrev_b64 v[34:35], v26, v[50:51]
	v_sub_u32_e32 v4, 30, v4
	v_cmp_eq_u32_e32 vcc, 0, v2
	v_cndmask_b32_e32 v2, v2, v4, vcc
	v_lshlrev_b32_e32 v4, 16, v19
	v_and_b32_e32 v26, 3, v34
	v_and_b32_e32 v4, 0x80000000, v4
	v_cndmask_b32_e32 v0, v0, v26, vcc
	v_lshl_add_u32 v2, v2, 23, v4
	v_lshl_or_b32 v0, v0, 21, v2
	v_add_u32_e32 v2, 0x38000000, v0
                                        ; implicit-def: $vgpr0
.LBB4_2871:                             ;   in Loop: Header=BB4_2679 Depth=2
	s_andn2_saveexec_b64 s[78:79], s[78:79]
; %bb.2872:                             ;   in Loop: Header=BB4_2679 Depth=2
	v_cmp_lt_i16_e32 vcc, -1, v19
	v_cndmask_b32_e32 v2, v5, v36, vcc
	v_cmp_eq_u32_e32 vcc, 0, v0
	v_cndmask_b32_e32 v2, v37, v2, vcc
; %bb.2873:                             ;   in Loop: Header=BB4_2679 Depth=2
	s_or_b64 exec, exec, s[78:79]
.LBB4_2874:                             ;   in Loop: Header=BB4_2679 Depth=2
	s_or_b64 exec, exec, s[76:77]
.LBB4_2875:                             ;   in Loop: Header=BB4_2679 Depth=2
	s_or_b64 exec, exec, s[18:19]
	v_mul_f32_e32 v0, v1, v2
	v_and_b32_e32 v1, 0x7f800000, v0
	v_mov_b32_e32 v2, v51
	v_cmp_ne_u64_e32 vcc, s[58:59], v[1:2]
	v_and_b32_e32 v50, 0x7fffff, v0
                                        ; implicit-def: $vgpr31
	s_and_saveexec_b64 s[18:19], vcc
	s_xor_b64 s[76:77], exec, s[18:19]
	s_cbranch_execz .LBB4_2889
; %bb.2876:                             ;   in Loop: Header=BB4_2679 Depth=2
	v_and_b32_e32 v1, 0x7fffffff, v0
	v_mov_b32_e32 v2, v51
	v_cmp_gt_u64_e32 vcc, s[60:61], v[1:2]
	v_and_b32_sdwa v4, v0, s52 dst_sel:DWORD dst_unused:UNUSED_PAD src0_sel:BYTE_3 src1_sel:DWORD
                                        ; implicit-def: $vgpr31
	s_and_saveexec_b64 s[18:19], vcc
	s_xor_b64 s[78:79], exec, s[18:19]
	s_cbranch_execz .LBB4_2886
; %bb.2877:                             ;   in Loop: Header=BB4_2679 Depth=2
	v_mov_b32_e32 v31, 0
	v_cmp_ne_u32_e32 vcc, 0, v0
	s_and_saveexec_b64 s[88:89], vcc
	s_cbranch_execz .LBB4_2885
; %bb.2878:                             ;   in Loop: Header=BB4_2679 Depth=2
	v_bfe_u32 v31, v0, 23, 8
	v_cmp_gt_u32_e64 s[18:19], s53, v31
	v_sub_u32_e32 v0, 0x71, v31
	v_cmp_eq_u32_e32 vcc, 0, v31
	v_cndmask_b32_e64 v0, 0, v0, s[18:19]
	v_mov_b32_e32 v2, 0x70
	v_cndmask_b32_e32 v34, v0, v2, vcc
	v_or_b32_e32 v1, 0x800000, v50
	v_add_u32_e32 v0, 21, v34
	v_cndmask_b32_e32 v50, v1, v50, vcc
	v_lshlrev_b64 v[0:1], v0, -1
	v_add_u32_e32 v2, 20, v34
	v_lshlrev_b64 v[48:49], v2, 1
	v_bfi_b32 v1, v1, 0, 0
	v_bfi_b32 v0, v0, 0, v50
	v_cmp_eq_u64_e64 s[18:19], v[0:1], v[48:49]
	v_lshrrev_b64 v[0:1], v34, v[50:51]
	v_mov_b32_e32 v2, v1
	v_mov_b32_e32 v1, v0
	s_and_saveexec_b64 s[90:91], s[18:19]
; %bb.2879:                             ;   in Loop: Header=BB4_2679 Depth=2
	v_bfe_u32 v1, v0, 21, 1
	v_add_co_u32_e64 v1, s[18:19], v0, v1
	v_add_co_u32_e64 v1, s[18:19], -1, v1
; %bb.2880:                             ;   in Loop: Header=BB4_2679 Depth=2
	s_or_b64 exec, exec, s[90:91]
	v_add_u32_e32 v2, 0xffffff81, v31
	v_mov_b32_e32 v26, 0xffffff82
	v_cndmask_b32_e32 v2, v2, v26, vcc
	v_lshrrev_b32_e32 v26, 23, v0
	v_add3_u32 v34, v34, v2, v26
	v_add_u32_e32 v31, 14, v34
	v_and_b32_e32 v1, 0x1fffff, v1
	v_add_u32_e32 v50, v1, v0
	v_cmp_ne_u32_e32 vcc, 0, v31
                                        ; implicit-def: $vgpr0_vgpr1
                                        ; implicit-def: $vgpr2
	s_and_saveexec_b64 s[18:19], vcc
	s_xor_b64 s[18:19], exec, s[18:19]
; %bb.2881:                             ;   in Loop: Header=BB4_2679 Depth=2
	v_cmp_lt_u64_e32 vcc, s[62:63], v[50:51]
	v_add_u32_e32 v0, 15, v34
	v_cndmask_b32_e32 v2, v31, v0, vcc
	v_cndmask_b32_e64 v0, 0, 1, vcc
	v_lshrrev_b64 v[0:1], v0, v[50:51]
; %bb.2882:                             ;   in Loop: Header=BB4_2679 Depth=2
	s_andn2_saveexec_b64 s[18:19], s[18:19]
; %bb.2883:                             ;   in Loop: Header=BB4_2679 Depth=2
	v_mov_b32_e32 v0, v50
	v_bfe_u32 v2, v50, 23, 1
	v_mov_b32_e32 v1, v51
; %bb.2884:                             ;   in Loop: Header=BB4_2679 Depth=2
	s_or_b64 exec, exec, s[18:19]
	v_lshrrev_b64 v[0:1], 21, v[0:1]
	v_cmp_gt_i32_e32 vcc, 32, v2
	v_cndmask_b32_e32 v1, 0, v1, vcc
	v_cndmask_b32_e32 v0, 3, v0, vcc
	v_cmp_eq_u64_e64 s[18:19], 0, v[0:1]
	v_min_i32_e32 v1, 31, v2
	v_lshlrev_b32_e32 v1, 2, v1
	v_cmp_eq_u32_e32 vcc, 0, v2
	v_and_b32_e32 v1, 0xfc, v1
	v_and_or_b32 v0, v0, 3, v1
	s_and_b64 s[18:19], vcc, s[18:19]
	v_cndmask_b32_e64 v0, v0, 0, s[18:19]
	v_or_b32_e32 v31, v0, v4
.LBB4_2885:                             ;   in Loop: Header=BB4_2679 Depth=2
	s_or_b64 exec, exec, s[88:89]
                                        ; implicit-def: $vgpr4
.LBB4_2886:                             ;   in Loop: Header=BB4_2679 Depth=2
	s_andn2_saveexec_b64 s[18:19], s[78:79]
; %bb.2887:                             ;   in Loop: Header=BB4_2679 Depth=2
	v_or_b32_e32 v31, 0x7b, v4
; %bb.2888:                             ;   in Loop: Header=BB4_2679 Depth=2
	s_or_b64 exec, exec, s[18:19]
                                        ; implicit-def: $vgpr0
.LBB4_2889:                             ;   in Loop: Header=BB4_2679 Depth=2
	s_andn2_saveexec_b64 s[18:19], s[76:77]
	s_cbranch_execz .LBB4_2895
; %bb.2890:                             ;   in Loop: Header=BB4_2679 Depth=2
	v_cmp_ne_u64_e32 vcc, 0, v[50:51]
                                        ; implicit-def: $vgpr31
	s_and_saveexec_b64 s[76:77], vcc
	s_xor_b64 s[76:77], exec, s[76:77]
; %bb.2891:                             ;   in Loop: Header=BB4_2679 Depth=2
	v_or_b32_sdwa v31, v0, s54 dst_sel:DWORD dst_unused:UNUSED_PAD src0_sel:BYTE_3 src1_sel:DWORD
                                        ; implicit-def: $vgpr0
; %bb.2892:                             ;   in Loop: Header=BB4_2679 Depth=2
	s_andn2_saveexec_b64 s[76:77], s[76:77]
; %bb.2893:                             ;   in Loop: Header=BB4_2679 Depth=2
	v_cmp_lt_i32_e32 vcc, -1, v0
	v_bfrev_b32_e32 v0, 0.5
	v_mov_b32_e32 v1, 0x7c
	v_cndmask_b32_e32 v31, v0, v1, vcc
; %bb.2894:                             ;   in Loop: Header=BB4_2679 Depth=2
	s_or_b64 exec, exec, s[76:77]
.LBB4_2895:                             ;   in Loop: Header=BB4_2679 Depth=2
	s_or_b64 exec, exec, s[18:19]
	v_lshrrev_b32_e32 v0, 16, v23
	v_cmp_ne_u16_sdwa s[76:77], v0, v51 src0_sel:BYTE_0 src1_sel:DWORD
	v_mov_b32_e32 v1, 0
	v_mov_b32_e32 v2, 0
	s_and_saveexec_b64 s[18:19], s[76:77]
	s_cbranch_execz .LBB4_2903
; %bb.2896:                             ;   in Loop: Header=BB4_2679 Depth=2
	v_cmp_ne_u16_sdwa s[78:79], v0, s52 src0_sel:BYTE_0 src1_sel:DWORD
	v_bfrev_b32_e32 v2, 1
	s_and_saveexec_b64 s[76:77], s[78:79]
	s_cbranch_execz .LBB4_2902
; %bb.2897:                             ;   in Loop: Header=BB4_2679 Depth=2
	v_and_b32_e32 v2, 0x7c0000, v23
	v_bfe_u32 v4, v23, 16, 2
	v_cmp_ne_u32_e32 vcc, s55, v2
                                        ; implicit-def: $vgpr2
	s_and_saveexec_b64 s[78:79], vcc
	s_xor_b64 s[78:79], exec, s[78:79]
	s_cbranch_execz .LBB4_2899
; %bb.2898:                             ;   in Loop: Header=BB4_2679 Depth=2
	v_ffbh_u32_e32 v26, v4
	v_min_u32_e32 v26, 32, v26
	v_subrev_u32_e32 v27, 29, v26
	v_lshlrev_b64 v[34:35], v27, v[0:1]
	v_bfe_u32 v2, v23, 18, 5
	v_sub_u32_e32 v0, 30, v26
	v_and_b32_e32 v26, 3, v34
	v_cmp_eq_u32_e32 vcc, 0, v2
	v_cndmask_b32_e32 v0, v2, v0, vcc
	v_cndmask_b32_e32 v2, v4, v26, vcc
	v_lshlrev_b32_e32 v4, 8, v23
	v_and_b32_e32 v4, 0x80000000, v4
	v_lshl_add_u32 v0, v0, 23, v4
	v_lshl_or_b32 v0, v2, 21, v0
	v_add_u32_e32 v2, 0x38000000, v0
                                        ; implicit-def: $vgpr4
                                        ; implicit-def: $vgpr0
.LBB4_2899:                             ;   in Loop: Header=BB4_2679 Depth=2
	s_andn2_saveexec_b64 s[78:79], s[78:79]
; %bb.2900:                             ;   in Loop: Header=BB4_2679 Depth=2
	v_cmp_gt_i16_sdwa vcc, sext(v0), v43 src0_sel:BYTE_0 src1_sel:DWORD
	v_cndmask_b32_e32 v0, v5, v36, vcc
	v_cmp_eq_u32_e32 vcc, 0, v4
	v_cndmask_b32_e32 v2, v37, v0, vcc
; %bb.2901:                             ;   in Loop: Header=BB4_2679 Depth=2
	s_or_b64 exec, exec, s[78:79]
.LBB4_2902:                             ;   in Loop: Header=BB4_2679 Depth=2
	s_or_b64 exec, exec, s[76:77]
.LBB4_2903:                             ;   in Loop: Header=BB4_2679 Depth=2
	s_or_b64 exec, exec, s[18:19]
	v_lshrrev_b32_e32 v0, 16, v19
	v_cmp_ne_u16_sdwa s[76:77], v0, v51 src0_sel:BYTE_0 src1_sel:DWORD
	s_and_saveexec_b64 s[18:19], s[76:77]
	s_cbranch_execz .LBB4_2911
; %bb.2904:                             ;   in Loop: Header=BB4_2679 Depth=2
	v_cmp_ne_u16_sdwa s[78:79], v0, s52 src0_sel:BYTE_0 src1_sel:DWORD
	v_bfrev_b32_e32 v1, 1
	s_and_saveexec_b64 s[76:77], s[78:79]
	s_cbranch_execz .LBB4_2910
; %bb.2905:                             ;   in Loop: Header=BB4_2679 Depth=2
	v_and_b32_e32 v1, 0x7c0000, v19
	v_bfe_u32 v4, v19, 16, 2
	v_cmp_ne_u32_e32 vcc, s55, v1
                                        ; implicit-def: $vgpr1
	s_and_saveexec_b64 s[78:79], vcc
	s_xor_b64 s[78:79], exec, s[78:79]
	s_cbranch_execz .LBB4_2907
; %bb.2906:                             ;   in Loop: Header=BB4_2679 Depth=2
	v_ffbh_u32_e32 v1, v4
	v_min_u32_e32 v27, 32, v1
	v_subrev_u32_e32 v1, 29, v27
	v_lshlrev_b64 v[0:1], v1, v[0:1]
	v_bfe_u32 v26, v19, 18, 5
	v_and_b32_e32 v0, 3, v0
	v_cmp_eq_u32_e32 vcc, 0, v26
	v_sub_u32_e32 v1, 30, v27
	v_cndmask_b32_e32 v0, v4, v0, vcc
	v_lshlrev_b32_e32 v4, 8, v19
	v_cndmask_b32_e32 v1, v26, v1, vcc
	v_and_b32_e32 v4, 0x80000000, v4
	v_lshl_add_u32 v1, v1, 23, v4
	v_lshl_or_b32 v0, v0, 21, v1
	v_add_u32_e32 v1, 0x38000000, v0
                                        ; implicit-def: $vgpr4
                                        ; implicit-def: $vgpr0
.LBB4_2907:                             ;   in Loop: Header=BB4_2679 Depth=2
	s_andn2_saveexec_b64 s[78:79], s[78:79]
; %bb.2908:                             ;   in Loop: Header=BB4_2679 Depth=2
	v_cmp_gt_i16_sdwa vcc, sext(v0), v43 src0_sel:BYTE_0 src1_sel:DWORD
	v_cndmask_b32_e32 v0, v5, v36, vcc
	v_cmp_eq_u32_e32 vcc, 0, v4
	v_cndmask_b32_e32 v1, v37, v0, vcc
; %bb.2909:                             ;   in Loop: Header=BB4_2679 Depth=2
	s_or_b64 exec, exec, s[78:79]
.LBB4_2910:                             ;   in Loop: Header=BB4_2679 Depth=2
	s_or_b64 exec, exec, s[76:77]
.LBB4_2911:                             ;   in Loop: Header=BB4_2679 Depth=2
	s_or_b64 exec, exec, s[18:19]
	v_mul_f32_e32 v0, v2, v1
	v_and_b32_e32 v1, 0x7f800000, v0
	v_mov_b32_e32 v2, v51
	v_cmp_ne_u64_e32 vcc, s[58:59], v[1:2]
	v_and_b32_e32 v50, 0x7fffff, v0
                                        ; implicit-def: $vgpr34
	s_and_saveexec_b64 s[18:19], vcc
	s_xor_b64 s[76:77], exec, s[18:19]
	s_cbranch_execz .LBB4_2925
; %bb.2912:                             ;   in Loop: Header=BB4_2679 Depth=2
	v_and_b32_e32 v1, 0x7fffffff, v0
	v_mov_b32_e32 v2, v51
	v_cmp_gt_u64_e32 vcc, s[60:61], v[1:2]
	v_and_b32_sdwa v4, v0, s52 dst_sel:DWORD dst_unused:UNUSED_PAD src0_sel:BYTE_3 src1_sel:DWORD
                                        ; implicit-def: $vgpr34
	s_and_saveexec_b64 s[18:19], vcc
	s_xor_b64 s[78:79], exec, s[18:19]
	s_cbranch_execz .LBB4_2922
; %bb.2913:                             ;   in Loop: Header=BB4_2679 Depth=2
	v_mov_b32_e32 v34, 0
	v_cmp_ne_u32_e32 vcc, 0, v0
	s_and_saveexec_b64 s[88:89], vcc
	s_cbranch_execz .LBB4_2921
; %bb.2914:                             ;   in Loop: Header=BB4_2679 Depth=2
	v_bfe_u32 v34, v0, 23, 8
	v_cmp_gt_u32_e64 s[18:19], s53, v34
	v_sub_u32_e32 v0, 0x71, v34
	v_cmp_eq_u32_e32 vcc, 0, v34
	v_cndmask_b32_e64 v0, 0, v0, s[18:19]
	v_mov_b32_e32 v2, 0x70
	v_cndmask_b32_e32 v35, v0, v2, vcc
	v_or_b32_e32 v1, 0x800000, v50
	v_add_u32_e32 v0, 21, v35
	v_cndmask_b32_e32 v50, v1, v50, vcc
	v_lshlrev_b64 v[0:1], v0, -1
	v_add_u32_e32 v2, 20, v35
	v_lshlrev_b64 v[48:49], v2, 1
	v_bfi_b32 v1, v1, 0, 0
	v_bfi_b32 v0, v0, 0, v50
	v_cmp_eq_u64_e64 s[18:19], v[0:1], v[48:49]
	v_lshrrev_b64 v[0:1], v35, v[50:51]
	v_mov_b32_e32 v2, v1
	v_mov_b32_e32 v1, v0
	s_and_saveexec_b64 s[90:91], s[18:19]
; %bb.2915:                             ;   in Loop: Header=BB4_2679 Depth=2
	v_bfe_u32 v1, v0, 21, 1
	v_add_co_u32_e64 v1, s[18:19], v0, v1
	v_add_co_u32_e64 v1, s[18:19], -1, v1
; %bb.2916:                             ;   in Loop: Header=BB4_2679 Depth=2
	s_or_b64 exec, exec, s[90:91]
	v_add_u32_e32 v2, 0xffffff81, v34
	v_mov_b32_e32 v26, 0xffffff82
	v_cndmask_b32_e32 v2, v2, v26, vcc
	v_lshrrev_b32_e32 v26, 23, v0
	v_add3_u32 v35, v35, v2, v26
	v_add_u32_e32 v34, 14, v35
	v_and_b32_e32 v1, 0x1fffff, v1
	v_add_u32_e32 v50, v1, v0
	v_cmp_ne_u32_e32 vcc, 0, v34
                                        ; implicit-def: $vgpr0_vgpr1
                                        ; implicit-def: $vgpr2
	s_and_saveexec_b64 s[18:19], vcc
	s_xor_b64 s[18:19], exec, s[18:19]
; %bb.2917:                             ;   in Loop: Header=BB4_2679 Depth=2
	v_cmp_lt_u64_e32 vcc, s[62:63], v[50:51]
	v_add_u32_e32 v0, 15, v35
	v_cndmask_b32_e32 v2, v34, v0, vcc
	v_cndmask_b32_e64 v0, 0, 1, vcc
	v_lshrrev_b64 v[0:1], v0, v[50:51]
; %bb.2918:                             ;   in Loop: Header=BB4_2679 Depth=2
	s_andn2_saveexec_b64 s[18:19], s[18:19]
; %bb.2919:                             ;   in Loop: Header=BB4_2679 Depth=2
	v_mov_b32_e32 v0, v50
	v_bfe_u32 v2, v50, 23, 1
	v_mov_b32_e32 v1, v51
; %bb.2920:                             ;   in Loop: Header=BB4_2679 Depth=2
	s_or_b64 exec, exec, s[18:19]
	v_lshrrev_b64 v[0:1], 21, v[0:1]
	v_cmp_gt_i32_e32 vcc, 32, v2
	v_cndmask_b32_e32 v1, 0, v1, vcc
	v_cndmask_b32_e32 v0, 3, v0, vcc
	v_cmp_eq_u64_e64 s[18:19], 0, v[0:1]
	v_min_i32_e32 v1, 31, v2
	v_lshlrev_b32_e32 v1, 2, v1
	v_cmp_eq_u32_e32 vcc, 0, v2
	v_and_b32_e32 v1, 0xfc, v1
	v_and_or_b32 v0, v0, 3, v1
	s_and_b64 s[18:19], vcc, s[18:19]
	v_cndmask_b32_e64 v0, v0, 0, s[18:19]
	v_or_b32_e32 v34, v0, v4
.LBB4_2921:                             ;   in Loop: Header=BB4_2679 Depth=2
	s_or_b64 exec, exec, s[88:89]
                                        ; implicit-def: $vgpr4
.LBB4_2922:                             ;   in Loop: Header=BB4_2679 Depth=2
	s_andn2_saveexec_b64 s[18:19], s[78:79]
; %bb.2923:                             ;   in Loop: Header=BB4_2679 Depth=2
	v_or_b32_e32 v34, 0x7b, v4
; %bb.2924:                             ;   in Loop: Header=BB4_2679 Depth=2
	s_or_b64 exec, exec, s[18:19]
                                        ; implicit-def: $vgpr0
.LBB4_2925:                             ;   in Loop: Header=BB4_2679 Depth=2
	s_andn2_saveexec_b64 s[18:19], s[76:77]
	s_cbranch_execz .LBB4_2931
; %bb.2926:                             ;   in Loop: Header=BB4_2679 Depth=2
	v_cmp_ne_u64_e32 vcc, 0, v[50:51]
                                        ; implicit-def: $vgpr34
	s_and_saveexec_b64 s[76:77], vcc
	s_xor_b64 s[76:77], exec, s[76:77]
; %bb.2927:                             ;   in Loop: Header=BB4_2679 Depth=2
	v_or_b32_sdwa v34, v0, s54 dst_sel:DWORD dst_unused:UNUSED_PAD src0_sel:BYTE_3 src1_sel:DWORD
                                        ; implicit-def: $vgpr0
; %bb.2928:                             ;   in Loop: Header=BB4_2679 Depth=2
	s_andn2_saveexec_b64 s[76:77], s[76:77]
; %bb.2929:                             ;   in Loop: Header=BB4_2679 Depth=2
	v_cmp_lt_i32_e32 vcc, -1, v0
	v_bfrev_b32_e32 v0, 0.5
	v_mov_b32_e32 v1, 0x7c
	v_cndmask_b32_e32 v34, v0, v1, vcc
; %bb.2930:                             ;   in Loop: Header=BB4_2679 Depth=2
	s_or_b64 exec, exec, s[76:77]
.LBB4_2931:                             ;   in Loop: Header=BB4_2679 Depth=2
	s_or_b64 exec, exec, s[18:19]
	v_cmp_lt_u64_e32 vcc, s[56:57], v[22:23]
	v_mov_b32_e32 v1, 0
	v_mov_b32_e32 v2, 0
	s_and_saveexec_b64 s[18:19], vcc
	s_cbranch_execz .LBB4_2939
; %bb.2932:                             ;   in Loop: Header=BB4_2679 Depth=2
	v_lshrrev_b32_e32 v0, 24, v23
	v_cmp_ne_u32_e32 vcc, s52, v0
	v_bfrev_b32_e32 v2, 1
	s_and_saveexec_b64 s[76:77], vcc
	s_cbranch_execz .LBB4_2938
; %bb.2933:                             ;   in Loop: Header=BB4_2679 Depth=2
	v_and_b32_e32 v2, 0x7c000000, v23
	v_bfe_u32 v4, v23, 24, 2
	v_cmp_ne_u32_e32 vcc, s64, v2
                                        ; implicit-def: $vgpr2
	s_and_saveexec_b64 s[78:79], vcc
	s_xor_b64 s[78:79], exec, s[78:79]
	s_cbranch_execz .LBB4_2935
; %bb.2934:                             ;   in Loop: Header=BB4_2679 Depth=2
	v_ffbh_u32_e32 v26, v4
	v_min_u32_e32 v26, 32, v26
	v_subrev_u32_e32 v27, 29, v26
	v_lshlrev_b64 v[48:49], v27, v[0:1]
	v_bfe_u32 v2, v23, 26, 5
	v_sub_u32_e32 v0, 30, v26
	v_and_b32_e32 v26, 3, v48
	v_cmp_eq_u32_e32 vcc, 0, v2
	v_cndmask_b32_e32 v0, v2, v0, vcc
	v_cndmask_b32_e32 v2, v4, v26, vcc
	v_and_b32_e32 v4, 0x80000000, v23
	v_lshl_add_u32 v0, v0, 23, v4
	v_lshl_or_b32 v0, v2, 21, v0
	v_add_u32_e32 v2, 0x38000000, v0
                                        ; implicit-def: $vgpr4
.LBB4_2935:                             ;   in Loop: Header=BB4_2679 Depth=2
	s_andn2_saveexec_b64 s[78:79], s[78:79]
; %bb.2936:                             ;   in Loop: Header=BB4_2679 Depth=2
	v_cmp_lt_i64_e32 vcc, -1, v[22:23]
	v_cndmask_b32_e32 v0, v5, v36, vcc
	v_cmp_eq_u32_e32 vcc, 0, v4
	v_cndmask_b32_e32 v2, v37, v0, vcc
; %bb.2937:                             ;   in Loop: Header=BB4_2679 Depth=2
	s_or_b64 exec, exec, s[78:79]
.LBB4_2938:                             ;   in Loop: Header=BB4_2679 Depth=2
	s_or_b64 exec, exec, s[76:77]
.LBB4_2939:                             ;   in Loop: Header=BB4_2679 Depth=2
	s_or_b64 exec, exec, s[18:19]
	v_cmp_lt_u64_e32 vcc, s[56:57], v[18:19]
	s_and_saveexec_b64 s[18:19], vcc
	s_cbranch_execz .LBB4_2947
; %bb.2940:                             ;   in Loop: Header=BB4_2679 Depth=2
	v_lshrrev_b32_e32 v0, 24, v19
	v_cmp_ne_u32_e32 vcc, s52, v0
	v_bfrev_b32_e32 v1, 1
	s_and_saveexec_b64 s[76:77], vcc
	s_cbranch_execz .LBB4_2946
; %bb.2941:                             ;   in Loop: Header=BB4_2679 Depth=2
	v_and_b32_e32 v1, 0x7c000000, v19
	v_bfe_u32 v4, v19, 24, 2
	v_cmp_ne_u32_e32 vcc, s64, v1
                                        ; implicit-def: $vgpr1
	s_and_saveexec_b64 s[78:79], vcc
	s_xor_b64 s[78:79], exec, s[78:79]
	s_cbranch_execz .LBB4_2943
; %bb.2942:                             ;   in Loop: Header=BB4_2679 Depth=2
	v_ffbh_u32_e32 v1, v4
	v_min_u32_e32 v23, 32, v1
	v_subrev_u32_e32 v1, 29, v23
	v_lshlrev_b64 v[0:1], v1, v[0:1]
	v_bfe_u32 v22, v19, 26, 5
	v_sub_u32_e32 v1, 30, v23
	v_and_b32_e32 v0, 3, v0
	v_cmp_eq_u32_e32 vcc, 0, v22
	v_cndmask_b32_e32 v1, v22, v1, vcc
	v_cndmask_b32_e32 v0, v4, v0, vcc
	v_and_b32_e32 v4, 0x80000000, v19
	v_lshl_add_u32 v1, v1, 23, v4
	v_lshl_or_b32 v0, v0, 21, v1
	v_add_u32_e32 v1, 0x38000000, v0
                                        ; implicit-def: $vgpr4
.LBB4_2943:                             ;   in Loop: Header=BB4_2679 Depth=2
	s_andn2_saveexec_b64 s[78:79], s[78:79]
; %bb.2944:                             ;   in Loop: Header=BB4_2679 Depth=2
	v_cmp_lt_i64_e32 vcc, -1, v[18:19]
	v_cndmask_b32_e32 v0, v5, v36, vcc
	v_cmp_eq_u32_e32 vcc, 0, v4
	v_cndmask_b32_e32 v1, v37, v0, vcc
; %bb.2945:                             ;   in Loop: Header=BB4_2679 Depth=2
	s_or_b64 exec, exec, s[78:79]
.LBB4_2946:                             ;   in Loop: Header=BB4_2679 Depth=2
	s_or_b64 exec, exec, s[76:77]
.LBB4_2947:                             ;   in Loop: Header=BB4_2679 Depth=2
	s_or_b64 exec, exec, s[18:19]
	v_mul_f32_e32 v0, v2, v1
	v_and_b32_e32 v1, 0x7f800000, v0
	v_mov_b32_e32 v2, v51
	v_cmp_ne_u64_e32 vcc, s[58:59], v[1:2]
	v_and_b32_e32 v50, 0x7fffff, v0
                                        ; implicit-def: $vgpr18
	s_and_saveexec_b64 s[18:19], vcc
	s_xor_b64 s[76:77], exec, s[18:19]
	s_cbranch_execz .LBB4_2961
; %bb.2948:                             ;   in Loop: Header=BB4_2679 Depth=2
	v_and_b32_e32 v1, 0x7fffffff, v0
	v_mov_b32_e32 v2, v51
	v_cmp_gt_u64_e32 vcc, s[60:61], v[1:2]
	v_and_b32_sdwa v4, v0, s52 dst_sel:DWORD dst_unused:UNUSED_PAD src0_sel:BYTE_3 src1_sel:DWORD
                                        ; implicit-def: $vgpr18
	s_and_saveexec_b64 s[18:19], vcc
	s_xor_b64 s[78:79], exec, s[18:19]
	s_cbranch_execz .LBB4_2958
; %bb.2949:                             ;   in Loop: Header=BB4_2679 Depth=2
	v_mov_b32_e32 v18, 0
	v_cmp_ne_u32_e32 vcc, 0, v0
	s_and_saveexec_b64 s[88:89], vcc
	s_cbranch_execz .LBB4_2957
; %bb.2950:                             ;   in Loop: Header=BB4_2679 Depth=2
	v_bfe_u32 v18, v0, 23, 8
	v_cmp_gt_u32_e64 s[18:19], s53, v18
	v_sub_u32_e32 v0, 0x71, v18
	v_cmp_eq_u32_e32 vcc, 0, v18
	v_cndmask_b32_e64 v0, 0, v0, s[18:19]
	v_mov_b32_e32 v2, 0x70
	v_cndmask_b32_e32 v19, v0, v2, vcc
	v_or_b32_e32 v1, 0x800000, v50
	v_add_u32_e32 v0, 21, v19
	v_cndmask_b32_e32 v50, v1, v50, vcc
	v_lshlrev_b64 v[0:1], v0, -1
	v_add_u32_e32 v2, 20, v19
	v_lshlrev_b64 v[22:23], v2, 1
	v_bfi_b32 v1, v1, 0, 0
	v_bfi_b32 v0, v0, 0, v50
	v_cmp_eq_u64_e64 s[18:19], v[0:1], v[22:23]
	v_lshrrev_b64 v[0:1], v19, v[50:51]
	v_mov_b32_e32 v2, v1
	v_mov_b32_e32 v1, v0
	s_and_saveexec_b64 s[90:91], s[18:19]
; %bb.2951:                             ;   in Loop: Header=BB4_2679 Depth=2
	v_bfe_u32 v1, v0, 21, 1
	v_add_co_u32_e64 v1, s[18:19], v0, v1
	v_add_co_u32_e64 v1, s[18:19], -1, v1
; %bb.2952:                             ;   in Loop: Header=BB4_2679 Depth=2
	s_or_b64 exec, exec, s[90:91]
	v_add_u32_e32 v2, 0xffffff81, v18
	v_mov_b32_e32 v18, 0xffffff82
	v_cndmask_b32_e32 v2, v2, v18, vcc
	v_lshrrev_b32_e32 v18, 23, v0
	v_add3_u32 v19, v19, v2, v18
	v_add_u32_e32 v18, 14, v19
	v_and_b32_e32 v1, 0x1fffff, v1
	v_add_u32_e32 v50, v1, v0
	v_cmp_ne_u32_e32 vcc, 0, v18
                                        ; implicit-def: $vgpr0_vgpr1
                                        ; implicit-def: $vgpr2
	s_and_saveexec_b64 s[18:19], vcc
	s_xor_b64 s[18:19], exec, s[18:19]
; %bb.2953:                             ;   in Loop: Header=BB4_2679 Depth=2
	v_cmp_lt_u64_e32 vcc, s[62:63], v[50:51]
	v_add_u32_e32 v0, 15, v19
	v_cndmask_b32_e32 v2, v18, v0, vcc
	v_cndmask_b32_e64 v0, 0, 1, vcc
	v_lshrrev_b64 v[0:1], v0, v[50:51]
; %bb.2954:                             ;   in Loop: Header=BB4_2679 Depth=2
	s_andn2_saveexec_b64 s[18:19], s[18:19]
; %bb.2955:                             ;   in Loop: Header=BB4_2679 Depth=2
	v_mov_b32_e32 v0, v50
	v_bfe_u32 v2, v50, 23, 1
	v_mov_b32_e32 v1, v51
; %bb.2956:                             ;   in Loop: Header=BB4_2679 Depth=2
	s_or_b64 exec, exec, s[18:19]
	v_lshrrev_b64 v[0:1], 21, v[0:1]
	v_cmp_gt_i32_e32 vcc, 32, v2
	v_cndmask_b32_e32 v1, 0, v1, vcc
	v_cndmask_b32_e32 v0, 3, v0, vcc
	v_cmp_eq_u64_e64 s[18:19], 0, v[0:1]
	v_min_i32_e32 v1, 31, v2
	v_lshlrev_b32_e32 v1, 2, v1
	v_cmp_eq_u32_e32 vcc, 0, v2
	v_and_b32_e32 v1, 0xfc, v1
	v_and_or_b32 v0, v0, 3, v1
	s_and_b64 s[18:19], vcc, s[18:19]
	v_cndmask_b32_e64 v0, v0, 0, s[18:19]
	v_or_b32_e32 v18, v0, v4
.LBB4_2957:                             ;   in Loop: Header=BB4_2679 Depth=2
	s_or_b64 exec, exec, s[88:89]
                                        ; implicit-def: $vgpr4
.LBB4_2958:                             ;   in Loop: Header=BB4_2679 Depth=2
	s_andn2_saveexec_b64 s[18:19], s[78:79]
; %bb.2959:                             ;   in Loop: Header=BB4_2679 Depth=2
	v_or_b32_e32 v18, 0x7b, v4
; %bb.2960:                             ;   in Loop: Header=BB4_2679 Depth=2
	s_or_b64 exec, exec, s[18:19]
                                        ; implicit-def: $vgpr0
.LBB4_2961:                             ;   in Loop: Header=BB4_2679 Depth=2
	s_andn2_saveexec_b64 s[18:19], s[76:77]
	s_cbranch_execz .LBB4_2967
; %bb.2962:                             ;   in Loop: Header=BB4_2679 Depth=2
	v_cmp_ne_u64_e32 vcc, 0, v[50:51]
                                        ; implicit-def: $vgpr18
	s_and_saveexec_b64 s[76:77], vcc
	s_xor_b64 s[76:77], exec, s[76:77]
; %bb.2963:                             ;   in Loop: Header=BB4_2679 Depth=2
	v_or_b32_sdwa v18, v0, s54 dst_sel:DWORD dst_unused:UNUSED_PAD src0_sel:BYTE_3 src1_sel:DWORD
                                        ; implicit-def: $vgpr0
; %bb.2964:                             ;   in Loop: Header=BB4_2679 Depth=2
	s_andn2_saveexec_b64 s[76:77], s[76:77]
; %bb.2965:                             ;   in Loop: Header=BB4_2679 Depth=2
	v_cmp_lt_i32_e32 vcc, -1, v0
	v_bfrev_b32_e32 v0, 0.5
	v_mov_b32_e32 v1, 0x7c
	v_cndmask_b32_e32 v18, v0, v1, vcc
; %bb.2966:                             ;   in Loop: Header=BB4_2679 Depth=2
	s_or_b64 exec, exec, s[76:77]
.LBB4_2967:                             ;   in Loop: Header=BB4_2679 Depth=2
	s_or_b64 exec, exec, s[18:19]
	v_cmp_ne_u16_sdwa s[76:77], v24, v51 src0_sel:BYTE_0 src1_sel:DWORD
	v_mov_b32_e32 v0, 0
	v_mov_b32_e32 v1, 0
	s_and_saveexec_b64 s[18:19], s[76:77]
	s_cbranch_execz .LBB4_2975
; %bb.2968:                             ;   in Loop: Header=BB4_2679 Depth=2
	v_cmp_ne_u16_sdwa s[78:79], sext(v24), s49 src0_sel:BYTE_0 src1_sel:DWORD
	v_bfrev_b32_e32 v1, 1
	s_and_saveexec_b64 s[76:77], s[78:79]
	s_cbranch_execz .LBB4_2974
; %bb.2969:                             ;   in Loop: Header=BB4_2679 Depth=2
	v_and_b32_e32 v1, 0x7c, v24
	v_and_b32_e32 v2, 3, v24
	v_cmp_ne_u32_e32 vcc, s50, v1
                                        ; implicit-def: $vgpr1
	s_and_saveexec_b64 s[78:79], vcc
	s_xor_b64 s[78:79], exec, s[78:79]
	s_cbranch_execz .LBB4_2971
; %bb.2970:                             ;   in Loop: Header=BB4_2679 Depth=2
	v_ffbh_u32_e32 v4, v2
	v_min_u32_e32 v4, 32, v4
	v_bfe_u32 v1, v24, 2, 5
	v_subrev_u32_e32 v19, 29, v4
	v_lshlrev_b64 v[22:23], v19, v[24:25]
	v_sub_u32_e32 v4, 30, v4
	v_cmp_eq_u32_e32 vcc, 0, v1
	v_cndmask_b32_e32 v1, v1, v4, vcc
	v_lshlrev_b32_e32 v4, 24, v24
	v_and_b32_e32 v19, 3, v22
	v_and_b32_e32 v4, 0x80000000, v4
	v_cndmask_b32_e32 v2, v2, v19, vcc
	v_lshl_add_u32 v1, v1, 23, v4
	v_lshl_or_b32 v1, v2, 21, v1
	v_add_u32_e32 v1, 0x38000000, v1
                                        ; implicit-def: $vgpr2
.LBB4_2971:                             ;   in Loop: Header=BB4_2679 Depth=2
	s_andn2_saveexec_b64 s[78:79], s[78:79]
; %bb.2972:                             ;   in Loop: Header=BB4_2679 Depth=2
	v_cmp_gt_i16_sdwa vcc, sext(v24), v43 src0_sel:BYTE_0 src1_sel:DWORD
	v_cndmask_b32_e32 v1, v5, v36, vcc
	v_cmp_eq_u32_e32 vcc, 0, v2
	v_cndmask_b32_e32 v1, v37, v1, vcc
; %bb.2973:                             ;   in Loop: Header=BB4_2679 Depth=2
	s_or_b64 exec, exec, s[78:79]
.LBB4_2974:                             ;   in Loop: Header=BB4_2679 Depth=2
	s_or_b64 exec, exec, s[76:77]
.LBB4_2975:                             ;   in Loop: Header=BB4_2679 Depth=2
	s_or_b64 exec, exec, s[18:19]
	v_cmp_ne_u16_sdwa s[76:77], v20, v51 src0_sel:BYTE_0 src1_sel:DWORD
	s_and_saveexec_b64 s[18:19], s[76:77]
	s_cbranch_execz .LBB4_2983
; %bb.2976:                             ;   in Loop: Header=BB4_2679 Depth=2
	v_cmp_ne_u16_sdwa s[78:79], sext(v20), s49 src0_sel:BYTE_0 src1_sel:DWORD
	v_bfrev_b32_e32 v0, 1
	s_and_saveexec_b64 s[76:77], s[78:79]
	s_cbranch_execz .LBB4_2982
; %bb.2977:                             ;   in Loop: Header=BB4_2679 Depth=2
	v_and_b32_e32 v0, 0x7c, v20
	v_and_b32_e32 v2, 3, v20
	v_cmp_ne_u32_e32 vcc, s50, v0
                                        ; implicit-def: $vgpr0
	s_and_saveexec_b64 s[78:79], vcc
	s_xor_b64 s[78:79], exec, s[78:79]
	s_cbranch_execz .LBB4_2979
; %bb.2978:                             ;   in Loop: Header=BB4_2679 Depth=2
	v_ffbh_u32_e32 v4, v2
	v_min_u32_e32 v4, 32, v4
	v_bfe_u32 v0, v20, 2, 5
	v_subrev_u32_e32 v19, 29, v4
	v_lshlrev_b64 v[22:23], v19, v[20:21]
	v_sub_u32_e32 v4, 30, v4
	v_cmp_eq_u32_e32 vcc, 0, v0
	v_cndmask_b32_e32 v0, v0, v4, vcc
	v_lshlrev_b32_e32 v4, 24, v20
	v_and_b32_e32 v19, 3, v22
	v_and_b32_e32 v4, 0x80000000, v4
	v_cndmask_b32_e32 v2, v2, v19, vcc
	v_lshl_add_u32 v0, v0, 23, v4
	v_lshl_or_b32 v0, v2, 21, v0
	v_add_u32_e32 v0, 0x38000000, v0
                                        ; implicit-def: $vgpr2
.LBB4_2979:                             ;   in Loop: Header=BB4_2679 Depth=2
	s_andn2_saveexec_b64 s[78:79], s[78:79]
; %bb.2980:                             ;   in Loop: Header=BB4_2679 Depth=2
	v_cmp_gt_i16_sdwa vcc, sext(v20), v43 src0_sel:BYTE_0 src1_sel:DWORD
	v_cndmask_b32_e32 v0, v5, v36, vcc
	v_cmp_eq_u32_e32 vcc, 0, v2
	v_cndmask_b32_e32 v0, v37, v0, vcc
; %bb.2981:                             ;   in Loop: Header=BB4_2679 Depth=2
	s_or_b64 exec, exec, s[78:79]
.LBB4_2982:                             ;   in Loop: Header=BB4_2679 Depth=2
	s_or_b64 exec, exec, s[76:77]
.LBB4_2983:                             ;   in Loop: Header=BB4_2679 Depth=2
	s_or_b64 exec, exec, s[18:19]
	v_mul_f32_e32 v0, v1, v0
	v_and_b32_e32 v1, 0x7f800000, v0
	v_mov_b32_e32 v2, v51
	v_cmp_ne_u64_e32 vcc, s[58:59], v[1:2]
	v_and_b32_e32 v50, 0x7fffff, v0
                                        ; implicit-def: $vgpr19
	s_and_saveexec_b64 s[18:19], vcc
	s_xor_b64 s[76:77], exec, s[18:19]
	s_cbranch_execz .LBB4_2997
; %bb.2984:                             ;   in Loop: Header=BB4_2679 Depth=2
	v_and_b32_e32 v1, 0x7fffffff, v0
	v_mov_b32_e32 v2, v51
	v_cmp_gt_u64_e32 vcc, s[60:61], v[1:2]
	v_and_b32_sdwa v4, v0, s52 dst_sel:DWORD dst_unused:UNUSED_PAD src0_sel:BYTE_3 src1_sel:DWORD
                                        ; implicit-def: $vgpr19
	s_and_saveexec_b64 s[18:19], vcc
	s_xor_b64 s[78:79], exec, s[18:19]
	s_cbranch_execz .LBB4_2994
; %bb.2985:                             ;   in Loop: Header=BB4_2679 Depth=2
	v_mov_b32_e32 v19, 0
	v_cmp_ne_u32_e32 vcc, 0, v0
	s_and_saveexec_b64 s[88:89], vcc
	s_cbranch_execz .LBB4_2993
; %bb.2986:                             ;   in Loop: Header=BB4_2679 Depth=2
	v_bfe_u32 v19, v0, 23, 8
	v_cmp_gt_u32_e64 s[18:19], s53, v19
	v_sub_u32_e32 v0, 0x71, v19
	v_cmp_eq_u32_e32 vcc, 0, v19
	v_cndmask_b32_e64 v0, 0, v0, s[18:19]
	v_mov_b32_e32 v2, 0x70
	v_cndmask_b32_e32 v22, v0, v2, vcc
	v_or_b32_e32 v1, 0x800000, v50
	v_add_u32_e32 v0, 21, v22
	v_cndmask_b32_e32 v50, v1, v50, vcc
	v_lshlrev_b64 v[0:1], v0, -1
	v_add_u32_e32 v2, 20, v22
	v_lshlrev_b64 v[48:49], v2, 1
	v_bfi_b32 v1, v1, 0, 0
	v_bfi_b32 v0, v0, 0, v50
	v_cmp_eq_u64_e64 s[18:19], v[0:1], v[48:49]
	v_lshrrev_b64 v[0:1], v22, v[50:51]
	v_mov_b32_e32 v2, v1
	v_mov_b32_e32 v1, v0
	s_and_saveexec_b64 s[90:91], s[18:19]
; %bb.2987:                             ;   in Loop: Header=BB4_2679 Depth=2
	v_bfe_u32 v1, v0, 21, 1
	v_add_co_u32_e64 v1, s[18:19], v0, v1
	v_add_co_u32_e64 v1, s[18:19], -1, v1
; %bb.2988:                             ;   in Loop: Header=BB4_2679 Depth=2
	s_or_b64 exec, exec, s[90:91]
	v_add_u32_e32 v2, 0xffffff81, v19
	v_mov_b32_e32 v19, 0xffffff82
	v_cndmask_b32_e32 v2, v2, v19, vcc
	v_lshrrev_b32_e32 v19, 23, v0
	v_add3_u32 v22, v22, v2, v19
	v_add_u32_e32 v19, 14, v22
	v_and_b32_e32 v1, 0x1fffff, v1
	v_add_u32_e32 v50, v1, v0
	v_cmp_ne_u32_e32 vcc, 0, v19
                                        ; implicit-def: $vgpr0_vgpr1
                                        ; implicit-def: $vgpr2
	s_and_saveexec_b64 s[18:19], vcc
	s_xor_b64 s[18:19], exec, s[18:19]
; %bb.2989:                             ;   in Loop: Header=BB4_2679 Depth=2
	v_cmp_lt_u64_e32 vcc, s[62:63], v[50:51]
	v_add_u32_e32 v0, 15, v22
	v_cndmask_b32_e32 v2, v19, v0, vcc
	v_cndmask_b32_e64 v0, 0, 1, vcc
	v_lshrrev_b64 v[0:1], v0, v[50:51]
; %bb.2990:                             ;   in Loop: Header=BB4_2679 Depth=2
	s_andn2_saveexec_b64 s[18:19], s[18:19]
; %bb.2991:                             ;   in Loop: Header=BB4_2679 Depth=2
	v_mov_b32_e32 v0, v50
	v_bfe_u32 v2, v50, 23, 1
	v_mov_b32_e32 v1, v51
; %bb.2992:                             ;   in Loop: Header=BB4_2679 Depth=2
	s_or_b64 exec, exec, s[18:19]
	v_lshrrev_b64 v[0:1], 21, v[0:1]
	v_cmp_gt_i32_e32 vcc, 32, v2
	v_cndmask_b32_e32 v1, 0, v1, vcc
	v_cndmask_b32_e32 v0, 3, v0, vcc
	v_cmp_eq_u64_e64 s[18:19], 0, v[0:1]
	v_min_i32_e32 v1, 31, v2
	v_lshlrev_b32_e32 v1, 2, v1
	v_cmp_eq_u32_e32 vcc, 0, v2
	v_and_b32_e32 v1, 0xfc, v1
	v_and_or_b32 v0, v0, 3, v1
	s_and_b64 s[18:19], vcc, s[18:19]
	v_cndmask_b32_e64 v0, v0, 0, s[18:19]
	v_or_b32_e32 v19, v0, v4
.LBB4_2993:                             ;   in Loop: Header=BB4_2679 Depth=2
	s_or_b64 exec, exec, s[88:89]
                                        ; implicit-def: $vgpr4
.LBB4_2994:                             ;   in Loop: Header=BB4_2679 Depth=2
	s_andn2_saveexec_b64 s[18:19], s[78:79]
; %bb.2995:                             ;   in Loop: Header=BB4_2679 Depth=2
	v_or_b32_e32 v19, 0x7b, v4
; %bb.2996:                             ;   in Loop: Header=BB4_2679 Depth=2
	s_or_b64 exec, exec, s[18:19]
                                        ; implicit-def: $vgpr0
.LBB4_2997:                             ;   in Loop: Header=BB4_2679 Depth=2
	s_andn2_saveexec_b64 s[18:19], s[76:77]
	s_cbranch_execz .LBB4_3003
; %bb.2998:                             ;   in Loop: Header=BB4_2679 Depth=2
	v_cmp_ne_u64_e32 vcc, 0, v[50:51]
                                        ; implicit-def: $vgpr19
	s_and_saveexec_b64 s[76:77], vcc
	s_xor_b64 s[76:77], exec, s[76:77]
; %bb.2999:                             ;   in Loop: Header=BB4_2679 Depth=2
	v_or_b32_sdwa v19, v0, s54 dst_sel:DWORD dst_unused:UNUSED_PAD src0_sel:BYTE_3 src1_sel:DWORD
                                        ; implicit-def: $vgpr0
; %bb.3000:                             ;   in Loop: Header=BB4_2679 Depth=2
	s_andn2_saveexec_b64 s[76:77], s[76:77]
; %bb.3001:                             ;   in Loop: Header=BB4_2679 Depth=2
	v_cmp_lt_i32_e32 vcc, -1, v0
	v_bfrev_b32_e32 v0, 0.5
	v_mov_b32_e32 v1, 0x7c
	v_cndmask_b32_e32 v19, v0, v1, vcc
; %bb.3002:                             ;   in Loop: Header=BB4_2679 Depth=2
	s_or_b64 exec, exec, s[76:77]
.LBB4_3003:                             ;   in Loop: Header=BB4_2679 Depth=2
	s_or_b64 exec, exec, s[18:19]
	v_lshrrev_b16_e32 v50, 8, v24
	v_cmp_ne_u16_e32 vcc, 0, v50
	v_mov_b32_e32 v0, 0
	v_mov_b32_e32 v1, 0
	s_and_saveexec_b64 s[18:19], vcc
	s_cbranch_execz .LBB4_3011
; %bb.3004:                             ;   in Loop: Header=BB4_2679 Depth=2
	v_cmp_ne_u16_e32 vcc, s52, v50
	v_bfrev_b32_e32 v1, 1
	s_and_saveexec_b64 s[76:77], vcc
	s_cbranch_execz .LBB4_3010
; %bb.3005:                             ;   in Loop: Header=BB4_2679 Depth=2
	v_and_b32_e32 v1, 0x7c, v50
	v_and_b32_e32 v2, 3, v50
	v_cmp_ne_u32_e32 vcc, s50, v1
                                        ; implicit-def: $vgpr1
	s_and_saveexec_b64 s[78:79], vcc
	s_xor_b64 s[78:79], exec, s[78:79]
	s_cbranch_execz .LBB4_3007
; %bb.3006:                             ;   in Loop: Header=BB4_2679 Depth=2
	v_ffbh_u32_e32 v4, v2
	v_min_u32_e32 v4, 32, v4
	v_bfe_u32 v1, v50, 2, 5
	v_subrev_u32_e32 v22, 29, v4
	v_lshlrev_b64 v[22:23], v22, v[50:51]
	v_sub_u32_e32 v4, 30, v4
	v_cmp_eq_u32_e32 vcc, 0, v1
	v_cndmask_b32_e32 v1, v1, v4, vcc
	v_lshlrev_b32_e32 v4, 16, v24
	v_and_b32_e32 v22, 3, v22
	v_and_b32_e32 v4, 0x80000000, v4
	v_cndmask_b32_e32 v2, v2, v22, vcc
	v_lshl_add_u32 v1, v1, 23, v4
	v_lshl_or_b32 v1, v2, 21, v1
	v_add_u32_e32 v1, 0x38000000, v1
                                        ; implicit-def: $vgpr2
.LBB4_3007:                             ;   in Loop: Header=BB4_2679 Depth=2
	s_andn2_saveexec_b64 s[78:79], s[78:79]
; %bb.3008:                             ;   in Loop: Header=BB4_2679 Depth=2
	v_cmp_lt_i16_e32 vcc, -1, v24
	v_cndmask_b32_e32 v1, v5, v36, vcc
	v_cmp_eq_u32_e32 vcc, 0, v2
	v_cndmask_b32_e32 v1, v37, v1, vcc
; %bb.3009:                             ;   in Loop: Header=BB4_2679 Depth=2
	s_or_b64 exec, exec, s[78:79]
.LBB4_3010:                             ;   in Loop: Header=BB4_2679 Depth=2
	s_or_b64 exec, exec, s[76:77]
.LBB4_3011:                             ;   in Loop: Header=BB4_2679 Depth=2
	s_or_b64 exec, exec, s[18:19]
	v_lshrrev_b16_e32 v50, 8, v20
	v_cmp_ne_u16_e32 vcc, 0, v50
	s_and_saveexec_b64 s[18:19], vcc
	s_cbranch_execz .LBB4_3019
; %bb.3012:                             ;   in Loop: Header=BB4_2679 Depth=2
	v_cmp_ne_u16_e32 vcc, s52, v50
	v_bfrev_b32_e32 v0, 1
	s_and_saveexec_b64 s[76:77], vcc
	s_cbranch_execz .LBB4_3018
; %bb.3013:                             ;   in Loop: Header=BB4_2679 Depth=2
	v_and_b32_e32 v0, 0x7c, v50
	v_and_b32_e32 v2, 3, v50
	v_cmp_ne_u32_e32 vcc, s50, v0
                                        ; implicit-def: $vgpr0
	s_and_saveexec_b64 s[78:79], vcc
	s_xor_b64 s[78:79], exec, s[78:79]
	s_cbranch_execz .LBB4_3015
; %bb.3014:                             ;   in Loop: Header=BB4_2679 Depth=2
	v_ffbh_u32_e32 v4, v2
	v_min_u32_e32 v4, 32, v4
	v_bfe_u32 v0, v50, 2, 5
	v_subrev_u32_e32 v22, 29, v4
	v_lshlrev_b64 v[22:23], v22, v[50:51]
	v_sub_u32_e32 v4, 30, v4
	v_cmp_eq_u32_e32 vcc, 0, v0
	v_cndmask_b32_e32 v0, v0, v4, vcc
	v_lshlrev_b32_e32 v4, 16, v20
	v_and_b32_e32 v22, 3, v22
	v_and_b32_e32 v4, 0x80000000, v4
	v_cndmask_b32_e32 v2, v2, v22, vcc
	v_lshl_add_u32 v0, v0, 23, v4
	v_lshl_or_b32 v0, v2, 21, v0
	v_add_u32_e32 v0, 0x38000000, v0
                                        ; implicit-def: $vgpr2
.LBB4_3015:                             ;   in Loop: Header=BB4_2679 Depth=2
	s_andn2_saveexec_b64 s[78:79], s[78:79]
; %bb.3016:                             ;   in Loop: Header=BB4_2679 Depth=2
	v_cmp_lt_i16_e32 vcc, -1, v20
	v_cndmask_b32_e32 v0, v5, v36, vcc
	v_cmp_eq_u32_e32 vcc, 0, v2
	v_cndmask_b32_e32 v0, v37, v0, vcc
; %bb.3017:                             ;   in Loop: Header=BB4_2679 Depth=2
	s_or_b64 exec, exec, s[78:79]
.LBB4_3018:                             ;   in Loop: Header=BB4_2679 Depth=2
	s_or_b64 exec, exec, s[76:77]
.LBB4_3019:                             ;   in Loop: Header=BB4_2679 Depth=2
	s_or_b64 exec, exec, s[18:19]
	v_mul_f32_e32 v0, v1, v0
	v_and_b32_e32 v1, 0x7f800000, v0
	v_mov_b32_e32 v2, v51
	v_cmp_ne_u64_e32 vcc, s[58:59], v[1:2]
	v_and_b32_e32 v50, 0x7fffff, v0
                                        ; implicit-def: $vgpr22
	s_and_saveexec_b64 s[18:19], vcc
	s_xor_b64 s[76:77], exec, s[18:19]
	s_cbranch_execz .LBB4_3033
; %bb.3020:                             ;   in Loop: Header=BB4_2679 Depth=2
	v_and_b32_e32 v1, 0x7fffffff, v0
	v_mov_b32_e32 v2, v51
	v_cmp_gt_u64_e32 vcc, s[60:61], v[1:2]
	v_and_b32_sdwa v4, v0, s52 dst_sel:DWORD dst_unused:UNUSED_PAD src0_sel:BYTE_3 src1_sel:DWORD
                                        ; implicit-def: $vgpr22
	s_and_saveexec_b64 s[18:19], vcc
	s_xor_b64 s[78:79], exec, s[18:19]
	s_cbranch_execz .LBB4_3030
; %bb.3021:                             ;   in Loop: Header=BB4_2679 Depth=2
	v_mov_b32_e32 v22, 0
	v_cmp_ne_u32_e32 vcc, 0, v0
	s_and_saveexec_b64 s[88:89], vcc
	s_cbranch_execz .LBB4_3029
; %bb.3022:                             ;   in Loop: Header=BB4_2679 Depth=2
	v_bfe_u32 v22, v0, 23, 8
	v_cmp_gt_u32_e64 s[18:19], s53, v22
	v_sub_u32_e32 v0, 0x71, v22
	v_cmp_eq_u32_e32 vcc, 0, v22
	v_cndmask_b32_e64 v0, 0, v0, s[18:19]
	v_mov_b32_e32 v2, 0x70
	v_cndmask_b32_e32 v23, v0, v2, vcc
	v_or_b32_e32 v1, 0x800000, v50
	v_add_u32_e32 v0, 21, v23
	v_cndmask_b32_e32 v50, v1, v50, vcc
	v_lshlrev_b64 v[0:1], v0, -1
	v_add_u32_e32 v2, 20, v23
	v_lshlrev_b64 v[48:49], v2, 1
	v_bfi_b32 v1, v1, 0, 0
	v_bfi_b32 v0, v0, 0, v50
	v_cmp_eq_u64_e64 s[18:19], v[0:1], v[48:49]
	v_lshrrev_b64 v[0:1], v23, v[50:51]
	v_mov_b32_e32 v2, v1
	v_mov_b32_e32 v1, v0
	s_and_saveexec_b64 s[90:91], s[18:19]
; %bb.3023:                             ;   in Loop: Header=BB4_2679 Depth=2
	v_bfe_u32 v1, v0, 21, 1
	v_add_co_u32_e64 v1, s[18:19], v0, v1
	v_add_co_u32_e64 v1, s[18:19], -1, v1
; %bb.3024:                             ;   in Loop: Header=BB4_2679 Depth=2
	s_or_b64 exec, exec, s[90:91]
	v_add_u32_e32 v2, 0xffffff81, v22
	v_mov_b32_e32 v22, 0xffffff82
	v_cndmask_b32_e32 v2, v2, v22, vcc
	v_lshrrev_b32_e32 v22, 23, v0
	v_add3_u32 v23, v23, v2, v22
	v_add_u32_e32 v22, 14, v23
	v_and_b32_e32 v1, 0x1fffff, v1
	v_add_u32_e32 v50, v1, v0
	v_cmp_ne_u32_e32 vcc, 0, v22
                                        ; implicit-def: $vgpr0_vgpr1
                                        ; implicit-def: $vgpr2
	s_and_saveexec_b64 s[18:19], vcc
	s_xor_b64 s[18:19], exec, s[18:19]
; %bb.3025:                             ;   in Loop: Header=BB4_2679 Depth=2
	v_cmp_lt_u64_e32 vcc, s[62:63], v[50:51]
	v_add_u32_e32 v0, 15, v23
	v_cndmask_b32_e32 v2, v22, v0, vcc
	v_cndmask_b32_e64 v0, 0, 1, vcc
	v_lshrrev_b64 v[0:1], v0, v[50:51]
; %bb.3026:                             ;   in Loop: Header=BB4_2679 Depth=2
	s_andn2_saveexec_b64 s[18:19], s[18:19]
; %bb.3027:                             ;   in Loop: Header=BB4_2679 Depth=2
	v_mov_b32_e32 v0, v50
	v_bfe_u32 v2, v50, 23, 1
	v_mov_b32_e32 v1, v51
; %bb.3028:                             ;   in Loop: Header=BB4_2679 Depth=2
	s_or_b64 exec, exec, s[18:19]
	v_lshrrev_b64 v[0:1], 21, v[0:1]
	v_cmp_gt_i32_e32 vcc, 32, v2
	v_cndmask_b32_e32 v1, 0, v1, vcc
	v_cndmask_b32_e32 v0, 3, v0, vcc
	v_cmp_eq_u64_e64 s[18:19], 0, v[0:1]
	v_min_i32_e32 v1, 31, v2
	v_lshlrev_b32_e32 v1, 2, v1
	v_cmp_eq_u32_e32 vcc, 0, v2
	v_and_b32_e32 v1, 0xfc, v1
	v_and_or_b32 v0, v0, 3, v1
	s_and_b64 s[18:19], vcc, s[18:19]
	v_cndmask_b32_e64 v0, v0, 0, s[18:19]
	v_or_b32_e32 v22, v0, v4
.LBB4_3029:                             ;   in Loop: Header=BB4_2679 Depth=2
	s_or_b64 exec, exec, s[88:89]
                                        ; implicit-def: $vgpr4
.LBB4_3030:                             ;   in Loop: Header=BB4_2679 Depth=2
	s_andn2_saveexec_b64 s[18:19], s[78:79]
; %bb.3031:                             ;   in Loop: Header=BB4_2679 Depth=2
	v_or_b32_e32 v22, 0x7b, v4
; %bb.3032:                             ;   in Loop: Header=BB4_2679 Depth=2
	s_or_b64 exec, exec, s[18:19]
                                        ; implicit-def: $vgpr0
.LBB4_3033:                             ;   in Loop: Header=BB4_2679 Depth=2
	s_andn2_saveexec_b64 s[18:19], s[76:77]
	s_cbranch_execz .LBB4_3039
; %bb.3034:                             ;   in Loop: Header=BB4_2679 Depth=2
	v_cmp_ne_u64_e32 vcc, 0, v[50:51]
                                        ; implicit-def: $vgpr22
	s_and_saveexec_b64 s[76:77], vcc
	s_xor_b64 s[76:77], exec, s[76:77]
; %bb.3035:                             ;   in Loop: Header=BB4_2679 Depth=2
	v_or_b32_sdwa v22, v0, s54 dst_sel:DWORD dst_unused:UNUSED_PAD src0_sel:BYTE_3 src1_sel:DWORD
                                        ; implicit-def: $vgpr0
; %bb.3036:                             ;   in Loop: Header=BB4_2679 Depth=2
	s_andn2_saveexec_b64 s[76:77], s[76:77]
; %bb.3037:                             ;   in Loop: Header=BB4_2679 Depth=2
	v_cmp_lt_i32_e32 vcc, -1, v0
	v_bfrev_b32_e32 v0, 0.5
	v_mov_b32_e32 v1, 0x7c
	v_cndmask_b32_e32 v22, v0, v1, vcc
; %bb.3038:                             ;   in Loop: Header=BB4_2679 Depth=2
	s_or_b64 exec, exec, s[76:77]
.LBB4_3039:                             ;   in Loop: Header=BB4_2679 Depth=2
	s_or_b64 exec, exec, s[18:19]
	v_lshrrev_b32_e32 v0, 16, v24
	v_cmp_ne_u16_sdwa s[76:77], v0, v51 src0_sel:BYTE_0 src1_sel:DWORD
	v_mov_b32_e32 v1, 0
	v_mov_b32_e32 v2, 0
	s_and_saveexec_b64 s[18:19], s[76:77]
	s_cbranch_execz .LBB4_3047
; %bb.3040:                             ;   in Loop: Header=BB4_2679 Depth=2
	v_cmp_ne_u16_sdwa s[78:79], v0, s52 src0_sel:BYTE_0 src1_sel:DWORD
	v_bfrev_b32_e32 v2, 1
	s_and_saveexec_b64 s[76:77], s[78:79]
	s_cbranch_execz .LBB4_3046
; %bb.3041:                             ;   in Loop: Header=BB4_2679 Depth=2
	v_and_b32_e32 v2, 0x7c0000, v24
	v_bfe_u32 v4, v24, 16, 2
	v_cmp_ne_u32_e32 vcc, s55, v2
                                        ; implicit-def: $vgpr2
	s_and_saveexec_b64 s[78:79], vcc
	s_xor_b64 s[78:79], exec, s[78:79]
	s_cbranch_execz .LBB4_3043
; %bb.3042:                             ;   in Loop: Header=BB4_2679 Depth=2
	v_ffbh_u32_e32 v23, v4
	v_min_u32_e32 v23, 32, v23
	v_subrev_u32_e32 v26, 29, v23
	v_lshlrev_b64 v[48:49], v26, v[0:1]
	v_bfe_u32 v2, v24, 18, 5
	v_sub_u32_e32 v0, 30, v23
	v_and_b32_e32 v23, 3, v48
	v_cmp_eq_u32_e32 vcc, 0, v2
	v_cndmask_b32_e32 v0, v2, v0, vcc
	v_cndmask_b32_e32 v2, v4, v23, vcc
	v_lshlrev_b32_e32 v4, 8, v24
	v_and_b32_e32 v4, 0x80000000, v4
	v_lshl_add_u32 v0, v0, 23, v4
	v_lshl_or_b32 v0, v2, 21, v0
	v_add_u32_e32 v2, 0x38000000, v0
                                        ; implicit-def: $vgpr4
                                        ; implicit-def: $vgpr0
.LBB4_3043:                             ;   in Loop: Header=BB4_2679 Depth=2
	s_andn2_saveexec_b64 s[78:79], s[78:79]
; %bb.3044:                             ;   in Loop: Header=BB4_2679 Depth=2
	v_cmp_gt_i16_sdwa vcc, sext(v0), v43 src0_sel:BYTE_0 src1_sel:DWORD
	v_cndmask_b32_e32 v0, v5, v36, vcc
	v_cmp_eq_u32_e32 vcc, 0, v4
	v_cndmask_b32_e32 v2, v37, v0, vcc
; %bb.3045:                             ;   in Loop: Header=BB4_2679 Depth=2
	s_or_b64 exec, exec, s[78:79]
.LBB4_3046:                             ;   in Loop: Header=BB4_2679 Depth=2
	s_or_b64 exec, exec, s[76:77]
.LBB4_3047:                             ;   in Loop: Header=BB4_2679 Depth=2
	s_or_b64 exec, exec, s[18:19]
	v_lshrrev_b32_e32 v0, 16, v20
	v_cmp_ne_u16_sdwa s[76:77], v0, v51 src0_sel:BYTE_0 src1_sel:DWORD
	s_and_saveexec_b64 s[18:19], s[76:77]
	s_cbranch_execz .LBB4_3055
; %bb.3048:                             ;   in Loop: Header=BB4_2679 Depth=2
	v_cmp_ne_u16_sdwa s[78:79], v0, s52 src0_sel:BYTE_0 src1_sel:DWORD
	v_bfrev_b32_e32 v1, 1
	s_and_saveexec_b64 s[76:77], s[78:79]
	s_cbranch_execz .LBB4_3054
; %bb.3049:                             ;   in Loop: Header=BB4_2679 Depth=2
	v_and_b32_e32 v1, 0x7c0000, v20
	v_bfe_u32 v4, v20, 16, 2
	v_cmp_ne_u32_e32 vcc, s55, v1
                                        ; implicit-def: $vgpr1
	s_and_saveexec_b64 s[78:79], vcc
	s_xor_b64 s[78:79], exec, s[78:79]
	s_cbranch_execz .LBB4_3051
; %bb.3050:                             ;   in Loop: Header=BB4_2679 Depth=2
	v_ffbh_u32_e32 v1, v4
	v_min_u32_e32 v26, 32, v1
	v_subrev_u32_e32 v1, 29, v26
	v_lshlrev_b64 v[0:1], v1, v[0:1]
	v_bfe_u32 v23, v20, 18, 5
	v_and_b32_e32 v0, 3, v0
	v_cmp_eq_u32_e32 vcc, 0, v23
	v_sub_u32_e32 v1, 30, v26
	v_cndmask_b32_e32 v0, v4, v0, vcc
	v_lshlrev_b32_e32 v4, 8, v20
	v_cndmask_b32_e32 v1, v23, v1, vcc
	v_and_b32_e32 v4, 0x80000000, v4
	v_lshl_add_u32 v1, v1, 23, v4
	v_lshl_or_b32 v0, v0, 21, v1
	v_add_u32_e32 v1, 0x38000000, v0
                                        ; implicit-def: $vgpr4
                                        ; implicit-def: $vgpr0
.LBB4_3051:                             ;   in Loop: Header=BB4_2679 Depth=2
	s_andn2_saveexec_b64 s[78:79], s[78:79]
; %bb.3052:                             ;   in Loop: Header=BB4_2679 Depth=2
	v_cmp_gt_i16_sdwa vcc, sext(v0), v43 src0_sel:BYTE_0 src1_sel:DWORD
	v_cndmask_b32_e32 v0, v5, v36, vcc
	v_cmp_eq_u32_e32 vcc, 0, v4
	v_cndmask_b32_e32 v1, v37, v0, vcc
; %bb.3053:                             ;   in Loop: Header=BB4_2679 Depth=2
	s_or_b64 exec, exec, s[78:79]
.LBB4_3054:                             ;   in Loop: Header=BB4_2679 Depth=2
	s_or_b64 exec, exec, s[76:77]
.LBB4_3055:                             ;   in Loop: Header=BB4_2679 Depth=2
	s_or_b64 exec, exec, s[18:19]
	v_mul_f32_e32 v0, v2, v1
	v_and_b32_e32 v1, 0x7f800000, v0
	v_mov_b32_e32 v2, v51
	v_cmp_ne_u64_e32 vcc, s[58:59], v[1:2]
	v_and_b32_e32 v50, 0x7fffff, v0
                                        ; implicit-def: $vgpr23
	s_and_saveexec_b64 s[18:19], vcc
	s_xor_b64 s[76:77], exec, s[18:19]
	s_cbranch_execz .LBB4_3069
; %bb.3056:                             ;   in Loop: Header=BB4_2679 Depth=2
	v_and_b32_e32 v1, 0x7fffffff, v0
	v_mov_b32_e32 v2, v51
	v_cmp_gt_u64_e32 vcc, s[60:61], v[1:2]
	v_and_b32_sdwa v4, v0, s52 dst_sel:DWORD dst_unused:UNUSED_PAD src0_sel:BYTE_3 src1_sel:DWORD
                                        ; implicit-def: $vgpr23
	s_and_saveexec_b64 s[18:19], vcc
	s_xor_b64 s[78:79], exec, s[18:19]
	s_cbranch_execz .LBB4_3066
; %bb.3057:                             ;   in Loop: Header=BB4_2679 Depth=2
	v_mov_b32_e32 v23, 0
	v_cmp_ne_u32_e32 vcc, 0, v0
	s_and_saveexec_b64 s[88:89], vcc
	s_cbranch_execz .LBB4_3065
; %bb.3058:                             ;   in Loop: Header=BB4_2679 Depth=2
	v_bfe_u32 v23, v0, 23, 8
	v_cmp_gt_u32_e64 s[18:19], s53, v23
	v_sub_u32_e32 v0, 0x71, v23
	v_cmp_eq_u32_e32 vcc, 0, v23
	v_cndmask_b32_e64 v0, 0, v0, s[18:19]
	v_mov_b32_e32 v2, 0x70
	v_cndmask_b32_e32 v35, v0, v2, vcc
	v_or_b32_e32 v1, 0x800000, v50
	v_add_u32_e32 v0, 21, v35
	v_cndmask_b32_e32 v50, v1, v50, vcc
	v_lshlrev_b64 v[0:1], v0, -1
	v_add_u32_e32 v2, 20, v35
	v_lshlrev_b64 v[48:49], v2, 1
	v_bfi_b32 v1, v1, 0, 0
	v_bfi_b32 v0, v0, 0, v50
	v_cmp_eq_u64_e64 s[18:19], v[0:1], v[48:49]
	v_lshrrev_b64 v[0:1], v35, v[50:51]
	v_mov_b32_e32 v2, v1
	v_mov_b32_e32 v1, v0
	s_and_saveexec_b64 s[90:91], s[18:19]
; %bb.3059:                             ;   in Loop: Header=BB4_2679 Depth=2
	v_bfe_u32 v1, v0, 21, 1
	v_add_co_u32_e64 v1, s[18:19], v0, v1
	v_add_co_u32_e64 v1, s[18:19], -1, v1
; %bb.3060:                             ;   in Loop: Header=BB4_2679 Depth=2
	s_or_b64 exec, exec, s[90:91]
	v_add_u32_e32 v2, 0xffffff81, v23
	v_mov_b32_e32 v23, 0xffffff82
	v_cndmask_b32_e32 v2, v2, v23, vcc
	v_lshrrev_b32_e32 v23, 23, v0
	v_add3_u32 v35, v35, v2, v23
	v_add_u32_e32 v23, 14, v35
	v_and_b32_e32 v1, 0x1fffff, v1
	v_add_u32_e32 v50, v1, v0
	v_cmp_ne_u32_e32 vcc, 0, v23
                                        ; implicit-def: $vgpr0_vgpr1
                                        ; implicit-def: $vgpr2
	s_and_saveexec_b64 s[18:19], vcc
	s_xor_b64 s[18:19], exec, s[18:19]
; %bb.3061:                             ;   in Loop: Header=BB4_2679 Depth=2
	v_cmp_lt_u64_e32 vcc, s[62:63], v[50:51]
	v_add_u32_e32 v0, 15, v35
	v_cndmask_b32_e32 v2, v23, v0, vcc
	v_cndmask_b32_e64 v0, 0, 1, vcc
	v_lshrrev_b64 v[0:1], v0, v[50:51]
; %bb.3062:                             ;   in Loop: Header=BB4_2679 Depth=2
	s_andn2_saveexec_b64 s[18:19], s[18:19]
; %bb.3063:                             ;   in Loop: Header=BB4_2679 Depth=2
	v_mov_b32_e32 v0, v50
	v_bfe_u32 v2, v50, 23, 1
	v_mov_b32_e32 v1, v51
; %bb.3064:                             ;   in Loop: Header=BB4_2679 Depth=2
	s_or_b64 exec, exec, s[18:19]
	v_lshrrev_b64 v[0:1], 21, v[0:1]
	v_cmp_gt_i32_e32 vcc, 32, v2
	v_cndmask_b32_e32 v1, 0, v1, vcc
	v_cndmask_b32_e32 v0, 3, v0, vcc
	v_cmp_eq_u64_e64 s[18:19], 0, v[0:1]
	v_min_i32_e32 v1, 31, v2
	v_lshlrev_b32_e32 v1, 2, v1
	v_cmp_eq_u32_e32 vcc, 0, v2
	v_and_b32_e32 v1, 0xfc, v1
	v_and_or_b32 v0, v0, 3, v1
	s_and_b64 s[18:19], vcc, s[18:19]
	v_cndmask_b32_e64 v0, v0, 0, s[18:19]
	v_or_b32_e32 v23, v0, v4
.LBB4_3065:                             ;   in Loop: Header=BB4_2679 Depth=2
	s_or_b64 exec, exec, s[88:89]
                                        ; implicit-def: $vgpr4
.LBB4_3066:                             ;   in Loop: Header=BB4_2679 Depth=2
	s_andn2_saveexec_b64 s[18:19], s[78:79]
; %bb.3067:                             ;   in Loop: Header=BB4_2679 Depth=2
	v_or_b32_e32 v23, 0x7b, v4
; %bb.3068:                             ;   in Loop: Header=BB4_2679 Depth=2
	s_or_b64 exec, exec, s[18:19]
                                        ; implicit-def: $vgpr0
.LBB4_3069:                             ;   in Loop: Header=BB4_2679 Depth=2
	s_andn2_saveexec_b64 s[18:19], s[76:77]
	s_cbranch_execz .LBB4_3075
; %bb.3070:                             ;   in Loop: Header=BB4_2679 Depth=2
	v_cmp_ne_u64_e32 vcc, 0, v[50:51]
                                        ; implicit-def: $vgpr23
	s_and_saveexec_b64 s[76:77], vcc
	s_xor_b64 s[76:77], exec, s[76:77]
; %bb.3071:                             ;   in Loop: Header=BB4_2679 Depth=2
	v_or_b32_sdwa v23, v0, s54 dst_sel:DWORD dst_unused:UNUSED_PAD src0_sel:BYTE_3 src1_sel:DWORD
                                        ; implicit-def: $vgpr0
; %bb.3072:                             ;   in Loop: Header=BB4_2679 Depth=2
	s_andn2_saveexec_b64 s[76:77], s[76:77]
; %bb.3073:                             ;   in Loop: Header=BB4_2679 Depth=2
	v_cmp_lt_i32_e32 vcc, -1, v0
	v_bfrev_b32_e32 v0, 0.5
	v_mov_b32_e32 v1, 0x7c
	v_cndmask_b32_e32 v23, v0, v1, vcc
; %bb.3074:                             ;   in Loop: Header=BB4_2679 Depth=2
	s_or_b64 exec, exec, s[76:77]
.LBB4_3075:                             ;   in Loop: Header=BB4_2679 Depth=2
	s_or_b64 exec, exec, s[18:19]
	v_cmp_lt_u32_e32 vcc, s57, v24
	v_mov_b32_e32 v1, 0
	v_mov_b32_e32 v2, 0
	s_and_saveexec_b64 s[18:19], vcc
	s_cbranch_execz .LBB4_3083
; %bb.3076:                             ;   in Loop: Header=BB4_2679 Depth=2
	v_lshrrev_b32_e32 v0, 24, v24
	v_cmp_ne_u32_e32 vcc, s52, v0
	v_bfrev_b32_e32 v2, 1
	s_and_saveexec_b64 s[76:77], vcc
	s_cbranch_execz .LBB4_3082
; %bb.3077:                             ;   in Loop: Header=BB4_2679 Depth=2
	v_and_b32_e32 v2, 0x7c000000, v24
	v_bfe_u32 v4, v24, 24, 2
	v_cmp_ne_u32_e32 vcc, s64, v2
                                        ; implicit-def: $vgpr2
	s_and_saveexec_b64 s[78:79], vcc
	s_xor_b64 s[78:79], exec, s[78:79]
	s_cbranch_execz .LBB4_3079
; %bb.3078:                             ;   in Loop: Header=BB4_2679 Depth=2
	v_ffbh_u32_e32 v26, v4
	v_min_u32_e32 v26, 32, v26
	v_subrev_u32_e32 v27, 29, v26
	v_lshlrev_b64 v[48:49], v27, v[0:1]
	v_bfe_u32 v2, v24, 26, 5
	v_sub_u32_e32 v0, 30, v26
	v_and_b32_e32 v26, 3, v48
	v_cmp_eq_u32_e32 vcc, 0, v2
	v_cndmask_b32_e32 v0, v2, v0, vcc
	v_cndmask_b32_e32 v2, v4, v26, vcc
	v_and_b32_e32 v4, 0x80000000, v24
	v_lshl_add_u32 v0, v0, 23, v4
	v_lshl_or_b32 v0, v2, 21, v0
	v_add_u32_e32 v2, 0x38000000, v0
                                        ; implicit-def: $vgpr4
.LBB4_3079:                             ;   in Loop: Header=BB4_2679 Depth=2
	s_andn2_saveexec_b64 s[78:79], s[78:79]
; %bb.3080:                             ;   in Loop: Header=BB4_2679 Depth=2
	v_cmp_lt_i32_e32 vcc, -1, v24
	v_cndmask_b32_e32 v0, v5, v36, vcc
	v_cmp_eq_u32_e32 vcc, 0, v4
	v_cndmask_b32_e32 v2, v37, v0, vcc
; %bb.3081:                             ;   in Loop: Header=BB4_2679 Depth=2
	s_or_b64 exec, exec, s[78:79]
.LBB4_3082:                             ;   in Loop: Header=BB4_2679 Depth=2
	s_or_b64 exec, exec, s[76:77]
.LBB4_3083:                             ;   in Loop: Header=BB4_2679 Depth=2
	s_or_b64 exec, exec, s[18:19]
	v_cmp_lt_u32_e32 vcc, s57, v20
	s_and_saveexec_b64 s[18:19], vcc
	s_cbranch_execz .LBB4_3091
; %bb.3084:                             ;   in Loop: Header=BB4_2679 Depth=2
	v_lshrrev_b32_e32 v0, 24, v20
	v_cmp_ne_u32_e32 vcc, s52, v0
	v_bfrev_b32_e32 v1, 1
	s_and_saveexec_b64 s[76:77], vcc
	s_cbranch_execz .LBB4_3090
; %bb.3085:                             ;   in Loop: Header=BB4_2679 Depth=2
	v_and_b32_e32 v1, 0x7c000000, v20
	v_bfe_u32 v4, v20, 24, 2
	v_cmp_ne_u32_e32 vcc, s64, v1
                                        ; implicit-def: $vgpr1
	s_and_saveexec_b64 s[78:79], vcc
	s_xor_b64 s[78:79], exec, s[78:79]
	s_cbranch_execz .LBB4_3087
; %bb.3086:                             ;   in Loop: Header=BB4_2679 Depth=2
	v_ffbh_u32_e32 v1, v4
	v_min_u32_e32 v27, 32, v1
	v_subrev_u32_e32 v1, 29, v27
	v_lshlrev_b64 v[0:1], v1, v[0:1]
	v_bfe_u32 v26, v20, 26, 5
	v_sub_u32_e32 v1, 30, v27
	v_and_b32_e32 v0, 3, v0
	v_cmp_eq_u32_e32 vcc, 0, v26
	v_cndmask_b32_e32 v1, v26, v1, vcc
	v_cndmask_b32_e32 v0, v4, v0, vcc
	v_and_b32_e32 v4, 0x80000000, v20
	v_lshl_add_u32 v1, v1, 23, v4
	v_lshl_or_b32 v0, v0, 21, v1
	v_add_u32_e32 v1, 0x38000000, v0
                                        ; implicit-def: $vgpr4
.LBB4_3087:                             ;   in Loop: Header=BB4_2679 Depth=2
	s_andn2_saveexec_b64 s[78:79], s[78:79]
; %bb.3088:                             ;   in Loop: Header=BB4_2679 Depth=2
	v_cmp_lt_i32_e32 vcc, -1, v20
	v_cndmask_b32_e32 v0, v5, v36, vcc
	v_cmp_eq_u32_e32 vcc, 0, v4
	v_cndmask_b32_e32 v1, v37, v0, vcc
; %bb.3089:                             ;   in Loop: Header=BB4_2679 Depth=2
	s_or_b64 exec, exec, s[78:79]
.LBB4_3090:                             ;   in Loop: Header=BB4_2679 Depth=2
	s_or_b64 exec, exec, s[76:77]
.LBB4_3091:                             ;   in Loop: Header=BB4_2679 Depth=2
	s_or_b64 exec, exec, s[18:19]
	v_mul_f32_e32 v0, v2, v1
	v_and_b32_e32 v1, 0x7f800000, v0
	v_mov_b32_e32 v2, v51
	v_cmp_ne_u64_e32 vcc, s[58:59], v[1:2]
	v_and_b32_e32 v50, 0x7fffff, v0
                                        ; implicit-def: $vgpr35
	s_and_saveexec_b64 s[18:19], vcc
	s_xor_b64 s[76:77], exec, s[18:19]
	s_cbranch_execz .LBB4_3105
; %bb.3092:                             ;   in Loop: Header=BB4_2679 Depth=2
	v_and_b32_e32 v1, 0x7fffffff, v0
	v_mov_b32_e32 v2, v51
	v_cmp_gt_u64_e32 vcc, s[60:61], v[1:2]
	v_and_b32_sdwa v4, v0, s52 dst_sel:DWORD dst_unused:UNUSED_PAD src0_sel:BYTE_3 src1_sel:DWORD
                                        ; implicit-def: $vgpr35
	s_and_saveexec_b64 s[18:19], vcc
	s_xor_b64 s[78:79], exec, s[18:19]
	s_cbranch_execz .LBB4_3102
; %bb.3093:                             ;   in Loop: Header=BB4_2679 Depth=2
	v_mov_b32_e32 v35, 0
	v_cmp_ne_u32_e32 vcc, 0, v0
	s_and_saveexec_b64 s[88:89], vcc
	s_cbranch_execz .LBB4_3101
; %bb.3094:                             ;   in Loop: Header=BB4_2679 Depth=2
	v_bfe_u32 v35, v0, 23, 8
	v_cmp_gt_u32_e64 s[18:19], s53, v35
	v_sub_u32_e32 v0, 0x71, v35
	v_cmp_eq_u32_e32 vcc, 0, v35
	v_cndmask_b32_e64 v0, 0, v0, s[18:19]
	v_mov_b32_e32 v2, 0x70
	v_cndmask_b32_e32 v48, v0, v2, vcc
	v_or_b32_e32 v1, 0x800000, v50
	v_add_u32_e32 v0, 21, v48
	v_cndmask_b32_e32 v50, v1, v50, vcc
	v_lshlrev_b64 v[0:1], v0, -1
	v_add_u32_e32 v2, 20, v48
	v_lshlrev_b64 v[40:41], v2, 1
	v_bfi_b32 v1, v1, 0, 0
	v_bfi_b32 v0, v0, 0, v50
	v_cmp_eq_u64_e64 s[18:19], v[0:1], v[40:41]
	v_lshrrev_b64 v[0:1], v48, v[50:51]
	v_mov_b32_e32 v2, v1
	v_mov_b32_e32 v1, v0
	s_and_saveexec_b64 s[90:91], s[18:19]
; %bb.3095:                             ;   in Loop: Header=BB4_2679 Depth=2
	v_bfe_u32 v1, v0, 21, 1
	v_add_co_u32_e64 v1, s[18:19], v0, v1
	v_add_co_u32_e64 v1, s[18:19], -1, v1
; %bb.3096:                             ;   in Loop: Header=BB4_2679 Depth=2
	s_or_b64 exec, exec, s[90:91]
	v_add_u32_e32 v2, 0xffffff81, v35
	v_mov_b32_e32 v26, 0xffffff82
	v_cndmask_b32_e32 v2, v2, v26, vcc
	v_lshrrev_b32_e32 v26, 23, v0
	v_add3_u32 v48, v48, v2, v26
	v_add_u32_e32 v35, 14, v48
	v_and_b32_e32 v1, 0x1fffff, v1
	v_add_u32_e32 v50, v1, v0
	v_cmp_ne_u32_e32 vcc, 0, v35
                                        ; implicit-def: $vgpr0_vgpr1
                                        ; implicit-def: $vgpr2
	s_and_saveexec_b64 s[18:19], vcc
	s_xor_b64 s[18:19], exec, s[18:19]
; %bb.3097:                             ;   in Loop: Header=BB4_2679 Depth=2
	v_cmp_lt_u64_e32 vcc, s[62:63], v[50:51]
	v_add_u32_e32 v0, 15, v48
	v_cndmask_b32_e32 v2, v35, v0, vcc
	v_cndmask_b32_e64 v0, 0, 1, vcc
	v_lshrrev_b64 v[0:1], v0, v[50:51]
; %bb.3098:                             ;   in Loop: Header=BB4_2679 Depth=2
	s_andn2_saveexec_b64 s[18:19], s[18:19]
; %bb.3099:                             ;   in Loop: Header=BB4_2679 Depth=2
	v_mov_b32_e32 v0, v50
	v_bfe_u32 v2, v50, 23, 1
	v_mov_b32_e32 v1, v51
; %bb.3100:                             ;   in Loop: Header=BB4_2679 Depth=2
	s_or_b64 exec, exec, s[18:19]
	v_lshrrev_b64 v[0:1], 21, v[0:1]
	v_cmp_gt_i32_e32 vcc, 32, v2
	v_cndmask_b32_e32 v1, 0, v1, vcc
	v_cndmask_b32_e32 v0, 3, v0, vcc
	v_cmp_eq_u64_e64 s[18:19], 0, v[0:1]
	v_min_i32_e32 v1, 31, v2
	v_lshlrev_b32_e32 v1, 2, v1
	v_cmp_eq_u32_e32 vcc, 0, v2
	v_and_b32_e32 v1, 0xfc, v1
	v_and_or_b32 v0, v0, 3, v1
	s_and_b64 s[18:19], vcc, s[18:19]
	v_cndmask_b32_e64 v0, v0, 0, s[18:19]
	v_or_b32_e32 v35, v0, v4
.LBB4_3101:                             ;   in Loop: Header=BB4_2679 Depth=2
	s_or_b64 exec, exec, s[88:89]
                                        ; implicit-def: $vgpr4
.LBB4_3102:                             ;   in Loop: Header=BB4_2679 Depth=2
	s_andn2_saveexec_b64 s[18:19], s[78:79]
; %bb.3103:                             ;   in Loop: Header=BB4_2679 Depth=2
	v_or_b32_e32 v35, 0x7b, v4
; %bb.3104:                             ;   in Loop: Header=BB4_2679 Depth=2
	s_or_b64 exec, exec, s[18:19]
                                        ; implicit-def: $vgpr0
.LBB4_3105:                             ;   in Loop: Header=BB4_2679 Depth=2
	s_andn2_saveexec_b64 s[18:19], s[76:77]
	s_cbranch_execz .LBB4_3111
; %bb.3106:                             ;   in Loop: Header=BB4_2679 Depth=2
	v_cmp_ne_u64_e32 vcc, 0, v[50:51]
                                        ; implicit-def: $vgpr35
	s_and_saveexec_b64 s[76:77], vcc
	s_xor_b64 s[76:77], exec, s[76:77]
; %bb.3107:                             ;   in Loop: Header=BB4_2679 Depth=2
	v_or_b32_sdwa v35, v0, s54 dst_sel:DWORD dst_unused:UNUSED_PAD src0_sel:BYTE_3 src1_sel:DWORD
                                        ; implicit-def: $vgpr0
; %bb.3108:                             ;   in Loop: Header=BB4_2679 Depth=2
	s_andn2_saveexec_b64 s[76:77], s[76:77]
; %bb.3109:                             ;   in Loop: Header=BB4_2679 Depth=2
	v_cmp_lt_i32_e32 vcc, -1, v0
	v_bfrev_b32_e32 v0, 0.5
	v_mov_b32_e32 v1, 0x7c
	v_cndmask_b32_e32 v35, v0, v1, vcc
; %bb.3110:                             ;   in Loop: Header=BB4_2679 Depth=2
	s_or_b64 exec, exec, s[76:77]
.LBB4_3111:                             ;   in Loop: Header=BB4_2679 Depth=2
	s_or_b64 exec, exec, s[18:19]
	v_mov_b32_e32 v50, v25
	v_cmp_ne_u16_sdwa s[76:77], v25, v51 src0_sel:BYTE_0 src1_sel:DWORD
	v_mov_b32_e32 v1, 0
	v_mov_b32_e32 v0, 0
	s_and_saveexec_b64 s[18:19], s[76:77]
	s_cbranch_execz .LBB4_3119
; %bb.3112:                             ;   in Loop: Header=BB4_2679 Depth=2
	v_cmp_ne_u16_sdwa s[78:79], v25, s52 src0_sel:BYTE_0 src1_sel:DWORD
	v_bfrev_b32_e32 v0, 1
	s_and_saveexec_b64 s[76:77], s[78:79]
	s_cbranch_execz .LBB4_3118
; %bb.3113:                             ;   in Loop: Header=BB4_2679 Depth=2
	v_and_b32_e32 v0, 0x7c, v25
	v_and_b32_e32 v2, 3, v25
	v_cmp_ne_u32_e32 vcc, s50, v0
                                        ; implicit-def: $vgpr0
	s_and_saveexec_b64 s[78:79], vcc
	s_xor_b64 s[78:79], exec, s[78:79]
	s_cbranch_execz .LBB4_3115
; %bb.3114:                             ;   in Loop: Header=BB4_2679 Depth=2
	v_ffbh_u32_e32 v4, v2
	v_min_u32_e32 v4, 32, v4
	v_bfe_u32 v0, v25, 2, 5
	v_subrev_u32_e32 v26, 29, v4
	v_lshlrev_b64 v[48:49], v26, v[50:51]
	v_sub_u32_e32 v4, 30, v4
	v_cmp_eq_u32_e32 vcc, 0, v0
	v_cndmask_b32_e32 v0, v0, v4, vcc
	v_lshlrev_b32_e32 v4, 24, v25
	v_and_b32_e32 v26, 3, v48
	v_and_b32_e32 v4, 0x80000000, v4
	v_cndmask_b32_e32 v2, v2, v26, vcc
	v_lshl_add_u32 v0, v0, 23, v4
	v_lshl_or_b32 v0, v2, 21, v0
	v_add_u32_e32 v0, 0x38000000, v0
                                        ; implicit-def: $vgpr2
.LBB4_3115:                             ;   in Loop: Header=BB4_2679 Depth=2
	s_andn2_saveexec_b64 s[78:79], s[78:79]
; %bb.3116:                             ;   in Loop: Header=BB4_2679 Depth=2
	v_cmp_gt_i16_sdwa vcc, sext(v25), v43 src0_sel:BYTE_0 src1_sel:DWORD
	v_cndmask_b32_e32 v0, v5, v36, vcc
	v_cmp_eq_u32_e32 vcc, 0, v2
	v_cndmask_b32_e32 v0, v37, v0, vcc
; %bb.3117:                             ;   in Loop: Header=BB4_2679 Depth=2
	s_or_b64 exec, exec, s[78:79]
.LBB4_3118:                             ;   in Loop: Header=BB4_2679 Depth=2
	s_or_b64 exec, exec, s[76:77]
.LBB4_3119:                             ;   in Loop: Header=BB4_2679 Depth=2
	s_or_b64 exec, exec, s[18:19]
	v_cmp_ne_u16_sdwa s[76:77], v21, v51 src0_sel:BYTE_0 src1_sel:DWORD
	s_and_saveexec_b64 s[18:19], s[76:77]
	s_cbranch_execz .LBB4_3127
; %bb.3120:                             ;   in Loop: Header=BB4_2679 Depth=2
	v_cmp_ne_u16_sdwa s[78:79], v21, s52 src0_sel:BYTE_0 src1_sel:DWORD
	v_bfrev_b32_e32 v1, 1
	s_and_saveexec_b64 s[76:77], s[78:79]
	s_cbranch_execz .LBB4_3126
; %bb.3121:                             ;   in Loop: Header=BB4_2679 Depth=2
	v_and_b32_e32 v1, 0x7c, v21
	v_and_b32_e32 v2, 3, v21
	v_cmp_ne_u32_e32 vcc, s50, v1
                                        ; implicit-def: $vgpr1
	s_and_saveexec_b64 s[78:79], vcc
	s_xor_b64 s[78:79], exec, s[78:79]
	s_cbranch_execz .LBB4_3123
; %bb.3122:                             ;   in Loop: Header=BB4_2679 Depth=2
	v_ffbh_u32_e32 v4, v2
	v_min_u32_e32 v4, 32, v4
	v_mov_b32_e32 v48, v21
	v_mov_b32_e32 v49, v51
	v_bfe_u32 v1, v21, 2, 5
	v_subrev_u32_e32 v26, 29, v4
	v_lshlrev_b64 v[48:49], v26, v[48:49]
	v_sub_u32_e32 v4, 30, v4
	v_cmp_eq_u32_e32 vcc, 0, v1
	v_cndmask_b32_e32 v1, v1, v4, vcc
	v_lshlrev_b32_e32 v4, 24, v21
	v_and_b32_e32 v26, 3, v48
	v_and_b32_e32 v4, 0x80000000, v4
	v_cndmask_b32_e32 v2, v2, v26, vcc
	v_lshl_add_u32 v1, v1, 23, v4
	v_lshl_or_b32 v1, v2, 21, v1
	v_add_u32_e32 v1, 0x38000000, v1
                                        ; implicit-def: $vgpr2
.LBB4_3123:                             ;   in Loop: Header=BB4_2679 Depth=2
	s_andn2_saveexec_b64 s[78:79], s[78:79]
; %bb.3124:                             ;   in Loop: Header=BB4_2679 Depth=2
	v_cmp_gt_i16_sdwa vcc, sext(v21), v43 src0_sel:BYTE_0 src1_sel:DWORD
	v_cndmask_b32_e32 v1, v5, v36, vcc
	v_cmp_eq_u32_e32 vcc, 0, v2
	v_cndmask_b32_e32 v1, v37, v1, vcc
; %bb.3125:                             ;   in Loop: Header=BB4_2679 Depth=2
	s_or_b64 exec, exec, s[78:79]
.LBB4_3126:                             ;   in Loop: Header=BB4_2679 Depth=2
	s_or_b64 exec, exec, s[76:77]
.LBB4_3127:                             ;   in Loop: Header=BB4_2679 Depth=2
	s_or_b64 exec, exec, s[18:19]
	v_mul_f32_e32 v2, v0, v1
	v_and_b32_e32 v48, 0x7f800000, v2
	v_mov_b32_e32 v49, v51
	v_cmp_ne_u64_e32 vcc, s[58:59], v[48:49]
	v_and_b32_e32 v0, 0x7fffff, v2
	v_mov_b32_e32 v1, v51
                                        ; implicit-def: $vgpr48
	s_and_saveexec_b64 s[18:19], vcc
	s_xor_b64 s[76:77], exec, s[18:19]
	s_cbranch_execz .LBB4_3141
; %bb.3128:                             ;   in Loop: Header=BB4_2679 Depth=2
	v_and_b32_e32 v48, 0x7fffffff, v2
	v_mov_b32_e32 v49, v51
	v_cmp_gt_u64_e32 vcc, s[60:61], v[48:49]
	v_and_b32_sdwa v4, v2, s52 dst_sel:DWORD dst_unused:UNUSED_PAD src0_sel:BYTE_3 src1_sel:DWORD
                                        ; implicit-def: $vgpr48
	s_and_saveexec_b64 s[18:19], vcc
	s_xor_b64 s[78:79], exec, s[18:19]
	s_cbranch_execz .LBB4_3138
; %bb.3129:                             ;   in Loop: Header=BB4_2679 Depth=2
	v_mov_b32_e32 v48, 0
	v_cmp_ne_u32_e32 vcc, 0, v2
	s_and_saveexec_b64 s[88:89], vcc
	s_cbranch_execz .LBB4_3137
; %bb.3130:                             ;   in Loop: Header=BB4_2679 Depth=2
	v_bfe_u32 v48, v2, 23, 8
	v_cmp_gt_u32_e64 s[18:19], s53, v48
	v_sub_u32_e32 v2, 0x71, v48
	v_cmp_eq_u32_e32 vcc, 0, v48
	v_cndmask_b32_e64 v2, 0, v2, s[18:19]
	v_mov_b32_e32 v27, 0x70
	v_cndmask_b32_e32 v49, v2, v27, vcc
	v_add_u32_e32 v2, 21, v49
	v_or_b32_e32 v26, 0x800000, v0
	v_lshlrev_b64 v[40:41], v2, -1
	v_cndmask_b32_e32 v0, v26, v0, vcc
	v_add_u32_e32 v2, 20, v49
	v_bfi_b32 v40, v40, 0, v0
	v_lshlrev_b64 v[42:43], v2, 1
	v_lshrrev_b64 v[0:1], v49, v[0:1]
	v_bfi_b32 v41, v41, 0, 0
	v_cmp_eq_u64_e64 s[18:19], v[40:41], v[42:43]
	v_mov_b32_e32 v2, v1
	v_mov_b32_e32 v1, v0
	s_and_saveexec_b64 s[90:91], s[18:19]
; %bb.3131:                             ;   in Loop: Header=BB4_2679 Depth=2
	v_bfe_u32 v1, v0, 21, 1
	v_add_co_u32_e64 v1, s[18:19], v0, v1
	v_add_co_u32_e64 v1, s[18:19], -1, v1
; %bb.3132:                             ;   in Loop: Header=BB4_2679 Depth=2
	s_or_b64 exec, exec, s[90:91]
	v_add_u32_e32 v2, 0xffffff81, v48
	v_mov_b32_e32 v26, 0xffffff82
	v_cndmask_b32_e32 v2, v2, v26, vcc
	v_lshrrev_b32_e32 v26, 23, v0
	v_add3_u32 v49, v49, v2, v26
	v_add_u32_e32 v48, 14, v49
	v_and_b32_e32 v1, 0x1fffff, v1
	v_add_u32_e32 v0, v1, v0
	v_mov_b32_e32 v1, v51
	v_cmp_ne_u32_e32 vcc, 0, v48
                                        ; implicit-def: $vgpr2
	s_and_saveexec_b64 s[18:19], vcc
	s_xor_b64 s[18:19], exec, s[18:19]
; %bb.3133:                             ;   in Loop: Header=BB4_2679 Depth=2
	v_cmp_lt_u64_e32 vcc, s[62:63], v[0:1]
	v_add_u32_e32 v2, 15, v49
	v_cndmask_b32_e64 v26, 0, 1, vcc
	v_cndmask_b32_e32 v2, v48, v2, vcc
	v_lshrrev_b64 v[0:1], v26, v[0:1]
; %bb.3134:                             ;   in Loop: Header=BB4_2679 Depth=2
	s_or_saveexec_b64 s[18:19], s[18:19]
	v_mov_b32_e32 v43, -1
	s_xor_b64 exec, exec, s[18:19]
; %bb.3135:                             ;   in Loop: Header=BB4_2679 Depth=2
	v_bfe_u32 v2, v0, 23, 1
; %bb.3136:                             ;   in Loop: Header=BB4_2679 Depth=2
	s_or_b64 exec, exec, s[18:19]
	v_lshrrev_b64 v[0:1], 21, v[0:1]
	v_cmp_gt_i32_e32 vcc, 32, v2
	v_cndmask_b32_e32 v1, 0, v1, vcc
	v_cndmask_b32_e32 v0, 3, v0, vcc
	v_cmp_eq_u64_e64 s[18:19], 0, v[0:1]
	v_min_i32_e32 v1, 31, v2
	v_lshlrev_b32_e32 v1, 2, v1
	v_cmp_eq_u32_e32 vcc, 0, v2
	v_and_b32_e32 v1, 0xfc, v1
	v_and_or_b32 v0, v0, 3, v1
	s_and_b64 s[18:19], vcc, s[18:19]
	v_cndmask_b32_e64 v0, v0, 0, s[18:19]
	v_or_b32_e32 v48, v0, v4
.LBB4_3137:                             ;   in Loop: Header=BB4_2679 Depth=2
	s_or_b64 exec, exec, s[88:89]
                                        ; implicit-def: $vgpr4
.LBB4_3138:                             ;   in Loop: Header=BB4_2679 Depth=2
	s_andn2_saveexec_b64 s[18:19], s[78:79]
; %bb.3139:                             ;   in Loop: Header=BB4_2679 Depth=2
	v_or_b32_e32 v48, 0x7b, v4
; %bb.3140:                             ;   in Loop: Header=BB4_2679 Depth=2
	s_or_b64 exec, exec, s[18:19]
                                        ; implicit-def: $vgpr2
                                        ; implicit-def: $vgpr0_vgpr1
.LBB4_3141:                             ;   in Loop: Header=BB4_2679 Depth=2
	s_andn2_saveexec_b64 s[18:19], s[76:77]
	s_cbranch_execz .LBB4_3147
; %bb.3142:                             ;   in Loop: Header=BB4_2679 Depth=2
	v_cmp_ne_u64_e32 vcc, 0, v[0:1]
                                        ; implicit-def: $vgpr48
	s_and_saveexec_b64 s[76:77], vcc
	s_xor_b64 s[76:77], exec, s[76:77]
; %bb.3143:                             ;   in Loop: Header=BB4_2679 Depth=2
	v_or_b32_sdwa v48, v2, s54 dst_sel:DWORD dst_unused:UNUSED_PAD src0_sel:BYTE_3 src1_sel:DWORD
                                        ; implicit-def: $vgpr2
; %bb.3144:                             ;   in Loop: Header=BB4_2679 Depth=2
	s_andn2_saveexec_b64 s[76:77], s[76:77]
; %bb.3145:                             ;   in Loop: Header=BB4_2679 Depth=2
	v_cmp_lt_i32_e32 vcc, -1, v2
	v_bfrev_b32_e32 v0, 0.5
	v_mov_b32_e32 v1, 0x7c
	v_cndmask_b32_e32 v48, v0, v1, vcc
; %bb.3146:                             ;   in Loop: Header=BB4_2679 Depth=2
	s_or_b64 exec, exec, s[76:77]
.LBB4_3147:                             ;   in Loop: Header=BB4_2679 Depth=2
	s_or_b64 exec, exec, s[18:19]
	v_lshrrev_b16_e32 v0, 8, v50
	v_cmp_ne_u16_e32 vcc, 0, v0
	v_mov_b32_e32 v2, 0
	v_mov_b32_e32 v1, 0
	s_and_saveexec_b64 s[18:19], vcc
	s_cbranch_execz .LBB4_3155
; %bb.3148:                             ;   in Loop: Header=BB4_2679 Depth=2
	v_cmp_ne_u16_e32 vcc, s52, v0
	v_bfrev_b32_e32 v1, 1
	s_and_saveexec_b64 s[76:77], vcc
	s_cbranch_execz .LBB4_3154
; %bb.3149:                             ;   in Loop: Header=BB4_2679 Depth=2
	v_and_b32_e32 v1, 0x7c, v0
	v_and_b32_e32 v4, 3, v0
	v_cmp_ne_u32_e32 vcc, s50, v1
                                        ; implicit-def: $vgpr1
	s_and_saveexec_b64 s[78:79], vcc
	s_xor_b64 s[78:79], exec, s[78:79]
	s_cbranch_execz .LBB4_3151
; %bb.3150:                             ;   in Loop: Header=BB4_2679 Depth=2
	v_ffbh_u32_e32 v27, v4
	v_min_u32_e32 v27, 32, v27
	v_mov_b32_e32 v1, v51
	v_subrev_u32_e32 v49, 29, v27
	v_bfe_u32 v26, v0, 2, 5
	v_lshlrev_b64 v[0:1], v49, v[0:1]
	v_cmp_eq_u32_e32 vcc, 0, v26
	v_and_b32_e32 v0, 3, v0
	v_sub_u32_e32 v1, 30, v27
	v_cndmask_b32_e32 v0, v4, v0, vcc
	v_lshlrev_b32_e32 v4, 16, v50
	v_cndmask_b32_e32 v1, v26, v1, vcc
	v_and_b32_e32 v4, 0x80000000, v4
	v_lshl_add_u32 v1, v1, 23, v4
	v_lshl_or_b32 v0, v0, 21, v1
	v_add_u32_e32 v1, 0x38000000, v0
                                        ; implicit-def: $vgpr4
.LBB4_3151:                             ;   in Loop: Header=BB4_2679 Depth=2
	s_andn2_saveexec_b64 s[78:79], s[78:79]
; %bb.3152:                             ;   in Loop: Header=BB4_2679 Depth=2
	v_cmp_lt_i16_e32 vcc, -1, v50
	v_cndmask_b32_e32 v0, v5, v36, vcc
	v_cmp_eq_u32_e32 vcc, 0, v4
	v_cndmask_b32_e32 v1, v37, v0, vcc
; %bb.3153:                             ;   in Loop: Header=BB4_2679 Depth=2
	s_or_b64 exec, exec, s[78:79]
.LBB4_3154:                             ;   in Loop: Header=BB4_2679 Depth=2
	s_or_b64 exec, exec, s[76:77]
.LBB4_3155:                             ;   in Loop: Header=BB4_2679 Depth=2
	s_or_b64 exec, exec, s[18:19]
	v_lshrrev_b16_e32 v50, 8, v21
	v_cmp_ne_u16_e32 vcc, 0, v50
	s_and_saveexec_b64 s[18:19], vcc
	s_cbranch_execz .LBB4_3163
; %bb.3156:                             ;   in Loop: Header=BB4_2679 Depth=2
	v_cmp_ne_u16_e32 vcc, s52, v50
	v_bfrev_b32_e32 v2, 1
	s_and_saveexec_b64 s[76:77], vcc
	s_cbranch_execz .LBB4_3162
; %bb.3157:                             ;   in Loop: Header=BB4_2679 Depth=2
	v_and_b32_e32 v2, 0x7c, v50
	v_and_b32_e32 v0, 3, v50
	v_cmp_ne_u32_e32 vcc, s50, v2
                                        ; implicit-def: $vgpr2
	s_and_saveexec_b64 s[78:79], vcc
	s_xor_b64 s[78:79], exec, s[78:79]
	s_cbranch_execz .LBB4_3159
; %bb.3158:                             ;   in Loop: Header=BB4_2679 Depth=2
	v_ffbh_u32_e32 v4, v0
	v_min_u32_e32 v4, 32, v4
	v_bfe_u32 v2, v50, 2, 5
	v_subrev_u32_e32 v26, 29, v4
	v_lshlrev_b64 v[49:50], v26, v[50:51]
	v_sub_u32_e32 v4, 30, v4
	v_cmp_eq_u32_e32 vcc, 0, v2
	v_cndmask_b32_e32 v2, v2, v4, vcc
	v_lshlrev_b32_e32 v4, 16, v21
	v_and_b32_e32 v26, 3, v49
	v_and_b32_e32 v4, 0x80000000, v4
	v_cndmask_b32_e32 v0, v0, v26, vcc
	v_lshl_add_u32 v2, v2, 23, v4
	v_lshl_or_b32 v0, v0, 21, v2
	v_add_u32_e32 v2, 0x38000000, v0
                                        ; implicit-def: $vgpr0
.LBB4_3159:                             ;   in Loop: Header=BB4_2679 Depth=2
	s_andn2_saveexec_b64 s[78:79], s[78:79]
; %bb.3160:                             ;   in Loop: Header=BB4_2679 Depth=2
	v_cmp_lt_i16_e32 vcc, -1, v21
	v_cndmask_b32_e32 v2, v5, v36, vcc
	v_cmp_eq_u32_e32 vcc, 0, v0
	v_cndmask_b32_e32 v2, v37, v2, vcc
; %bb.3161:                             ;   in Loop: Header=BB4_2679 Depth=2
	s_or_b64 exec, exec, s[78:79]
.LBB4_3162:                             ;   in Loop: Header=BB4_2679 Depth=2
	s_or_b64 exec, exec, s[76:77]
.LBB4_3163:                             ;   in Loop: Header=BB4_2679 Depth=2
	s_or_b64 exec, exec, s[18:19]
	v_mul_f32_e32 v0, v1, v2
	v_and_b32_e32 v1, 0x7f800000, v0
	v_mov_b32_e32 v2, v51
	v_cmp_ne_u64_e32 vcc, s[58:59], v[1:2]
	v_and_b32_e32 v50, 0x7fffff, v0
                                        ; implicit-def: $vgpr49
	s_and_saveexec_b64 s[18:19], vcc
	s_xor_b64 s[76:77], exec, s[18:19]
	s_cbranch_execz .LBB4_3177
; %bb.3164:                             ;   in Loop: Header=BB4_2679 Depth=2
	v_and_b32_e32 v1, 0x7fffffff, v0
	v_mov_b32_e32 v2, v51
	v_cmp_gt_u64_e32 vcc, s[60:61], v[1:2]
	v_and_b32_sdwa v4, v0, s52 dst_sel:DWORD dst_unused:UNUSED_PAD src0_sel:BYTE_3 src1_sel:DWORD
                                        ; implicit-def: $vgpr49
	s_and_saveexec_b64 s[18:19], vcc
	s_xor_b64 s[78:79], exec, s[18:19]
	s_cbranch_execz .LBB4_3174
; %bb.3165:                             ;   in Loop: Header=BB4_2679 Depth=2
	v_mov_b32_e32 v49, 0
	v_cmp_ne_u32_e32 vcc, 0, v0
	s_and_saveexec_b64 s[88:89], vcc
	s_cbranch_execz .LBB4_3173
; %bb.3166:                             ;   in Loop: Header=BB4_2679 Depth=2
	v_bfe_u32 v49, v0, 23, 8
	v_cmp_gt_u32_e64 s[18:19], s53, v49
	v_sub_u32_e32 v0, 0x71, v49
	v_cmp_eq_u32_e32 vcc, 0, v49
	v_cndmask_b32_e64 v0, 0, v0, s[18:19]
	v_mov_b32_e32 v2, 0x70
	v_cndmask_b32_e32 v54, v0, v2, vcc
	v_or_b32_e32 v1, 0x800000, v50
	v_add_u32_e32 v0, 21, v54
	v_cndmask_b32_e32 v50, v1, v50, vcc
	v_lshlrev_b64 v[0:1], v0, -1
	v_add_u32_e32 v2, 20, v54
	v_lshlrev_b64 v[40:41], v2, 1
	v_bfi_b32 v1, v1, 0, 0
	v_bfi_b32 v0, v0, 0, v50
	v_cmp_eq_u64_e64 s[18:19], v[0:1], v[40:41]
	v_lshrrev_b64 v[0:1], v54, v[50:51]
	v_mov_b32_e32 v2, v1
	v_mov_b32_e32 v1, v0
	s_and_saveexec_b64 s[90:91], s[18:19]
; %bb.3167:                             ;   in Loop: Header=BB4_2679 Depth=2
	v_bfe_u32 v1, v0, 21, 1
	v_add_co_u32_e64 v1, s[18:19], v0, v1
	v_add_co_u32_e64 v1, s[18:19], -1, v1
; %bb.3168:                             ;   in Loop: Header=BB4_2679 Depth=2
	s_or_b64 exec, exec, s[90:91]
	v_add_u32_e32 v2, 0xffffff81, v49
	v_mov_b32_e32 v26, 0xffffff82
	v_cndmask_b32_e32 v2, v2, v26, vcc
	v_lshrrev_b32_e32 v26, 23, v0
	v_add3_u32 v54, v54, v2, v26
	v_add_u32_e32 v49, 14, v54
	v_and_b32_e32 v1, 0x1fffff, v1
	v_add_u32_e32 v50, v1, v0
	v_cmp_ne_u32_e32 vcc, 0, v49
                                        ; implicit-def: $vgpr0_vgpr1
                                        ; implicit-def: $vgpr2
	s_and_saveexec_b64 s[18:19], vcc
	s_xor_b64 s[18:19], exec, s[18:19]
; %bb.3169:                             ;   in Loop: Header=BB4_2679 Depth=2
	v_cmp_lt_u64_e32 vcc, s[62:63], v[50:51]
	v_add_u32_e32 v0, 15, v54
	v_cndmask_b32_e32 v2, v49, v0, vcc
	v_cndmask_b32_e64 v0, 0, 1, vcc
	v_lshrrev_b64 v[0:1], v0, v[50:51]
; %bb.3170:                             ;   in Loop: Header=BB4_2679 Depth=2
	s_andn2_saveexec_b64 s[18:19], s[18:19]
; %bb.3171:                             ;   in Loop: Header=BB4_2679 Depth=2
	v_mov_b32_e32 v0, v50
	v_bfe_u32 v2, v50, 23, 1
	v_mov_b32_e32 v1, v51
; %bb.3172:                             ;   in Loop: Header=BB4_2679 Depth=2
	s_or_b64 exec, exec, s[18:19]
	v_lshrrev_b64 v[0:1], 21, v[0:1]
	v_cmp_gt_i32_e32 vcc, 32, v2
	v_cndmask_b32_e32 v1, 0, v1, vcc
	v_cndmask_b32_e32 v0, 3, v0, vcc
	v_cmp_eq_u64_e64 s[18:19], 0, v[0:1]
	v_min_i32_e32 v1, 31, v2
	v_lshlrev_b32_e32 v1, 2, v1
	v_cmp_eq_u32_e32 vcc, 0, v2
	v_and_b32_e32 v1, 0xfc, v1
	v_and_or_b32 v0, v0, 3, v1
	s_and_b64 s[18:19], vcc, s[18:19]
	v_cndmask_b32_e64 v0, v0, 0, s[18:19]
	v_or_b32_e32 v49, v0, v4
.LBB4_3173:                             ;   in Loop: Header=BB4_2679 Depth=2
	s_or_b64 exec, exec, s[88:89]
                                        ; implicit-def: $vgpr4
.LBB4_3174:                             ;   in Loop: Header=BB4_2679 Depth=2
	s_andn2_saveexec_b64 s[18:19], s[78:79]
; %bb.3175:                             ;   in Loop: Header=BB4_2679 Depth=2
	v_or_b32_e32 v49, 0x7b, v4
; %bb.3176:                             ;   in Loop: Header=BB4_2679 Depth=2
	s_or_b64 exec, exec, s[18:19]
                                        ; implicit-def: $vgpr0
.LBB4_3177:                             ;   in Loop: Header=BB4_2679 Depth=2
	s_andn2_saveexec_b64 s[18:19], s[76:77]
	s_cbranch_execz .LBB4_3183
; %bb.3178:                             ;   in Loop: Header=BB4_2679 Depth=2
	v_cmp_ne_u64_e32 vcc, 0, v[50:51]
                                        ; implicit-def: $vgpr49
	s_and_saveexec_b64 s[76:77], vcc
	s_xor_b64 s[76:77], exec, s[76:77]
; %bb.3179:                             ;   in Loop: Header=BB4_2679 Depth=2
	v_or_b32_sdwa v49, v0, s54 dst_sel:DWORD dst_unused:UNUSED_PAD src0_sel:BYTE_3 src1_sel:DWORD
                                        ; implicit-def: $vgpr0
; %bb.3180:                             ;   in Loop: Header=BB4_2679 Depth=2
	s_andn2_saveexec_b64 s[76:77], s[76:77]
; %bb.3181:                             ;   in Loop: Header=BB4_2679 Depth=2
	v_cmp_lt_i32_e32 vcc, -1, v0
	v_bfrev_b32_e32 v0, 0.5
	v_mov_b32_e32 v1, 0x7c
	v_cndmask_b32_e32 v49, v0, v1, vcc
; %bb.3182:                             ;   in Loop: Header=BB4_2679 Depth=2
	s_or_b64 exec, exec, s[76:77]
.LBB4_3183:                             ;   in Loop: Header=BB4_2679 Depth=2
	s_or_b64 exec, exec, s[18:19]
	v_lshrrev_b32_e32 v0, 16, v25
	v_cmp_ne_u16_sdwa s[76:77], v0, v51 src0_sel:BYTE_0 src1_sel:DWORD
	v_mov_b32_e32 v1, 0
	v_mov_b32_e32 v2, 0
	s_and_saveexec_b64 s[18:19], s[76:77]
	s_cbranch_execz .LBB4_3191
; %bb.3184:                             ;   in Loop: Header=BB4_2679 Depth=2
	v_cmp_ne_u16_sdwa s[78:79], v0, s52 src0_sel:BYTE_0 src1_sel:DWORD
	v_bfrev_b32_e32 v2, 1
	s_and_saveexec_b64 s[76:77], s[78:79]
	s_cbranch_execz .LBB4_3190
; %bb.3185:                             ;   in Loop: Header=BB4_2679 Depth=2
	v_and_b32_e32 v2, 0x7c0000, v25
	v_bfe_u32 v4, v25, 16, 2
	v_cmp_ne_u32_e32 vcc, s55, v2
                                        ; implicit-def: $vgpr2
	s_and_saveexec_b64 s[78:79], vcc
	s_xor_b64 s[78:79], exec, s[78:79]
	s_cbranch_execz .LBB4_3187
; %bb.3186:                             ;   in Loop: Header=BB4_2679 Depth=2
	v_ffbh_u32_e32 v26, v4
	v_min_u32_e32 v26, 32, v26
	v_subrev_u32_e32 v27, 29, v26
	v_lshlrev_b64 v[40:41], v27, v[0:1]
	v_bfe_u32 v2, v25, 18, 5
	v_sub_u32_e32 v0, 30, v26
	v_and_b32_e32 v26, 3, v40
	v_cmp_eq_u32_e32 vcc, 0, v2
	v_cndmask_b32_e32 v0, v2, v0, vcc
	v_cndmask_b32_e32 v2, v4, v26, vcc
	v_lshlrev_b32_e32 v4, 8, v25
	v_and_b32_e32 v4, 0x80000000, v4
	v_lshl_add_u32 v0, v0, 23, v4
	v_lshl_or_b32 v0, v2, 21, v0
	v_add_u32_e32 v2, 0x38000000, v0
                                        ; implicit-def: $vgpr4
                                        ; implicit-def: $vgpr0
.LBB4_3187:                             ;   in Loop: Header=BB4_2679 Depth=2
	s_andn2_saveexec_b64 s[78:79], s[78:79]
; %bb.3188:                             ;   in Loop: Header=BB4_2679 Depth=2
	v_cmp_gt_i16_sdwa vcc, sext(v0), v43 src0_sel:BYTE_0 src1_sel:DWORD
	v_cndmask_b32_e32 v0, v5, v36, vcc
	v_cmp_eq_u32_e32 vcc, 0, v4
	v_cndmask_b32_e32 v2, v37, v0, vcc
; %bb.3189:                             ;   in Loop: Header=BB4_2679 Depth=2
	s_or_b64 exec, exec, s[78:79]
.LBB4_3190:                             ;   in Loop: Header=BB4_2679 Depth=2
	s_or_b64 exec, exec, s[76:77]
.LBB4_3191:                             ;   in Loop: Header=BB4_2679 Depth=2
	s_or_b64 exec, exec, s[18:19]
	v_lshrrev_b32_e32 v0, 16, v21
	v_cmp_ne_u16_sdwa s[76:77], v0, v51 src0_sel:BYTE_0 src1_sel:DWORD
	s_and_saveexec_b64 s[18:19], s[76:77]
	s_cbranch_execz .LBB4_3199
; %bb.3192:                             ;   in Loop: Header=BB4_2679 Depth=2
	v_cmp_ne_u16_sdwa s[78:79], v0, s52 src0_sel:BYTE_0 src1_sel:DWORD
	v_bfrev_b32_e32 v1, 1
	s_and_saveexec_b64 s[76:77], s[78:79]
	s_cbranch_execz .LBB4_3198
; %bb.3193:                             ;   in Loop: Header=BB4_2679 Depth=2
	v_and_b32_e32 v1, 0x7c0000, v21
	v_bfe_u32 v4, v21, 16, 2
	v_cmp_ne_u32_e32 vcc, s55, v1
                                        ; implicit-def: $vgpr1
	s_and_saveexec_b64 s[78:79], vcc
	s_xor_b64 s[78:79], exec, s[78:79]
	s_cbranch_execz .LBB4_3195
; %bb.3194:                             ;   in Loop: Header=BB4_2679 Depth=2
	v_ffbh_u32_e32 v1, v4
	v_min_u32_e32 v27, 32, v1
	v_subrev_u32_e32 v1, 29, v27
	v_lshlrev_b64 v[0:1], v1, v[0:1]
	v_bfe_u32 v26, v21, 18, 5
	v_and_b32_e32 v0, 3, v0
	v_cmp_eq_u32_e32 vcc, 0, v26
	v_sub_u32_e32 v1, 30, v27
	v_cndmask_b32_e32 v0, v4, v0, vcc
	v_lshlrev_b32_e32 v4, 8, v21
	v_cndmask_b32_e32 v1, v26, v1, vcc
	v_and_b32_e32 v4, 0x80000000, v4
	v_lshl_add_u32 v1, v1, 23, v4
	v_lshl_or_b32 v0, v0, 21, v1
	v_add_u32_e32 v1, 0x38000000, v0
                                        ; implicit-def: $vgpr4
                                        ; implicit-def: $vgpr0
.LBB4_3195:                             ;   in Loop: Header=BB4_2679 Depth=2
	s_andn2_saveexec_b64 s[78:79], s[78:79]
; %bb.3196:                             ;   in Loop: Header=BB4_2679 Depth=2
	v_cmp_gt_i16_sdwa vcc, sext(v0), v43 src0_sel:BYTE_0 src1_sel:DWORD
	v_cndmask_b32_e32 v0, v5, v36, vcc
	v_cmp_eq_u32_e32 vcc, 0, v4
	v_cndmask_b32_e32 v1, v37, v0, vcc
; %bb.3197:                             ;   in Loop: Header=BB4_2679 Depth=2
	s_or_b64 exec, exec, s[78:79]
.LBB4_3198:                             ;   in Loop: Header=BB4_2679 Depth=2
	s_or_b64 exec, exec, s[76:77]
.LBB4_3199:                             ;   in Loop: Header=BB4_2679 Depth=2
	s_or_b64 exec, exec, s[18:19]
	v_mul_f32_e32 v0, v2, v1
	v_and_b32_e32 v1, 0x7f800000, v0
	v_mov_b32_e32 v2, v51
	v_cmp_ne_u64_e32 vcc, s[58:59], v[1:2]
	v_and_b32_e32 v50, 0x7fffff, v0
                                        ; implicit-def: $vgpr4
	s_and_saveexec_b64 s[18:19], vcc
	s_xor_b64 s[76:77], exec, s[18:19]
	s_cbranch_execz .LBB4_3213
; %bb.3200:                             ;   in Loop: Header=BB4_2679 Depth=2
	v_and_b32_e32 v1, 0x7fffffff, v0
	v_mov_b32_e32 v2, v51
	v_cmp_gt_u64_e32 vcc, s[60:61], v[1:2]
	v_and_b32_sdwa v54, v0, s52 dst_sel:DWORD dst_unused:UNUSED_PAD src0_sel:BYTE_3 src1_sel:DWORD
                                        ; implicit-def: $vgpr4
	s_and_saveexec_b64 s[18:19], vcc
	s_xor_b64 s[78:79], exec, s[18:19]
	s_cbranch_execz .LBB4_3210
; %bb.3201:                             ;   in Loop: Header=BB4_2679 Depth=2
	v_mov_b32_e32 v4, 0
	v_cmp_ne_u32_e32 vcc, 0, v0
	s_and_saveexec_b64 s[88:89], vcc
	s_cbranch_execz .LBB4_3209
; %bb.3202:                             ;   in Loop: Header=BB4_2679 Depth=2
	v_bfe_u32 v4, v0, 23, 8
	v_cmp_gt_u32_e64 s[18:19], s53, v4
	v_sub_u32_e32 v0, 0x71, v4
	v_cmp_eq_u32_e32 vcc, 0, v4
	v_cndmask_b32_e64 v0, 0, v0, s[18:19]
	v_mov_b32_e32 v2, 0x70
	v_cndmask_b32_e32 v40, v0, v2, vcc
	v_or_b32_e32 v1, 0x800000, v50
	v_add_u32_e32 v0, 21, v40
	v_cndmask_b32_e32 v50, v1, v50, vcc
	v_lshlrev_b64 v[0:1], v0, -1
	v_add_u32_e32 v2, 20, v40
	v_lshlrev_b64 v[41:42], v2, 1
	v_bfi_b32 v1, v1, 0, 0
	v_bfi_b32 v0, v0, 0, v50
	v_cmp_eq_u64_e64 s[18:19], v[0:1], v[41:42]
	v_lshrrev_b64 v[0:1], v40, v[50:51]
	v_mov_b32_e32 v2, v1
	v_mov_b32_e32 v1, v0
	s_and_saveexec_b64 s[90:91], s[18:19]
; %bb.3203:                             ;   in Loop: Header=BB4_2679 Depth=2
	v_bfe_u32 v1, v0, 21, 1
	v_add_co_u32_e64 v1, s[18:19], v0, v1
	v_add_co_u32_e64 v1, s[18:19], -1, v1
; %bb.3204:                             ;   in Loop: Header=BB4_2679 Depth=2
	s_or_b64 exec, exec, s[90:91]
	v_add_u32_e32 v2, 0xffffff81, v4
	v_mov_b32_e32 v4, 0xffffff82
	v_cndmask_b32_e32 v2, v2, v4, vcc
	v_lshrrev_b32_e32 v4, 23, v0
	v_add3_u32 v40, v40, v2, v4
	v_add_u32_e32 v4, 14, v40
	v_and_b32_e32 v1, 0x1fffff, v1
	v_add_u32_e32 v50, v1, v0
	v_cmp_ne_u32_e32 vcc, 0, v4
                                        ; implicit-def: $vgpr0_vgpr1
                                        ; implicit-def: $vgpr2
	s_and_saveexec_b64 s[18:19], vcc
	s_xor_b64 s[18:19], exec, s[18:19]
; %bb.3205:                             ;   in Loop: Header=BB4_2679 Depth=2
	v_cmp_lt_u64_e32 vcc, s[62:63], v[50:51]
	v_add_u32_e32 v0, 15, v40
	v_cndmask_b32_e32 v2, v4, v0, vcc
	v_cndmask_b32_e64 v0, 0, 1, vcc
	v_lshrrev_b64 v[0:1], v0, v[50:51]
; %bb.3206:                             ;   in Loop: Header=BB4_2679 Depth=2
	s_andn2_saveexec_b64 s[18:19], s[18:19]
; %bb.3207:                             ;   in Loop: Header=BB4_2679 Depth=2
	v_mov_b32_e32 v0, v50
	v_bfe_u32 v2, v50, 23, 1
	v_mov_b32_e32 v1, v51
; %bb.3208:                             ;   in Loop: Header=BB4_2679 Depth=2
	s_or_b64 exec, exec, s[18:19]
	v_lshrrev_b64 v[0:1], 21, v[0:1]
	v_cmp_gt_i32_e32 vcc, 32, v2
	v_cndmask_b32_e32 v1, 0, v1, vcc
	v_cndmask_b32_e32 v0, 3, v0, vcc
	v_cmp_eq_u64_e64 s[18:19], 0, v[0:1]
	v_min_i32_e32 v1, 31, v2
	v_lshlrev_b32_e32 v1, 2, v1
	v_cmp_eq_u32_e32 vcc, 0, v2
	v_and_b32_e32 v1, 0xfc, v1
	v_and_or_b32 v0, v0, 3, v1
	s_and_b64 s[18:19], vcc, s[18:19]
	v_cndmask_b32_e64 v0, v0, 0, s[18:19]
	v_or_b32_e32 v4, v0, v54
.LBB4_3209:                             ;   in Loop: Header=BB4_2679 Depth=2
	s_or_b64 exec, exec, s[88:89]
                                        ; implicit-def: $vgpr54
.LBB4_3210:                             ;   in Loop: Header=BB4_2679 Depth=2
	s_andn2_saveexec_b64 s[18:19], s[78:79]
; %bb.3211:                             ;   in Loop: Header=BB4_2679 Depth=2
	v_or_b32_e32 v4, 0x7b, v54
; %bb.3212:                             ;   in Loop: Header=BB4_2679 Depth=2
	s_or_b64 exec, exec, s[18:19]
                                        ; implicit-def: $vgpr0
.LBB4_3213:                             ;   in Loop: Header=BB4_2679 Depth=2
	s_andn2_saveexec_b64 s[18:19], s[76:77]
	s_cbranch_execz .LBB4_3219
; %bb.3214:                             ;   in Loop: Header=BB4_2679 Depth=2
	v_cmp_ne_u64_e32 vcc, 0, v[50:51]
                                        ; implicit-def: $vgpr4
	s_and_saveexec_b64 s[76:77], vcc
	s_xor_b64 s[76:77], exec, s[76:77]
; %bb.3215:                             ;   in Loop: Header=BB4_2679 Depth=2
	v_or_b32_sdwa v4, v0, s54 dst_sel:DWORD dst_unused:UNUSED_PAD src0_sel:BYTE_3 src1_sel:DWORD
                                        ; implicit-def: $vgpr0
; %bb.3216:                             ;   in Loop: Header=BB4_2679 Depth=2
	s_andn2_saveexec_b64 s[76:77], s[76:77]
; %bb.3217:                             ;   in Loop: Header=BB4_2679 Depth=2
	v_cmp_lt_i32_e32 vcc, -1, v0
	v_bfrev_b32_e32 v0, 0.5
	v_mov_b32_e32 v1, 0x7c
	v_cndmask_b32_e32 v4, v0, v1, vcc
; %bb.3218:                             ;   in Loop: Header=BB4_2679 Depth=2
	s_or_b64 exec, exec, s[76:77]
.LBB4_3219:                             ;   in Loop: Header=BB4_2679 Depth=2
	s_or_b64 exec, exec, s[18:19]
	v_cmp_lt_u64_e32 vcc, s[56:57], v[24:25]
	v_mov_b32_e32 v1, 0
	v_mov_b32_e32 v2, 0
	s_and_saveexec_b64 s[18:19], vcc
	s_cbranch_execz .LBB4_3227
; %bb.3220:                             ;   in Loop: Header=BB4_2679 Depth=2
	v_lshrrev_b32_e32 v0, 24, v25
	v_cmp_ne_u32_e32 vcc, s52, v0
	v_bfrev_b32_e32 v2, 1
	s_and_saveexec_b64 s[76:77], vcc
	s_cbranch_execz .LBB4_3226
; %bb.3221:                             ;   in Loop: Header=BB4_2679 Depth=2
	v_and_b32_e32 v2, 0x7c000000, v25
	v_bfe_u32 v50, v25, 24, 2
	v_cmp_ne_u32_e32 vcc, s64, v2
                                        ; implicit-def: $vgpr2
	s_and_saveexec_b64 s[78:79], vcc
	s_xor_b64 s[78:79], exec, s[78:79]
	s_cbranch_execz .LBB4_3223
; %bb.3222:                             ;   in Loop: Header=BB4_2679 Depth=2
	v_ffbh_u32_e32 v24, v50
	v_min_u32_e32 v24, 32, v24
	v_subrev_u32_e32 v26, 29, v24
	v_lshlrev_b64 v[40:41], v26, v[0:1]
	v_bfe_u32 v2, v25, 26, 5
	v_sub_u32_e32 v0, 30, v24
	v_and_b32_e32 v24, 3, v40
	v_cmp_eq_u32_e32 vcc, 0, v2
	v_cndmask_b32_e32 v0, v2, v0, vcc
	v_cndmask_b32_e32 v2, v50, v24, vcc
	v_and_b32_e32 v24, 0x80000000, v25
	v_lshl_add_u32 v0, v0, 23, v24
	v_lshl_or_b32 v0, v2, 21, v0
	v_add_u32_e32 v2, 0x38000000, v0
                                        ; implicit-def: $vgpr50
                                        ; implicit-def: $vgpr24_vgpr25
.LBB4_3223:                             ;   in Loop: Header=BB4_2679 Depth=2
	s_andn2_saveexec_b64 s[78:79], s[78:79]
; %bb.3224:                             ;   in Loop: Header=BB4_2679 Depth=2
	v_cmp_lt_i64_e32 vcc, -1, v[24:25]
	v_cndmask_b32_e32 v0, v5, v36, vcc
	v_cmp_eq_u32_e32 vcc, 0, v50
	v_cndmask_b32_e32 v2, v37, v0, vcc
; %bb.3225:                             ;   in Loop: Header=BB4_2679 Depth=2
	s_or_b64 exec, exec, s[78:79]
.LBB4_3226:                             ;   in Loop: Header=BB4_2679 Depth=2
	s_or_b64 exec, exec, s[76:77]
.LBB4_3227:                             ;   in Loop: Header=BB4_2679 Depth=2
	s_or_b64 exec, exec, s[18:19]
	v_cmp_lt_u64_e32 vcc, s[56:57], v[20:21]
	s_and_saveexec_b64 s[18:19], vcc
	s_cbranch_execz .LBB4_3235
; %bb.3228:                             ;   in Loop: Header=BB4_2679 Depth=2
	v_lshrrev_b32_e32 v0, 24, v21
	v_cmp_ne_u32_e32 vcc, s52, v0
	v_bfrev_b32_e32 v1, 1
	s_and_saveexec_b64 s[76:77], vcc
	s_cbranch_execz .LBB4_3234
; %bb.3229:                             ;   in Loop: Header=BB4_2679 Depth=2
	v_and_b32_e32 v1, 0x7c000000, v21
	v_bfe_u32 v24, v21, 24, 2
	v_cmp_ne_u32_e32 vcc, s64, v1
                                        ; implicit-def: $vgpr1
	s_and_saveexec_b64 s[78:79], vcc
	s_xor_b64 s[78:79], exec, s[78:79]
	s_cbranch_execz .LBB4_3231
; %bb.3230:                             ;   in Loop: Header=BB4_2679 Depth=2
	v_ffbh_u32_e32 v1, v24
	v_min_u32_e32 v25, 32, v1
	v_subrev_u32_e32 v1, 29, v25
	v_bfe_u32 v20, v21, 26, 5
	v_lshlrev_b64 v[0:1], v1, v[0:1]
	v_sub_u32_e32 v1, 30, v25
	v_cmp_eq_u32_e32 vcc, 0, v20
	v_and_b32_e32 v0, 3, v0
	v_cndmask_b32_e32 v1, v20, v1, vcc
	v_and_b32_e32 v20, 0x80000000, v21
	v_cndmask_b32_e32 v0, v24, v0, vcc
	v_lshl_add_u32 v1, v1, 23, v20
	v_lshl_or_b32 v0, v0, 21, v1
	v_add_u32_e32 v1, 0x38000000, v0
                                        ; implicit-def: $vgpr24
                                        ; implicit-def: $vgpr20_vgpr21
.LBB4_3231:                             ;   in Loop: Header=BB4_2679 Depth=2
	s_andn2_saveexec_b64 s[78:79], s[78:79]
; %bb.3232:                             ;   in Loop: Header=BB4_2679 Depth=2
	v_cmp_lt_i64_e32 vcc, -1, v[20:21]
	v_cndmask_b32_e32 v0, v5, v36, vcc
	v_cmp_eq_u32_e32 vcc, 0, v24
	v_cndmask_b32_e32 v1, v37, v0, vcc
; %bb.3233:                             ;   in Loop: Header=BB4_2679 Depth=2
	s_or_b64 exec, exec, s[78:79]
.LBB4_3234:                             ;   in Loop: Header=BB4_2679 Depth=2
	s_or_b64 exec, exec, s[76:77]
.LBB4_3235:                             ;   in Loop: Header=BB4_2679 Depth=2
	s_or_b64 exec, exec, s[18:19]
	v_mul_f32_e32 v0, v2, v1
	v_and_b32_e32 v1, 0x7f800000, v0
	v_mov_b32_e32 v2, v51
	v_cmp_ne_u64_e32 vcc, s[58:59], v[1:2]
	v_and_b32_e32 v50, 0x7fffff, v0
                                        ; implicit-def: $vgpr20
	s_and_saveexec_b64 s[18:19], vcc
	s_xor_b64 s[76:77], exec, s[18:19]
	s_cbranch_execz .LBB4_3249
; %bb.3236:                             ;   in Loop: Header=BB4_2679 Depth=2
	v_and_b32_e32 v1, 0x7fffffff, v0
	v_mov_b32_e32 v2, v51
	v_cmp_gt_u64_e32 vcc, s[60:61], v[1:2]
	v_and_b32_sdwa v21, v0, s52 dst_sel:DWORD dst_unused:UNUSED_PAD src0_sel:BYTE_3 src1_sel:DWORD
                                        ; implicit-def: $vgpr20
	s_and_saveexec_b64 s[18:19], vcc
	s_xor_b64 s[78:79], exec, s[18:19]
	s_cbranch_execz .LBB4_3246
; %bb.3237:                             ;   in Loop: Header=BB4_2679 Depth=2
	v_mov_b32_e32 v20, 0
	v_cmp_ne_u32_e32 vcc, 0, v0
	s_and_saveexec_b64 s[88:89], vcc
	s_cbranch_execz .LBB4_3245
; %bb.3238:                             ;   in Loop: Header=BB4_2679 Depth=2
	v_bfe_u32 v20, v0, 23, 8
	v_cmp_gt_u32_e64 s[18:19], s53, v20
	v_sub_u32_e32 v0, 0x71, v20
	v_cmp_eq_u32_e32 vcc, 0, v20
	v_cndmask_b32_e64 v0, 0, v0, s[18:19]
	v_mov_b32_e32 v2, 0x70
	v_cndmask_b32_e32 v24, v0, v2, vcc
	v_or_b32_e32 v1, 0x800000, v50
	v_add_u32_e32 v0, 21, v24
	v_cndmask_b32_e32 v50, v1, v50, vcc
	v_lshlrev_b64 v[0:1], v0, -1
	v_add_u32_e32 v2, 20, v24
	v_lshlrev_b64 v[40:41], v2, 1
	v_bfi_b32 v1, v1, 0, 0
	v_bfi_b32 v0, v0, 0, v50
	v_cmp_eq_u64_e64 s[18:19], v[0:1], v[40:41]
	v_lshrrev_b64 v[0:1], v24, v[50:51]
	v_mov_b32_e32 v2, v1
	v_mov_b32_e32 v1, v0
	s_and_saveexec_b64 s[90:91], s[18:19]
; %bb.3239:                             ;   in Loop: Header=BB4_2679 Depth=2
	v_bfe_u32 v1, v0, 21, 1
	v_add_co_u32_e64 v1, s[18:19], v0, v1
	v_add_co_u32_e64 v1, s[18:19], -1, v1
; %bb.3240:                             ;   in Loop: Header=BB4_2679 Depth=2
	s_or_b64 exec, exec, s[90:91]
	v_add_u32_e32 v2, 0xffffff81, v20
	v_mov_b32_e32 v20, 0xffffff82
	v_cndmask_b32_e32 v2, v2, v20, vcc
	v_lshrrev_b32_e32 v20, 23, v0
	v_add3_u32 v24, v24, v2, v20
	v_add_u32_e32 v20, 14, v24
	v_and_b32_e32 v1, 0x1fffff, v1
	v_add_u32_e32 v50, v1, v0
	v_cmp_ne_u32_e32 vcc, 0, v20
                                        ; implicit-def: $vgpr0_vgpr1
                                        ; implicit-def: $vgpr2
	s_and_saveexec_b64 s[18:19], vcc
	s_xor_b64 s[18:19], exec, s[18:19]
; %bb.3241:                             ;   in Loop: Header=BB4_2679 Depth=2
	v_cmp_lt_u64_e32 vcc, s[62:63], v[50:51]
	v_add_u32_e32 v0, 15, v24
	v_cndmask_b32_e32 v2, v20, v0, vcc
	v_cndmask_b32_e64 v0, 0, 1, vcc
	v_lshrrev_b64 v[0:1], v0, v[50:51]
; %bb.3242:                             ;   in Loop: Header=BB4_2679 Depth=2
	s_andn2_saveexec_b64 s[18:19], s[18:19]
; %bb.3243:                             ;   in Loop: Header=BB4_2679 Depth=2
	v_mov_b32_e32 v0, v50
	v_bfe_u32 v2, v50, 23, 1
	v_mov_b32_e32 v1, v51
; %bb.3244:                             ;   in Loop: Header=BB4_2679 Depth=2
	s_or_b64 exec, exec, s[18:19]
	v_lshrrev_b64 v[0:1], 21, v[0:1]
	v_cmp_gt_i32_e32 vcc, 32, v2
	v_cndmask_b32_e32 v1, 0, v1, vcc
	v_cndmask_b32_e32 v0, 3, v0, vcc
	v_cmp_eq_u64_e64 s[18:19], 0, v[0:1]
	v_min_i32_e32 v1, 31, v2
	v_lshlrev_b32_e32 v1, 2, v1
	v_cmp_eq_u32_e32 vcc, 0, v2
	v_and_b32_e32 v1, 0xfc, v1
	v_and_or_b32 v0, v0, 3, v1
	s_and_b64 s[18:19], vcc, s[18:19]
	v_cndmask_b32_e64 v0, v0, 0, s[18:19]
	v_or_b32_e32 v20, v0, v21
.LBB4_3245:                             ;   in Loop: Header=BB4_2679 Depth=2
	s_or_b64 exec, exec, s[88:89]
                                        ; implicit-def: $vgpr21
.LBB4_3246:                             ;   in Loop: Header=BB4_2679 Depth=2
	s_andn2_saveexec_b64 s[18:19], s[78:79]
; %bb.3247:                             ;   in Loop: Header=BB4_2679 Depth=2
	v_or_b32_e32 v20, 0x7b, v21
; %bb.3248:                             ;   in Loop: Header=BB4_2679 Depth=2
	s_or_b64 exec, exec, s[18:19]
                                        ; implicit-def: $vgpr0
.LBB4_3249:                             ;   in Loop: Header=BB4_2679 Depth=2
	s_andn2_saveexec_b64 s[18:19], s[76:77]
	s_cbranch_execz .LBB4_3255
; %bb.3250:                             ;   in Loop: Header=BB4_2679 Depth=2
	v_cmp_ne_u64_e32 vcc, 0, v[50:51]
                                        ; implicit-def: $vgpr20
	s_and_saveexec_b64 s[76:77], vcc
	s_xor_b64 s[76:77], exec, s[76:77]
; %bb.3251:                             ;   in Loop: Header=BB4_2679 Depth=2
	v_or_b32_sdwa v20, v0, s54 dst_sel:DWORD dst_unused:UNUSED_PAD src0_sel:BYTE_3 src1_sel:DWORD
                                        ; implicit-def: $vgpr0
; %bb.3252:                             ;   in Loop: Header=BB4_2679 Depth=2
	s_andn2_saveexec_b64 s[76:77], s[76:77]
; %bb.3253:                             ;   in Loop: Header=BB4_2679 Depth=2
	v_cmp_lt_i32_e32 vcc, -1, v0
	v_bfrev_b32_e32 v0, 0.5
	v_mov_b32_e32 v1, 0x7c
	v_cndmask_b32_e32 v20, v0, v1, vcc
; %bb.3254:                             ;   in Loop: Header=BB4_2679 Depth=2
	s_or_b64 exec, exec, s[76:77]
.LBB4_3255:                             ;   in Loop: Header=BB4_2679 Depth=2
	s_or_b64 exec, exec, s[18:19]
	v_cmp_ne_u16_sdwa s[76:77], v14, v51 src0_sel:BYTE_0 src1_sel:DWORD
	v_mov_b32_e32 v0, 0
	v_mov_b32_e32 v1, 0
	s_and_saveexec_b64 s[18:19], s[76:77]
	s_cbranch_execz .LBB4_3263
; %bb.3256:                             ;   in Loop: Header=BB4_2679 Depth=2
	v_cmp_ne_u16_sdwa s[78:79], sext(v14), s49 src0_sel:BYTE_0 src1_sel:DWORD
	v_bfrev_b32_e32 v1, 1
	s_and_saveexec_b64 s[76:77], s[78:79]
	s_cbranch_execz .LBB4_3262
; %bb.3257:                             ;   in Loop: Header=BB4_2679 Depth=2
	v_and_b32_e32 v1, 0x7c, v14
	v_and_b32_e32 v2, 3, v14
	v_cmp_ne_u32_e32 vcc, s50, v1
                                        ; implicit-def: $vgpr1
	s_and_saveexec_b64 s[78:79], vcc
	s_xor_b64 s[78:79], exec, s[78:79]
	s_cbranch_execz .LBB4_3259
; %bb.3258:                             ;   in Loop: Header=BB4_2679 Depth=2
	v_ffbh_u32_e32 v21, v2
	v_min_u32_e32 v21, 32, v21
	v_bfe_u32 v1, v14, 2, 5
	v_subrev_u32_e32 v24, 29, v21
	v_lshlrev_b64 v[24:25], v24, v[14:15]
	v_sub_u32_e32 v21, 30, v21
	v_cmp_eq_u32_e32 vcc, 0, v1
	v_cndmask_b32_e32 v1, v1, v21, vcc
	v_lshlrev_b32_e32 v21, 24, v14
	v_and_b32_e32 v24, 3, v24
	v_and_b32_e32 v21, 0x80000000, v21
	v_cndmask_b32_e32 v2, v2, v24, vcc
	v_lshl_add_u32 v1, v1, 23, v21
	v_lshl_or_b32 v1, v2, 21, v1
	v_add_u32_e32 v1, 0x38000000, v1
                                        ; implicit-def: $vgpr2
.LBB4_3259:                             ;   in Loop: Header=BB4_2679 Depth=2
	s_andn2_saveexec_b64 s[78:79], s[78:79]
; %bb.3260:                             ;   in Loop: Header=BB4_2679 Depth=2
	v_cmp_gt_i16_sdwa vcc, sext(v14), v43 src0_sel:BYTE_0 src1_sel:DWORD
	v_cndmask_b32_e32 v1, v5, v36, vcc
	v_cmp_eq_u32_e32 vcc, 0, v2
	v_cndmask_b32_e32 v1, v37, v1, vcc
; %bb.3261:                             ;   in Loop: Header=BB4_2679 Depth=2
	s_or_b64 exec, exec, s[78:79]
.LBB4_3262:                             ;   in Loop: Header=BB4_2679 Depth=2
	s_or_b64 exec, exec, s[76:77]
.LBB4_3263:                             ;   in Loop: Header=BB4_2679 Depth=2
	s_or_b64 exec, exec, s[18:19]
	s_waitcnt vmcnt(0)
	v_cmp_ne_u16_sdwa s[76:77], v10, v51 src0_sel:BYTE_0 src1_sel:DWORD
	s_and_saveexec_b64 s[18:19], s[76:77]
	s_cbranch_execz .LBB4_3271
; %bb.3264:                             ;   in Loop: Header=BB4_2679 Depth=2
	v_cmp_ne_u16_sdwa s[78:79], sext(v10), s49 src0_sel:BYTE_0 src1_sel:DWORD
	v_bfrev_b32_e32 v0, 1
	s_and_saveexec_b64 s[76:77], s[78:79]
	s_cbranch_execz .LBB4_3270
; %bb.3265:                             ;   in Loop: Header=BB4_2679 Depth=2
	v_and_b32_e32 v0, 0x7c, v10
	v_and_b32_e32 v2, 3, v10
	v_cmp_ne_u32_e32 vcc, s50, v0
                                        ; implicit-def: $vgpr0
	s_and_saveexec_b64 s[78:79], vcc
	s_xor_b64 s[78:79], exec, s[78:79]
	s_cbranch_execz .LBB4_3267
; %bb.3266:                             ;   in Loop: Header=BB4_2679 Depth=2
	v_ffbh_u32_e32 v21, v2
	v_min_u32_e32 v21, 32, v21
	v_bfe_u32 v0, v10, 2, 5
	v_subrev_u32_e32 v24, 29, v21
	v_lshlrev_b64 v[24:25], v24, v[10:11]
	v_sub_u32_e32 v21, 30, v21
	v_cmp_eq_u32_e32 vcc, 0, v0
	v_cndmask_b32_e32 v0, v0, v21, vcc
	v_lshlrev_b32_e32 v21, 24, v10
	v_and_b32_e32 v24, 3, v24
	v_and_b32_e32 v21, 0x80000000, v21
	v_cndmask_b32_e32 v2, v2, v24, vcc
	v_lshl_add_u32 v0, v0, 23, v21
	v_lshl_or_b32 v0, v2, 21, v0
	v_add_u32_e32 v0, 0x38000000, v0
                                        ; implicit-def: $vgpr2
.LBB4_3267:                             ;   in Loop: Header=BB4_2679 Depth=2
	s_andn2_saveexec_b64 s[78:79], s[78:79]
; %bb.3268:                             ;   in Loop: Header=BB4_2679 Depth=2
	v_cmp_gt_i16_sdwa vcc, sext(v10), v43 src0_sel:BYTE_0 src1_sel:DWORD
	v_cndmask_b32_e32 v0, v5, v36, vcc
	v_cmp_eq_u32_e32 vcc, 0, v2
	v_cndmask_b32_e32 v0, v37, v0, vcc
; %bb.3269:                             ;   in Loop: Header=BB4_2679 Depth=2
	s_or_b64 exec, exec, s[78:79]
.LBB4_3270:                             ;   in Loop: Header=BB4_2679 Depth=2
	s_or_b64 exec, exec, s[76:77]
.LBB4_3271:                             ;   in Loop: Header=BB4_2679 Depth=2
	s_or_b64 exec, exec, s[18:19]
	v_mul_f32_e32 v0, v1, v0
	v_and_b32_e32 v1, 0x7f800000, v0
	v_mov_b32_e32 v2, v51
	v_cmp_ne_u64_e32 vcc, s[58:59], v[1:2]
	v_and_b32_e32 v50, 0x7fffff, v0
                                        ; implicit-def: $vgpr21
	s_and_saveexec_b64 s[18:19], vcc
	s_xor_b64 s[76:77], exec, s[18:19]
	s_cbranch_execz .LBB4_3285
; %bb.3272:                             ;   in Loop: Header=BB4_2679 Depth=2
	v_and_b32_e32 v1, 0x7fffffff, v0
	v_mov_b32_e32 v2, v51
	v_cmp_gt_u64_e32 vcc, s[60:61], v[1:2]
	v_and_b32_sdwa v24, v0, s52 dst_sel:DWORD dst_unused:UNUSED_PAD src0_sel:BYTE_3 src1_sel:DWORD
                                        ; implicit-def: $vgpr21
	s_and_saveexec_b64 s[18:19], vcc
	s_xor_b64 s[78:79], exec, s[18:19]
	s_cbranch_execz .LBB4_3282
; %bb.3273:                             ;   in Loop: Header=BB4_2679 Depth=2
	v_mov_b32_e32 v21, 0
	v_cmp_ne_u32_e32 vcc, 0, v0
	s_and_saveexec_b64 s[88:89], vcc
	s_cbranch_execz .LBB4_3281
; %bb.3274:                             ;   in Loop: Header=BB4_2679 Depth=2
	v_bfe_u32 v21, v0, 23, 8
	v_cmp_gt_u32_e64 s[18:19], s53, v21
	v_sub_u32_e32 v0, 0x71, v21
	v_cmp_eq_u32_e32 vcc, 0, v21
	v_cndmask_b32_e64 v0, 0, v0, s[18:19]
	v_mov_b32_e32 v2, 0x70
	v_cndmask_b32_e32 v25, v0, v2, vcc
	v_or_b32_e32 v1, 0x800000, v50
	v_add_u32_e32 v0, 21, v25
	v_cndmask_b32_e32 v50, v1, v50, vcc
	v_lshlrev_b64 v[0:1], v0, -1
	v_add_u32_e32 v2, 20, v25
	v_lshlrev_b64 v[40:41], v2, 1
	v_bfi_b32 v1, v1, 0, 0
	v_bfi_b32 v0, v0, 0, v50
	v_cmp_eq_u64_e64 s[18:19], v[0:1], v[40:41]
	v_lshrrev_b64 v[0:1], v25, v[50:51]
	v_mov_b32_e32 v2, v1
	v_mov_b32_e32 v1, v0
	s_and_saveexec_b64 s[90:91], s[18:19]
; %bb.3275:                             ;   in Loop: Header=BB4_2679 Depth=2
	v_bfe_u32 v1, v0, 21, 1
	v_add_co_u32_e64 v1, s[18:19], v0, v1
	v_add_co_u32_e64 v1, s[18:19], -1, v1
; %bb.3276:                             ;   in Loop: Header=BB4_2679 Depth=2
	s_or_b64 exec, exec, s[90:91]
	v_add_u32_e32 v2, 0xffffff81, v21
	v_mov_b32_e32 v21, 0xffffff82
	v_cndmask_b32_e32 v2, v2, v21, vcc
	v_lshrrev_b32_e32 v21, 23, v0
	v_add3_u32 v25, v25, v2, v21
	v_add_u32_e32 v21, 14, v25
	v_and_b32_e32 v1, 0x1fffff, v1
	v_add_u32_e32 v50, v1, v0
	v_cmp_ne_u32_e32 vcc, 0, v21
                                        ; implicit-def: $vgpr0_vgpr1
                                        ; implicit-def: $vgpr2
	s_and_saveexec_b64 s[18:19], vcc
	s_xor_b64 s[18:19], exec, s[18:19]
; %bb.3277:                             ;   in Loop: Header=BB4_2679 Depth=2
	v_cmp_lt_u64_e32 vcc, s[62:63], v[50:51]
	v_add_u32_e32 v0, 15, v25
	v_cndmask_b32_e32 v2, v21, v0, vcc
	v_cndmask_b32_e64 v0, 0, 1, vcc
	v_lshrrev_b64 v[0:1], v0, v[50:51]
; %bb.3278:                             ;   in Loop: Header=BB4_2679 Depth=2
	s_andn2_saveexec_b64 s[18:19], s[18:19]
; %bb.3279:                             ;   in Loop: Header=BB4_2679 Depth=2
	v_mov_b32_e32 v0, v50
	v_bfe_u32 v2, v50, 23, 1
	v_mov_b32_e32 v1, v51
; %bb.3280:                             ;   in Loop: Header=BB4_2679 Depth=2
	s_or_b64 exec, exec, s[18:19]
	v_lshrrev_b64 v[0:1], 21, v[0:1]
	v_cmp_gt_i32_e32 vcc, 32, v2
	v_cndmask_b32_e32 v1, 0, v1, vcc
	v_cndmask_b32_e32 v0, 3, v0, vcc
	v_cmp_eq_u64_e64 s[18:19], 0, v[0:1]
	v_min_i32_e32 v1, 31, v2
	v_lshlrev_b32_e32 v1, 2, v1
	v_cmp_eq_u32_e32 vcc, 0, v2
	v_and_b32_e32 v1, 0xfc, v1
	v_and_or_b32 v0, v0, 3, v1
	s_and_b64 s[18:19], vcc, s[18:19]
	v_cndmask_b32_e64 v0, v0, 0, s[18:19]
	v_or_b32_e32 v21, v0, v24
.LBB4_3281:                             ;   in Loop: Header=BB4_2679 Depth=2
	s_or_b64 exec, exec, s[88:89]
                                        ; implicit-def: $vgpr24
.LBB4_3282:                             ;   in Loop: Header=BB4_2679 Depth=2
	s_andn2_saveexec_b64 s[18:19], s[78:79]
; %bb.3283:                             ;   in Loop: Header=BB4_2679 Depth=2
	v_or_b32_e32 v21, 0x7b, v24
; %bb.3284:                             ;   in Loop: Header=BB4_2679 Depth=2
	s_or_b64 exec, exec, s[18:19]
                                        ; implicit-def: $vgpr0
.LBB4_3285:                             ;   in Loop: Header=BB4_2679 Depth=2
	s_andn2_saveexec_b64 s[18:19], s[76:77]
	s_cbranch_execz .LBB4_3291
; %bb.3286:                             ;   in Loop: Header=BB4_2679 Depth=2
	v_cmp_ne_u64_e32 vcc, 0, v[50:51]
                                        ; implicit-def: $vgpr21
	s_and_saveexec_b64 s[76:77], vcc
	s_xor_b64 s[76:77], exec, s[76:77]
; %bb.3287:                             ;   in Loop: Header=BB4_2679 Depth=2
	v_or_b32_sdwa v21, v0, s54 dst_sel:DWORD dst_unused:UNUSED_PAD src0_sel:BYTE_3 src1_sel:DWORD
                                        ; implicit-def: $vgpr0
; %bb.3288:                             ;   in Loop: Header=BB4_2679 Depth=2
	s_andn2_saveexec_b64 s[76:77], s[76:77]
; %bb.3289:                             ;   in Loop: Header=BB4_2679 Depth=2
	v_cmp_lt_i32_e32 vcc, -1, v0
	v_bfrev_b32_e32 v0, 0.5
	v_mov_b32_e32 v1, 0x7c
	v_cndmask_b32_e32 v21, v0, v1, vcc
; %bb.3290:                             ;   in Loop: Header=BB4_2679 Depth=2
	s_or_b64 exec, exec, s[76:77]
.LBB4_3291:                             ;   in Loop: Header=BB4_2679 Depth=2
	s_or_b64 exec, exec, s[18:19]
	v_lshrrev_b16_e32 v50, 8, v14
	v_cmp_ne_u16_e32 vcc, 0, v50
	v_mov_b32_e32 v0, 0
	v_mov_b32_e32 v1, 0
	s_and_saveexec_b64 s[18:19], vcc
	s_cbranch_execz .LBB4_3299
; %bb.3292:                             ;   in Loop: Header=BB4_2679 Depth=2
	v_cmp_ne_u16_e32 vcc, s52, v50
	v_bfrev_b32_e32 v1, 1
	s_and_saveexec_b64 s[76:77], vcc
	s_cbranch_execz .LBB4_3298
; %bb.3293:                             ;   in Loop: Header=BB4_2679 Depth=2
	v_and_b32_e32 v1, 0x7c, v50
	v_and_b32_e32 v2, 3, v50
	v_cmp_ne_u32_e32 vcc, s50, v1
                                        ; implicit-def: $vgpr1
	s_and_saveexec_b64 s[78:79], vcc
	s_xor_b64 s[78:79], exec, s[78:79]
	s_cbranch_execz .LBB4_3295
; %bb.3294:                             ;   in Loop: Header=BB4_2679 Depth=2
	v_ffbh_u32_e32 v24, v2
	v_min_u32_e32 v26, 32, v24
	v_subrev_u32_e32 v24, 29, v26
	v_lshlrev_b64 v[24:25], v24, v[50:51]
	v_bfe_u32 v1, v50, 2, 5
	v_and_b32_e32 v24, 3, v24
	v_cmp_eq_u32_e32 vcc, 0, v1
	v_sub_u32_e32 v25, 30, v26
	v_cndmask_b32_e32 v2, v2, v24, vcc
	v_lshlrev_b32_e32 v24, 16, v14
	v_cndmask_b32_e32 v1, v1, v25, vcc
	v_and_b32_e32 v24, 0x80000000, v24
	v_lshl_add_u32 v1, v1, 23, v24
	v_lshl_or_b32 v1, v2, 21, v1
	v_add_u32_e32 v1, 0x38000000, v1
                                        ; implicit-def: $vgpr2
.LBB4_3295:                             ;   in Loop: Header=BB4_2679 Depth=2
	s_andn2_saveexec_b64 s[78:79], s[78:79]
; %bb.3296:                             ;   in Loop: Header=BB4_2679 Depth=2
	v_cmp_lt_i16_e32 vcc, -1, v14
	v_cndmask_b32_e32 v1, v5, v36, vcc
	v_cmp_eq_u32_e32 vcc, 0, v2
	v_cndmask_b32_e32 v1, v37, v1, vcc
; %bb.3297:                             ;   in Loop: Header=BB4_2679 Depth=2
	s_or_b64 exec, exec, s[78:79]
.LBB4_3298:                             ;   in Loop: Header=BB4_2679 Depth=2
	s_or_b64 exec, exec, s[76:77]
.LBB4_3299:                             ;   in Loop: Header=BB4_2679 Depth=2
	s_or_b64 exec, exec, s[18:19]
	v_lshrrev_b16_e32 v50, 8, v10
	v_cmp_ne_u16_e32 vcc, 0, v50
	s_and_saveexec_b64 s[18:19], vcc
	s_cbranch_execz .LBB4_3307
; %bb.3300:                             ;   in Loop: Header=BB4_2679 Depth=2
	v_cmp_ne_u16_e32 vcc, s52, v50
	v_bfrev_b32_e32 v0, 1
	s_and_saveexec_b64 s[76:77], vcc
	s_cbranch_execz .LBB4_3306
; %bb.3301:                             ;   in Loop: Header=BB4_2679 Depth=2
	v_and_b32_e32 v0, 0x7c, v50
	v_and_b32_e32 v2, 3, v50
	v_cmp_ne_u32_e32 vcc, s50, v0
                                        ; implicit-def: $vgpr0
	s_and_saveexec_b64 s[78:79], vcc
	s_xor_b64 s[78:79], exec, s[78:79]
	s_cbranch_execz .LBB4_3303
; %bb.3302:                             ;   in Loop: Header=BB4_2679 Depth=2
	v_ffbh_u32_e32 v24, v2
	v_min_u32_e32 v26, 32, v24
	v_subrev_u32_e32 v24, 29, v26
	v_lshlrev_b64 v[24:25], v24, v[50:51]
	v_bfe_u32 v0, v50, 2, 5
	v_and_b32_e32 v24, 3, v24
	v_cmp_eq_u32_e32 vcc, 0, v0
	v_sub_u32_e32 v25, 30, v26
	v_cndmask_b32_e32 v2, v2, v24, vcc
	v_lshlrev_b32_e32 v24, 16, v10
	v_cndmask_b32_e32 v0, v0, v25, vcc
	v_and_b32_e32 v24, 0x80000000, v24
	v_lshl_add_u32 v0, v0, 23, v24
	v_lshl_or_b32 v0, v2, 21, v0
	v_add_u32_e32 v0, 0x38000000, v0
                                        ; implicit-def: $vgpr2
.LBB4_3303:                             ;   in Loop: Header=BB4_2679 Depth=2
	s_andn2_saveexec_b64 s[78:79], s[78:79]
; %bb.3304:                             ;   in Loop: Header=BB4_2679 Depth=2
	v_cmp_lt_i16_e32 vcc, -1, v10
	v_cndmask_b32_e32 v0, v5, v36, vcc
	v_cmp_eq_u32_e32 vcc, 0, v2
	v_cndmask_b32_e32 v0, v37, v0, vcc
; %bb.3305:                             ;   in Loop: Header=BB4_2679 Depth=2
	s_or_b64 exec, exec, s[78:79]
.LBB4_3306:                             ;   in Loop: Header=BB4_2679 Depth=2
	s_or_b64 exec, exec, s[76:77]
.LBB4_3307:                             ;   in Loop: Header=BB4_2679 Depth=2
	s_or_b64 exec, exec, s[18:19]
	v_mul_f32_e32 v0, v1, v0
	v_and_b32_e32 v1, 0x7f800000, v0
	v_mov_b32_e32 v2, v51
	v_cmp_ne_u64_e32 vcc, s[58:59], v[1:2]
	v_and_b32_e32 v50, 0x7fffff, v0
                                        ; implicit-def: $vgpr24
	s_and_saveexec_b64 s[18:19], vcc
	s_xor_b64 s[76:77], exec, s[18:19]
	s_cbranch_execz .LBB4_3321
; %bb.3308:                             ;   in Loop: Header=BB4_2679 Depth=2
	v_and_b32_e32 v1, 0x7fffffff, v0
	v_mov_b32_e32 v2, v51
	v_cmp_gt_u64_e32 vcc, s[60:61], v[1:2]
	v_and_b32_sdwa v25, v0, s52 dst_sel:DWORD dst_unused:UNUSED_PAD src0_sel:BYTE_3 src1_sel:DWORD
                                        ; implicit-def: $vgpr24
	s_and_saveexec_b64 s[18:19], vcc
	s_xor_b64 s[78:79], exec, s[18:19]
	s_cbranch_execz .LBB4_3318
; %bb.3309:                             ;   in Loop: Header=BB4_2679 Depth=2
	v_mov_b32_e32 v24, 0
	v_cmp_ne_u32_e32 vcc, 0, v0
	s_and_saveexec_b64 s[88:89], vcc
	s_cbranch_execz .LBB4_3317
; %bb.3310:                             ;   in Loop: Header=BB4_2679 Depth=2
	v_bfe_u32 v24, v0, 23, 8
	v_cmp_gt_u32_e64 s[18:19], s53, v24
	v_sub_u32_e32 v0, 0x71, v24
	v_cmp_eq_u32_e32 vcc, 0, v24
	v_cndmask_b32_e64 v0, 0, v0, s[18:19]
	v_mov_b32_e32 v2, 0x70
	v_cndmask_b32_e32 v54, v0, v2, vcc
	v_or_b32_e32 v1, 0x800000, v50
	v_add_u32_e32 v0, 21, v54
	v_cndmask_b32_e32 v50, v1, v50, vcc
	v_lshlrev_b64 v[0:1], v0, -1
	v_add_u32_e32 v2, 20, v54
	v_lshlrev_b64 v[40:41], v2, 1
	v_bfi_b32 v1, v1, 0, 0
	v_bfi_b32 v0, v0, 0, v50
	v_cmp_eq_u64_e64 s[18:19], v[0:1], v[40:41]
	v_lshrrev_b64 v[0:1], v54, v[50:51]
	v_mov_b32_e32 v2, v1
	v_mov_b32_e32 v1, v0
	s_and_saveexec_b64 s[90:91], s[18:19]
; %bb.3311:                             ;   in Loop: Header=BB4_2679 Depth=2
	v_bfe_u32 v1, v0, 21, 1
	v_add_co_u32_e64 v1, s[18:19], v0, v1
	v_add_co_u32_e64 v1, s[18:19], -1, v1
; %bb.3312:                             ;   in Loop: Header=BB4_2679 Depth=2
	s_or_b64 exec, exec, s[90:91]
	v_add_u32_e32 v2, 0xffffff81, v24
	v_mov_b32_e32 v24, 0xffffff82
	v_cndmask_b32_e32 v2, v2, v24, vcc
	v_lshrrev_b32_e32 v24, 23, v0
	v_add3_u32 v54, v54, v2, v24
	v_add_u32_e32 v24, 14, v54
	v_and_b32_e32 v1, 0x1fffff, v1
	v_add_u32_e32 v50, v1, v0
	v_cmp_ne_u32_e32 vcc, 0, v24
                                        ; implicit-def: $vgpr0_vgpr1
                                        ; implicit-def: $vgpr2
	s_and_saveexec_b64 s[18:19], vcc
	s_xor_b64 s[18:19], exec, s[18:19]
; %bb.3313:                             ;   in Loop: Header=BB4_2679 Depth=2
	v_cmp_lt_u64_e32 vcc, s[62:63], v[50:51]
	v_add_u32_e32 v0, 15, v54
	v_cndmask_b32_e32 v2, v24, v0, vcc
	v_cndmask_b32_e64 v0, 0, 1, vcc
	v_lshrrev_b64 v[0:1], v0, v[50:51]
; %bb.3314:                             ;   in Loop: Header=BB4_2679 Depth=2
	s_andn2_saveexec_b64 s[18:19], s[18:19]
; %bb.3315:                             ;   in Loop: Header=BB4_2679 Depth=2
	v_mov_b32_e32 v0, v50
	v_bfe_u32 v2, v50, 23, 1
	v_mov_b32_e32 v1, v51
; %bb.3316:                             ;   in Loop: Header=BB4_2679 Depth=2
	s_or_b64 exec, exec, s[18:19]
	v_lshrrev_b64 v[0:1], 21, v[0:1]
	v_cmp_gt_i32_e32 vcc, 32, v2
	v_cndmask_b32_e32 v1, 0, v1, vcc
	v_cndmask_b32_e32 v0, 3, v0, vcc
	v_cmp_eq_u64_e64 s[18:19], 0, v[0:1]
	v_min_i32_e32 v1, 31, v2
	v_lshlrev_b32_e32 v1, 2, v1
	v_cmp_eq_u32_e32 vcc, 0, v2
	v_and_b32_e32 v1, 0xfc, v1
	v_and_or_b32 v0, v0, 3, v1
	s_and_b64 s[18:19], vcc, s[18:19]
	v_cndmask_b32_e64 v0, v0, 0, s[18:19]
	v_or_b32_e32 v24, v0, v25
.LBB4_3317:                             ;   in Loop: Header=BB4_2679 Depth=2
	s_or_b64 exec, exec, s[88:89]
                                        ; implicit-def: $vgpr25
.LBB4_3318:                             ;   in Loop: Header=BB4_2679 Depth=2
	s_andn2_saveexec_b64 s[18:19], s[78:79]
; %bb.3319:                             ;   in Loop: Header=BB4_2679 Depth=2
	v_or_b32_e32 v24, 0x7b, v25
; %bb.3320:                             ;   in Loop: Header=BB4_2679 Depth=2
	s_or_b64 exec, exec, s[18:19]
                                        ; implicit-def: $vgpr0
.LBB4_3321:                             ;   in Loop: Header=BB4_2679 Depth=2
	s_andn2_saveexec_b64 s[18:19], s[76:77]
	s_cbranch_execz .LBB4_3327
; %bb.3322:                             ;   in Loop: Header=BB4_2679 Depth=2
	v_cmp_ne_u64_e32 vcc, 0, v[50:51]
                                        ; implicit-def: $vgpr24
	s_and_saveexec_b64 s[76:77], vcc
	s_xor_b64 s[76:77], exec, s[76:77]
; %bb.3323:                             ;   in Loop: Header=BB4_2679 Depth=2
	v_or_b32_sdwa v24, v0, s54 dst_sel:DWORD dst_unused:UNUSED_PAD src0_sel:BYTE_3 src1_sel:DWORD
                                        ; implicit-def: $vgpr0
; %bb.3324:                             ;   in Loop: Header=BB4_2679 Depth=2
	s_andn2_saveexec_b64 s[76:77], s[76:77]
; %bb.3325:                             ;   in Loop: Header=BB4_2679 Depth=2
	v_cmp_lt_i32_e32 vcc, -1, v0
	v_bfrev_b32_e32 v0, 0.5
	v_mov_b32_e32 v1, 0x7c
	v_cndmask_b32_e32 v24, v0, v1, vcc
; %bb.3326:                             ;   in Loop: Header=BB4_2679 Depth=2
	s_or_b64 exec, exec, s[76:77]
.LBB4_3327:                             ;   in Loop: Header=BB4_2679 Depth=2
	s_or_b64 exec, exec, s[18:19]
	v_lshrrev_b32_e32 v0, 16, v14
	v_cmp_ne_u16_sdwa s[76:77], v0, v51 src0_sel:BYTE_0 src1_sel:DWORD
	v_mov_b32_e32 v1, 0
	v_mov_b32_e32 v2, 0
	s_and_saveexec_b64 s[18:19], s[76:77]
	s_cbranch_execz .LBB4_3335
; %bb.3328:                             ;   in Loop: Header=BB4_2679 Depth=2
	v_cmp_ne_u16_sdwa s[78:79], v0, s52 src0_sel:BYTE_0 src1_sel:DWORD
	v_bfrev_b32_e32 v2, 1
	s_and_saveexec_b64 s[76:77], s[78:79]
	s_cbranch_execz .LBB4_3334
; %bb.3329:                             ;   in Loop: Header=BB4_2679 Depth=2
	v_and_b32_e32 v2, 0x7c0000, v14
	v_bfe_u32 v25, v14, 16, 2
	v_cmp_ne_u32_e32 vcc, s55, v2
                                        ; implicit-def: $vgpr2
	s_and_saveexec_b64 s[78:79], vcc
	s_xor_b64 s[78:79], exec, s[78:79]
	s_cbranch_execz .LBB4_3331
; %bb.3330:                             ;   in Loop: Header=BB4_2679 Depth=2
	v_ffbh_u32_e32 v26, v25
	v_min_u32_e32 v26, 32, v26
	v_subrev_u32_e32 v27, 29, v26
	v_lshlrev_b64 v[40:41], v27, v[0:1]
	v_bfe_u32 v2, v14, 18, 5
	v_sub_u32_e32 v0, 30, v26
	v_and_b32_e32 v26, 3, v40
	v_cmp_eq_u32_e32 vcc, 0, v2
	v_cndmask_b32_e32 v0, v2, v0, vcc
	v_cndmask_b32_e32 v2, v25, v26, vcc
	v_lshlrev_b32_e32 v25, 8, v14
	v_and_b32_e32 v25, 0x80000000, v25
	v_lshl_add_u32 v0, v0, 23, v25
	v_lshl_or_b32 v0, v2, 21, v0
	v_add_u32_e32 v2, 0x38000000, v0
                                        ; implicit-def: $vgpr25
                                        ; implicit-def: $vgpr0
.LBB4_3331:                             ;   in Loop: Header=BB4_2679 Depth=2
	s_andn2_saveexec_b64 s[78:79], s[78:79]
; %bb.3332:                             ;   in Loop: Header=BB4_2679 Depth=2
	v_cmp_gt_i16_sdwa vcc, sext(v0), v43 src0_sel:BYTE_0 src1_sel:DWORD
	v_cndmask_b32_e32 v0, v5, v36, vcc
	v_cmp_eq_u32_e32 vcc, 0, v25
	v_cndmask_b32_e32 v2, v37, v0, vcc
; %bb.3333:                             ;   in Loop: Header=BB4_2679 Depth=2
	s_or_b64 exec, exec, s[78:79]
.LBB4_3334:                             ;   in Loop: Header=BB4_2679 Depth=2
	s_or_b64 exec, exec, s[76:77]
.LBB4_3335:                             ;   in Loop: Header=BB4_2679 Depth=2
	s_or_b64 exec, exec, s[18:19]
	v_lshrrev_b32_e32 v0, 16, v10
	v_cmp_ne_u16_sdwa s[76:77], v0, v51 src0_sel:BYTE_0 src1_sel:DWORD
	s_and_saveexec_b64 s[18:19], s[76:77]
	s_cbranch_execz .LBB4_3343
; %bb.3336:                             ;   in Loop: Header=BB4_2679 Depth=2
	v_cmp_ne_u16_sdwa s[78:79], v0, s52 src0_sel:BYTE_0 src1_sel:DWORD
	v_bfrev_b32_e32 v1, 1
	s_and_saveexec_b64 s[76:77], s[78:79]
	s_cbranch_execz .LBB4_3342
; %bb.3337:                             ;   in Loop: Header=BB4_2679 Depth=2
	v_and_b32_e32 v1, 0x7c0000, v10
	v_bfe_u32 v25, v10, 16, 2
	v_cmp_ne_u32_e32 vcc, s55, v1
                                        ; implicit-def: $vgpr1
	s_and_saveexec_b64 s[78:79], vcc
	s_xor_b64 s[78:79], exec, s[78:79]
	s_cbranch_execz .LBB4_3339
; %bb.3338:                             ;   in Loop: Header=BB4_2679 Depth=2
	v_ffbh_u32_e32 v1, v25
	v_min_u32_e32 v27, 32, v1
	v_subrev_u32_e32 v1, 29, v27
	v_lshlrev_b64 v[0:1], v1, v[0:1]
	v_bfe_u32 v26, v10, 18, 5
	v_and_b32_e32 v0, 3, v0
	v_cmp_eq_u32_e32 vcc, 0, v26
	v_sub_u32_e32 v1, 30, v27
	v_cndmask_b32_e32 v0, v25, v0, vcc
	v_lshlrev_b32_e32 v25, 8, v10
	v_cndmask_b32_e32 v1, v26, v1, vcc
	v_and_b32_e32 v25, 0x80000000, v25
	v_lshl_add_u32 v1, v1, 23, v25
	v_lshl_or_b32 v0, v0, 21, v1
	v_add_u32_e32 v1, 0x38000000, v0
                                        ; implicit-def: $vgpr25
                                        ; implicit-def: $vgpr0
.LBB4_3339:                             ;   in Loop: Header=BB4_2679 Depth=2
	s_andn2_saveexec_b64 s[78:79], s[78:79]
; %bb.3340:                             ;   in Loop: Header=BB4_2679 Depth=2
	v_cmp_gt_i16_sdwa vcc, sext(v0), v43 src0_sel:BYTE_0 src1_sel:DWORD
	v_cndmask_b32_e32 v0, v5, v36, vcc
	v_cmp_eq_u32_e32 vcc, 0, v25
	v_cndmask_b32_e32 v1, v37, v0, vcc
; %bb.3341:                             ;   in Loop: Header=BB4_2679 Depth=2
	s_or_b64 exec, exec, s[78:79]
.LBB4_3342:                             ;   in Loop: Header=BB4_2679 Depth=2
	s_or_b64 exec, exec, s[76:77]
.LBB4_3343:                             ;   in Loop: Header=BB4_2679 Depth=2
	s_or_b64 exec, exec, s[18:19]
	v_mul_f32_e32 v0, v2, v1
	v_and_b32_e32 v1, 0x7f800000, v0
	v_mov_b32_e32 v2, v51
	v_cmp_ne_u64_e32 vcc, s[58:59], v[1:2]
	v_and_b32_e32 v50, 0x7fffff, v0
                                        ; implicit-def: $vgpr25
	s_and_saveexec_b64 s[18:19], vcc
	s_xor_b64 s[76:77], exec, s[18:19]
	s_cbranch_execz .LBB4_3357
; %bb.3344:                             ;   in Loop: Header=BB4_2679 Depth=2
	v_and_b32_e32 v1, 0x7fffffff, v0
	v_mov_b32_e32 v2, v51
	v_cmp_gt_u64_e32 vcc, s[60:61], v[1:2]
	v_and_b32_sdwa v54, v0, s52 dst_sel:DWORD dst_unused:UNUSED_PAD src0_sel:BYTE_3 src1_sel:DWORD
                                        ; implicit-def: $vgpr25
	s_and_saveexec_b64 s[18:19], vcc
	s_xor_b64 s[78:79], exec, s[18:19]
	s_cbranch_execz .LBB4_3354
; %bb.3345:                             ;   in Loop: Header=BB4_2679 Depth=2
	v_mov_b32_e32 v25, 0
	v_cmp_ne_u32_e32 vcc, 0, v0
	s_and_saveexec_b64 s[88:89], vcc
	s_cbranch_execz .LBB4_3353
; %bb.3346:                             ;   in Loop: Header=BB4_2679 Depth=2
	v_bfe_u32 v25, v0, 23, 8
	v_cmp_gt_u32_e64 s[18:19], s53, v25
	v_sub_u32_e32 v0, 0x71, v25
	v_cmp_eq_u32_e32 vcc, 0, v25
	v_cndmask_b32_e64 v0, 0, v0, s[18:19]
	v_mov_b32_e32 v2, 0x70
	v_cndmask_b32_e32 v40, v0, v2, vcc
	v_or_b32_e32 v1, 0x800000, v50
	v_add_u32_e32 v0, 21, v40
	v_cndmask_b32_e32 v50, v1, v50, vcc
	v_lshlrev_b64 v[0:1], v0, -1
	v_add_u32_e32 v2, 20, v40
	v_lshlrev_b64 v[41:42], v2, 1
	v_bfi_b32 v1, v1, 0, 0
	v_bfi_b32 v0, v0, 0, v50
	v_cmp_eq_u64_e64 s[18:19], v[0:1], v[41:42]
	v_lshrrev_b64 v[0:1], v40, v[50:51]
	v_mov_b32_e32 v2, v1
	v_mov_b32_e32 v1, v0
	s_and_saveexec_b64 s[90:91], s[18:19]
; %bb.3347:                             ;   in Loop: Header=BB4_2679 Depth=2
	v_bfe_u32 v1, v0, 21, 1
	v_add_co_u32_e64 v1, s[18:19], v0, v1
	v_add_co_u32_e64 v1, s[18:19], -1, v1
; %bb.3348:                             ;   in Loop: Header=BB4_2679 Depth=2
	s_or_b64 exec, exec, s[90:91]
	v_add_u32_e32 v2, 0xffffff81, v25
	v_mov_b32_e32 v25, 0xffffff82
	v_cndmask_b32_e32 v2, v2, v25, vcc
	v_lshrrev_b32_e32 v25, 23, v0
	v_add3_u32 v40, v40, v2, v25
	v_add_u32_e32 v25, 14, v40
	v_and_b32_e32 v1, 0x1fffff, v1
	v_add_u32_e32 v50, v1, v0
	v_cmp_ne_u32_e32 vcc, 0, v25
                                        ; implicit-def: $vgpr0_vgpr1
                                        ; implicit-def: $vgpr2
	s_and_saveexec_b64 s[18:19], vcc
	s_xor_b64 s[18:19], exec, s[18:19]
; %bb.3349:                             ;   in Loop: Header=BB4_2679 Depth=2
	v_cmp_lt_u64_e32 vcc, s[62:63], v[50:51]
	v_add_u32_e32 v0, 15, v40
	v_cndmask_b32_e32 v2, v25, v0, vcc
	v_cndmask_b32_e64 v0, 0, 1, vcc
	v_lshrrev_b64 v[0:1], v0, v[50:51]
; %bb.3350:                             ;   in Loop: Header=BB4_2679 Depth=2
	s_andn2_saveexec_b64 s[18:19], s[18:19]
; %bb.3351:                             ;   in Loop: Header=BB4_2679 Depth=2
	v_mov_b32_e32 v0, v50
	v_bfe_u32 v2, v50, 23, 1
	v_mov_b32_e32 v1, v51
; %bb.3352:                             ;   in Loop: Header=BB4_2679 Depth=2
	s_or_b64 exec, exec, s[18:19]
	v_lshrrev_b64 v[0:1], 21, v[0:1]
	v_cmp_gt_i32_e32 vcc, 32, v2
	v_cndmask_b32_e32 v1, 0, v1, vcc
	v_cndmask_b32_e32 v0, 3, v0, vcc
	v_cmp_eq_u64_e64 s[18:19], 0, v[0:1]
	v_min_i32_e32 v1, 31, v2
	v_lshlrev_b32_e32 v1, 2, v1
	v_cmp_eq_u32_e32 vcc, 0, v2
	v_and_b32_e32 v1, 0xfc, v1
	v_and_or_b32 v0, v0, 3, v1
	s_and_b64 s[18:19], vcc, s[18:19]
	v_cndmask_b32_e64 v0, v0, 0, s[18:19]
	v_or_b32_e32 v25, v0, v54
.LBB4_3353:                             ;   in Loop: Header=BB4_2679 Depth=2
	s_or_b64 exec, exec, s[88:89]
                                        ; implicit-def: $vgpr54
.LBB4_3354:                             ;   in Loop: Header=BB4_2679 Depth=2
	s_andn2_saveexec_b64 s[18:19], s[78:79]
; %bb.3355:                             ;   in Loop: Header=BB4_2679 Depth=2
	v_or_b32_e32 v25, 0x7b, v54
; %bb.3356:                             ;   in Loop: Header=BB4_2679 Depth=2
	s_or_b64 exec, exec, s[18:19]
                                        ; implicit-def: $vgpr0
.LBB4_3357:                             ;   in Loop: Header=BB4_2679 Depth=2
	s_andn2_saveexec_b64 s[18:19], s[76:77]
	s_cbranch_execz .LBB4_3363
; %bb.3358:                             ;   in Loop: Header=BB4_2679 Depth=2
	v_cmp_ne_u64_e32 vcc, 0, v[50:51]
                                        ; implicit-def: $vgpr25
	s_and_saveexec_b64 s[76:77], vcc
	s_xor_b64 s[76:77], exec, s[76:77]
; %bb.3359:                             ;   in Loop: Header=BB4_2679 Depth=2
	v_or_b32_sdwa v25, v0, s54 dst_sel:DWORD dst_unused:UNUSED_PAD src0_sel:BYTE_3 src1_sel:DWORD
                                        ; implicit-def: $vgpr0
; %bb.3360:                             ;   in Loop: Header=BB4_2679 Depth=2
	s_andn2_saveexec_b64 s[76:77], s[76:77]
; %bb.3361:                             ;   in Loop: Header=BB4_2679 Depth=2
	v_cmp_lt_i32_e32 vcc, -1, v0
	v_bfrev_b32_e32 v0, 0.5
	v_mov_b32_e32 v1, 0x7c
	v_cndmask_b32_e32 v25, v0, v1, vcc
; %bb.3362:                             ;   in Loop: Header=BB4_2679 Depth=2
	s_or_b64 exec, exec, s[76:77]
.LBB4_3363:                             ;   in Loop: Header=BB4_2679 Depth=2
	s_or_b64 exec, exec, s[18:19]
	v_cmp_lt_u32_e32 vcc, s57, v14
	v_mov_b32_e32 v1, 0
	v_mov_b32_e32 v2, 0
	s_and_saveexec_b64 s[18:19], vcc
	s_cbranch_execz .LBB4_3371
; %bb.3364:                             ;   in Loop: Header=BB4_2679 Depth=2
	v_lshrrev_b32_e32 v0, 24, v14
	v_cmp_ne_u32_e32 vcc, s52, v0
	v_bfrev_b32_e32 v2, 1
	s_and_saveexec_b64 s[76:77], vcc
	s_cbranch_execz .LBB4_3370
; %bb.3365:                             ;   in Loop: Header=BB4_2679 Depth=2
	v_and_b32_e32 v2, 0x7c000000, v14
	v_bfe_u32 v50, v14, 24, 2
	v_cmp_ne_u32_e32 vcc, s64, v2
                                        ; implicit-def: $vgpr2
	s_and_saveexec_b64 s[78:79], vcc
	s_xor_b64 s[78:79], exec, s[78:79]
	s_cbranch_execz .LBB4_3367
; %bb.3366:                             ;   in Loop: Header=BB4_2679 Depth=2
	v_ffbh_u32_e32 v26, v50
	v_min_u32_e32 v26, 32, v26
	v_subrev_u32_e32 v27, 29, v26
	v_lshlrev_b64 v[40:41], v27, v[0:1]
	v_bfe_u32 v2, v14, 26, 5
	v_sub_u32_e32 v0, 30, v26
	v_and_b32_e32 v26, 3, v40
	v_cmp_eq_u32_e32 vcc, 0, v2
	v_cndmask_b32_e32 v0, v2, v0, vcc
	v_cndmask_b32_e32 v2, v50, v26, vcc
	v_and_b32_e32 v26, 0x80000000, v14
	v_lshl_add_u32 v0, v0, 23, v26
	v_lshl_or_b32 v0, v2, 21, v0
	v_add_u32_e32 v2, 0x38000000, v0
                                        ; implicit-def: $vgpr50
.LBB4_3367:                             ;   in Loop: Header=BB4_2679 Depth=2
	s_andn2_saveexec_b64 s[78:79], s[78:79]
; %bb.3368:                             ;   in Loop: Header=BB4_2679 Depth=2
	v_cmp_lt_i32_e32 vcc, -1, v14
	v_cndmask_b32_e32 v0, v5, v36, vcc
	v_cmp_eq_u32_e32 vcc, 0, v50
	v_cndmask_b32_e32 v2, v37, v0, vcc
; %bb.3369:                             ;   in Loop: Header=BB4_2679 Depth=2
	s_or_b64 exec, exec, s[78:79]
.LBB4_3370:                             ;   in Loop: Header=BB4_2679 Depth=2
	s_or_b64 exec, exec, s[76:77]
.LBB4_3371:                             ;   in Loop: Header=BB4_2679 Depth=2
	s_or_b64 exec, exec, s[18:19]
	v_cmp_lt_u32_e32 vcc, s57, v10
	s_and_saveexec_b64 s[18:19], vcc
	s_cbranch_execz .LBB4_3379
; %bb.3372:                             ;   in Loop: Header=BB4_2679 Depth=2
	v_lshrrev_b32_e32 v0, 24, v10
	v_cmp_ne_u32_e32 vcc, s52, v0
	v_bfrev_b32_e32 v1, 1
	s_and_saveexec_b64 s[76:77], vcc
	s_cbranch_execz .LBB4_3378
; %bb.3373:                             ;   in Loop: Header=BB4_2679 Depth=2
	v_and_b32_e32 v1, 0x7c000000, v10
	v_bfe_u32 v50, v10, 24, 2
	v_cmp_ne_u32_e32 vcc, s64, v1
                                        ; implicit-def: $vgpr1
	s_and_saveexec_b64 s[78:79], vcc
	s_xor_b64 s[78:79], exec, s[78:79]
	s_cbranch_execz .LBB4_3375
; %bb.3374:                             ;   in Loop: Header=BB4_2679 Depth=2
	v_ffbh_u32_e32 v1, v50
	v_min_u32_e32 v27, 32, v1
	v_subrev_u32_e32 v1, 29, v27
	v_bfe_u32 v26, v10, 26, 5
	v_lshlrev_b64 v[0:1], v1, v[0:1]
	v_sub_u32_e32 v1, 30, v27
	v_cmp_eq_u32_e32 vcc, 0, v26
	v_and_b32_e32 v0, 3, v0
	v_cndmask_b32_e32 v1, v26, v1, vcc
	v_and_b32_e32 v26, 0x80000000, v10
	v_cndmask_b32_e32 v0, v50, v0, vcc
	v_lshl_add_u32 v1, v1, 23, v26
	v_lshl_or_b32 v0, v0, 21, v1
	v_add_u32_e32 v1, 0x38000000, v0
                                        ; implicit-def: $vgpr50
.LBB4_3375:                             ;   in Loop: Header=BB4_2679 Depth=2
	s_andn2_saveexec_b64 s[78:79], s[78:79]
; %bb.3376:                             ;   in Loop: Header=BB4_2679 Depth=2
	v_cmp_lt_i32_e32 vcc, -1, v10
	v_cndmask_b32_e32 v0, v5, v36, vcc
	v_cmp_eq_u32_e32 vcc, 0, v50
	v_cndmask_b32_e32 v1, v37, v0, vcc
; %bb.3377:                             ;   in Loop: Header=BB4_2679 Depth=2
	s_or_b64 exec, exec, s[78:79]
.LBB4_3378:                             ;   in Loop: Header=BB4_2679 Depth=2
	s_or_b64 exec, exec, s[76:77]
.LBB4_3379:                             ;   in Loop: Header=BB4_2679 Depth=2
	s_or_b64 exec, exec, s[18:19]
	v_mul_f32_e32 v0, v2, v1
	v_and_b32_e32 v1, 0x7f800000, v0
	v_mov_b32_e32 v2, v51
	v_cmp_ne_u64_e32 vcc, s[58:59], v[1:2]
	v_and_b32_e32 v50, 0x7fffff, v0
                                        ; implicit-def: $vgpr54
	s_and_saveexec_b64 s[18:19], vcc
	s_xor_b64 s[76:77], exec, s[18:19]
	s_cbranch_execz .LBB4_3393
; %bb.3380:                             ;   in Loop: Header=BB4_2679 Depth=2
	v_and_b32_e32 v1, 0x7fffffff, v0
	v_mov_b32_e32 v2, v51
	v_cmp_gt_u64_e32 vcc, s[60:61], v[1:2]
	v_and_b32_sdwa v40, v0, s52 dst_sel:DWORD dst_unused:UNUSED_PAD src0_sel:BYTE_3 src1_sel:DWORD
                                        ; implicit-def: $vgpr54
	s_and_saveexec_b64 s[18:19], vcc
	s_xor_b64 s[78:79], exec, s[18:19]
	s_cbranch_execz .LBB4_3390
; %bb.3381:                             ;   in Loop: Header=BB4_2679 Depth=2
	v_mov_b32_e32 v54, 0
	v_cmp_ne_u32_e32 vcc, 0, v0
	s_and_saveexec_b64 s[88:89], vcc
	s_cbranch_execz .LBB4_3389
; %bb.3382:                             ;   in Loop: Header=BB4_2679 Depth=2
	v_bfe_u32 v54, v0, 23, 8
	v_cmp_gt_u32_e64 s[18:19], s53, v54
	v_sub_u32_e32 v0, 0x71, v54
	v_cmp_eq_u32_e32 vcc, 0, v54
	v_cndmask_b32_e64 v0, 0, v0, s[18:19]
	v_mov_b32_e32 v2, 0x70
	v_cndmask_b32_e32 v41, v0, v2, vcc
	v_or_b32_e32 v1, 0x800000, v50
	v_add_u32_e32 v0, 21, v41
	v_cndmask_b32_e32 v50, v1, v50, vcc
	v_lshlrev_b64 v[0:1], v0, -1
	v_add_u32_e32 v2, 20, v41
	v_lshlrev_b64 v[42:43], v2, 1
	v_bfi_b32 v1, v1, 0, 0
	v_bfi_b32 v0, v0, 0, v50
	v_cmp_eq_u64_e64 s[18:19], v[0:1], v[42:43]
	v_lshrrev_b64 v[0:1], v41, v[50:51]
	v_mov_b32_e32 v2, v1
	v_mov_b32_e32 v1, v0
	s_and_saveexec_b64 s[90:91], s[18:19]
; %bb.3383:                             ;   in Loop: Header=BB4_2679 Depth=2
	v_bfe_u32 v1, v0, 21, 1
	v_add_co_u32_e64 v1, s[18:19], v0, v1
	v_add_co_u32_e64 v1, s[18:19], -1, v1
; %bb.3384:                             ;   in Loop: Header=BB4_2679 Depth=2
	s_or_b64 exec, exec, s[90:91]
	v_add_u32_e32 v2, 0xffffff81, v54
	v_mov_b32_e32 v26, 0xffffff82
	v_cndmask_b32_e32 v2, v2, v26, vcc
	v_lshrrev_b32_e32 v26, 23, v0
	v_add3_u32 v41, v41, v2, v26
	v_add_u32_e32 v54, 14, v41
	v_and_b32_e32 v1, 0x1fffff, v1
	v_add_u32_e32 v50, v1, v0
	v_cmp_ne_u32_e32 vcc, 0, v54
                                        ; implicit-def: $vgpr0_vgpr1
                                        ; implicit-def: $vgpr2
	s_and_saveexec_b64 s[18:19], vcc
	s_xor_b64 s[18:19], exec, s[18:19]
; %bb.3385:                             ;   in Loop: Header=BB4_2679 Depth=2
	v_cmp_lt_u64_e32 vcc, s[62:63], v[50:51]
	v_add_u32_e32 v0, 15, v41
	v_cndmask_b32_e32 v2, v54, v0, vcc
	v_cndmask_b32_e64 v0, 0, 1, vcc
	v_lshrrev_b64 v[0:1], v0, v[50:51]
; %bb.3386:                             ;   in Loop: Header=BB4_2679 Depth=2
	s_or_saveexec_b64 s[18:19], s[18:19]
	v_mov_b32_e32 v43, -1
	s_xor_b64 exec, exec, s[18:19]
; %bb.3387:                             ;   in Loop: Header=BB4_2679 Depth=2
	v_mov_b32_e32 v0, v50
	v_bfe_u32 v2, v50, 23, 1
	v_mov_b32_e32 v1, v51
; %bb.3388:                             ;   in Loop: Header=BB4_2679 Depth=2
	s_or_b64 exec, exec, s[18:19]
	v_lshrrev_b64 v[0:1], 21, v[0:1]
	v_cmp_gt_i32_e32 vcc, 32, v2
	v_cndmask_b32_e32 v1, 0, v1, vcc
	v_cndmask_b32_e32 v0, 3, v0, vcc
	v_cmp_eq_u64_e64 s[18:19], 0, v[0:1]
	v_min_i32_e32 v1, 31, v2
	v_lshlrev_b32_e32 v1, 2, v1
	v_cmp_eq_u32_e32 vcc, 0, v2
	v_and_b32_e32 v1, 0xfc, v1
	v_and_or_b32 v0, v0, 3, v1
	s_and_b64 s[18:19], vcc, s[18:19]
	v_cndmask_b32_e64 v0, v0, 0, s[18:19]
	v_or_b32_e32 v54, v0, v40
.LBB4_3389:                             ;   in Loop: Header=BB4_2679 Depth=2
	s_or_b64 exec, exec, s[88:89]
                                        ; implicit-def: $vgpr40
.LBB4_3390:                             ;   in Loop: Header=BB4_2679 Depth=2
	s_andn2_saveexec_b64 s[18:19], s[78:79]
; %bb.3391:                             ;   in Loop: Header=BB4_2679 Depth=2
	v_or_b32_e32 v54, 0x7b, v40
; %bb.3392:                             ;   in Loop: Header=BB4_2679 Depth=2
	s_or_b64 exec, exec, s[18:19]
                                        ; implicit-def: $vgpr0
.LBB4_3393:                             ;   in Loop: Header=BB4_2679 Depth=2
	s_andn2_saveexec_b64 s[18:19], s[76:77]
	s_cbranch_execz .LBB4_3399
; %bb.3394:                             ;   in Loop: Header=BB4_2679 Depth=2
	v_cmp_ne_u64_e32 vcc, 0, v[50:51]
                                        ; implicit-def: $vgpr54
	s_and_saveexec_b64 s[76:77], vcc
	s_xor_b64 s[76:77], exec, s[76:77]
; %bb.3395:                             ;   in Loop: Header=BB4_2679 Depth=2
	v_or_b32_sdwa v54, v0, s54 dst_sel:DWORD dst_unused:UNUSED_PAD src0_sel:BYTE_3 src1_sel:DWORD
                                        ; implicit-def: $vgpr0
; %bb.3396:                             ;   in Loop: Header=BB4_2679 Depth=2
	s_andn2_saveexec_b64 s[76:77], s[76:77]
; %bb.3397:                             ;   in Loop: Header=BB4_2679 Depth=2
	v_cmp_lt_i32_e32 vcc, -1, v0
	v_bfrev_b32_e32 v0, 0.5
	v_mov_b32_e32 v1, 0x7c
	v_cndmask_b32_e32 v54, v0, v1, vcc
; %bb.3398:                             ;   in Loop: Header=BB4_2679 Depth=2
	s_or_b64 exec, exec, s[76:77]
.LBB4_3399:                             ;   in Loop: Header=BB4_2679 Depth=2
	s_or_b64 exec, exec, s[18:19]
	v_mov_b32_e32 v50, v15
	v_cmp_ne_u16_sdwa s[76:77], v15, v51 src0_sel:BYTE_0 src1_sel:DWORD
	v_mov_b32_e32 v1, 0
	v_mov_b32_e32 v0, 0
	s_and_saveexec_b64 s[18:19], s[76:77]
	s_cbranch_execz .LBB4_3407
; %bb.3400:                             ;   in Loop: Header=BB4_2679 Depth=2
	v_cmp_ne_u16_sdwa s[78:79], v15, s52 src0_sel:BYTE_0 src1_sel:DWORD
	v_bfrev_b32_e32 v0, 1
	s_and_saveexec_b64 s[76:77], s[78:79]
	s_cbranch_execz .LBB4_3406
; %bb.3401:                             ;   in Loop: Header=BB4_2679 Depth=2
	v_and_b32_e32 v0, 0x7c, v15
	v_and_b32_e32 v2, 3, v15
	v_cmp_ne_u32_e32 vcc, s50, v0
                                        ; implicit-def: $vgpr0
	s_and_saveexec_b64 s[78:79], vcc
	s_xor_b64 s[78:79], exec, s[78:79]
	s_cbranch_execz .LBB4_3403
; %bb.3402:                             ;   in Loop: Header=BB4_2679 Depth=2
	v_ffbh_u32_e32 v26, v2
	v_min_u32_e32 v26, 32, v26
	v_bfe_u32 v0, v15, 2, 5
	v_subrev_u32_e32 v27, 29, v26
	v_lshlrev_b64 v[40:41], v27, v[50:51]
	v_sub_u32_e32 v26, 30, v26
	v_cmp_eq_u32_e32 vcc, 0, v0
	v_cndmask_b32_e32 v0, v0, v26, vcc
	v_lshlrev_b32_e32 v26, 24, v15
	v_and_b32_e32 v27, 3, v40
	v_and_b32_e32 v26, 0x80000000, v26
	v_cndmask_b32_e32 v2, v2, v27, vcc
	v_lshl_add_u32 v0, v0, 23, v26
	v_lshl_or_b32 v0, v2, 21, v0
	v_add_u32_e32 v0, 0x38000000, v0
                                        ; implicit-def: $vgpr2
.LBB4_3403:                             ;   in Loop: Header=BB4_2679 Depth=2
	s_andn2_saveexec_b64 s[78:79], s[78:79]
; %bb.3404:                             ;   in Loop: Header=BB4_2679 Depth=2
	v_cmp_gt_i16_sdwa vcc, sext(v15), v43 src0_sel:BYTE_0 src1_sel:DWORD
	v_cndmask_b32_e32 v0, v5, v36, vcc
	v_cmp_eq_u32_e32 vcc, 0, v2
	v_cndmask_b32_e32 v0, v37, v0, vcc
; %bb.3405:                             ;   in Loop: Header=BB4_2679 Depth=2
	s_or_b64 exec, exec, s[78:79]
.LBB4_3406:                             ;   in Loop: Header=BB4_2679 Depth=2
	s_or_b64 exec, exec, s[76:77]
.LBB4_3407:                             ;   in Loop: Header=BB4_2679 Depth=2
	s_or_b64 exec, exec, s[18:19]
	v_cmp_ne_u16_sdwa s[76:77], v11, v51 src0_sel:BYTE_0 src1_sel:DWORD
	s_and_saveexec_b64 s[18:19], s[76:77]
	s_cbranch_execz .LBB4_3415
; %bb.3408:                             ;   in Loop: Header=BB4_2679 Depth=2
	v_cmp_ne_u16_sdwa s[78:79], v11, s52 src0_sel:BYTE_0 src1_sel:DWORD
	v_bfrev_b32_e32 v1, 1
	s_and_saveexec_b64 s[76:77], s[78:79]
	s_cbranch_execz .LBB4_3414
; %bb.3409:                             ;   in Loop: Header=BB4_2679 Depth=2
	v_and_b32_e32 v1, 0x7c, v11
	v_and_b32_e32 v2, 3, v11
	v_cmp_ne_u32_e32 vcc, s50, v1
                                        ; implicit-def: $vgpr1
	s_and_saveexec_b64 s[78:79], vcc
	s_xor_b64 s[78:79], exec, s[78:79]
	s_cbranch_execz .LBB4_3411
; %bb.3410:                             ;   in Loop: Header=BB4_2679 Depth=2
	v_ffbh_u32_e32 v26, v2
	v_min_u32_e32 v26, 32, v26
	v_mov_b32_e32 v40, v11
	v_mov_b32_e32 v41, v51
	v_bfe_u32 v1, v11, 2, 5
	v_subrev_u32_e32 v27, 29, v26
	v_lshlrev_b64 v[40:41], v27, v[40:41]
	v_sub_u32_e32 v26, 30, v26
	v_cmp_eq_u32_e32 vcc, 0, v1
	v_cndmask_b32_e32 v1, v1, v26, vcc
	v_lshlrev_b32_e32 v26, 24, v11
	v_and_b32_e32 v27, 3, v40
	v_and_b32_e32 v26, 0x80000000, v26
	v_cndmask_b32_e32 v2, v2, v27, vcc
	v_lshl_add_u32 v1, v1, 23, v26
	v_lshl_or_b32 v1, v2, 21, v1
	v_add_u32_e32 v1, 0x38000000, v1
                                        ; implicit-def: $vgpr2
.LBB4_3411:                             ;   in Loop: Header=BB4_2679 Depth=2
	s_andn2_saveexec_b64 s[78:79], s[78:79]
; %bb.3412:                             ;   in Loop: Header=BB4_2679 Depth=2
	v_cmp_gt_i16_sdwa vcc, sext(v11), v43 src0_sel:BYTE_0 src1_sel:DWORD
	v_cndmask_b32_e32 v1, v5, v36, vcc
	v_cmp_eq_u32_e32 vcc, 0, v2
	v_cndmask_b32_e32 v1, v37, v1, vcc
; %bb.3413:                             ;   in Loop: Header=BB4_2679 Depth=2
	s_or_b64 exec, exec, s[78:79]
.LBB4_3414:                             ;   in Loop: Header=BB4_2679 Depth=2
	s_or_b64 exec, exec, s[76:77]
.LBB4_3415:                             ;   in Loop: Header=BB4_2679 Depth=2
	s_or_b64 exec, exec, s[18:19]
	v_mul_f32_e32 v2, v0, v1
	v_and_b32_e32 v40, 0x7f800000, v2
	v_mov_b32_e32 v41, v51
	v_cmp_ne_u64_e32 vcc, s[58:59], v[40:41]
	v_and_b32_e32 v0, 0x7fffff, v2
	v_mov_b32_e32 v1, v51
                                        ; implicit-def: $vgpr57
	s_and_saveexec_b64 s[18:19], vcc
	s_xor_b64 s[76:77], exec, s[18:19]
	s_cbranch_execz .LBB4_3429
; %bb.3416:                             ;   in Loop: Header=BB4_2679 Depth=2
	v_and_b32_e32 v40, 0x7fffffff, v2
	v_mov_b32_e32 v41, v51
	v_cmp_gt_u64_e32 vcc, s[60:61], v[40:41]
	v_and_b32_sdwa v40, v2, s52 dst_sel:DWORD dst_unused:UNUSED_PAD src0_sel:BYTE_3 src1_sel:DWORD
                                        ; implicit-def: $vgpr57
	s_and_saveexec_b64 s[18:19], vcc
	s_xor_b64 s[78:79], exec, s[18:19]
	s_cbranch_execz .LBB4_3426
; %bb.3417:                             ;   in Loop: Header=BB4_2679 Depth=2
	v_mov_b32_e32 v57, 0
	v_cmp_ne_u32_e32 vcc, 0, v2
	s_and_saveexec_b64 s[88:89], vcc
	s_cbranch_execz .LBB4_3425
; %bb.3418:                             ;   in Loop: Header=BB4_2679 Depth=2
	v_bfe_u32 v41, v2, 23, 8
	v_cmp_gt_u32_e64 s[18:19], s53, v41
	v_sub_u32_e32 v2, 0x71, v41
	v_cmp_eq_u32_e32 vcc, 0, v41
	v_cndmask_b32_e64 v2, 0, v2, s[18:19]
	v_mov_b32_e32 v27, 0x70
	v_cndmask_b32_e32 v57, v2, v27, vcc
	v_add_u32_e32 v2, 21, v57
	v_or_b32_e32 v26, 0x800000, v0
	v_lshlrev_b64 v[42:43], v2, -1
	v_cndmask_b32_e32 v0, v26, v0, vcc
	v_add_u32_e32 v2, 20, v57
	v_bfi_b32 v42, v42, 0, v0
	v_lshlrev_b64 v[58:59], v2, 1
	v_lshrrev_b64 v[0:1], v57, v[0:1]
	v_bfi_b32 v43, v43, 0, 0
	v_cmp_eq_u64_e64 s[18:19], v[42:43], v[58:59]
	v_mov_b32_e32 v2, v1
	v_mov_b32_e32 v1, v0
	s_and_saveexec_b64 s[90:91], s[18:19]
; %bb.3419:                             ;   in Loop: Header=BB4_2679 Depth=2
	v_bfe_u32 v1, v0, 21, 1
	v_add_co_u32_e64 v1, s[18:19], v0, v1
	v_add_co_u32_e64 v1, s[18:19], -1, v1
; %bb.3420:                             ;   in Loop: Header=BB4_2679 Depth=2
	s_or_b64 exec, exec, s[90:91]
	v_add_u32_e32 v2, 0xffffff81, v41
	v_mov_b32_e32 v26, 0xffffff82
	v_cndmask_b32_e32 v2, v2, v26, vcc
	v_lshrrev_b32_e32 v26, 23, v0
	v_add3_u32 v42, v57, v2, v26
	v_add_u32_e32 v41, 14, v42
	v_and_b32_e32 v1, 0x1fffff, v1
	v_add_u32_e32 v0, v1, v0
	v_mov_b32_e32 v1, v51
	v_cmp_ne_u32_e32 vcc, 0, v41
                                        ; implicit-def: $vgpr2
	s_and_saveexec_b64 s[18:19], vcc
	s_xor_b64 s[18:19], exec, s[18:19]
; %bb.3421:                             ;   in Loop: Header=BB4_2679 Depth=2
	v_cmp_lt_u64_e32 vcc, s[62:63], v[0:1]
	v_add_u32_e32 v2, 15, v42
	v_cndmask_b32_e64 v26, 0, 1, vcc
	v_lshrrev_b64 v[0:1], v26, v[0:1]
	v_cndmask_b32_e32 v2, v41, v2, vcc
; %bb.3422:                             ;   in Loop: Header=BB4_2679 Depth=2
	s_or_saveexec_b64 s[18:19], s[18:19]
	v_mov_b32_e32 v43, -1
	s_xor_b64 exec, exec, s[18:19]
; %bb.3423:                             ;   in Loop: Header=BB4_2679 Depth=2
	v_bfe_u32 v2, v0, 23, 1
; %bb.3424:                             ;   in Loop: Header=BB4_2679 Depth=2
	s_or_b64 exec, exec, s[18:19]
	v_lshrrev_b64 v[0:1], 21, v[0:1]
	v_cmp_gt_i32_e32 vcc, 32, v2
	v_cndmask_b32_e32 v1, 0, v1, vcc
	v_cndmask_b32_e32 v0, 3, v0, vcc
	v_cmp_eq_u64_e64 s[18:19], 0, v[0:1]
	v_min_i32_e32 v1, 31, v2
	v_lshlrev_b32_e32 v1, 2, v1
	v_cmp_eq_u32_e32 vcc, 0, v2
	v_and_b32_e32 v1, 0xfc, v1
	v_and_or_b32 v0, v0, 3, v1
	s_and_b64 s[18:19], vcc, s[18:19]
	v_cndmask_b32_e64 v0, v0, 0, s[18:19]
	v_or_b32_e32 v57, v0, v40
.LBB4_3425:                             ;   in Loop: Header=BB4_2679 Depth=2
	s_or_b64 exec, exec, s[88:89]
                                        ; implicit-def: $vgpr40
.LBB4_3426:                             ;   in Loop: Header=BB4_2679 Depth=2
	s_andn2_saveexec_b64 s[18:19], s[78:79]
; %bb.3427:                             ;   in Loop: Header=BB4_2679 Depth=2
	v_or_b32_e32 v57, 0x7b, v40
; %bb.3428:                             ;   in Loop: Header=BB4_2679 Depth=2
	s_or_b64 exec, exec, s[18:19]
                                        ; implicit-def: $vgpr2
                                        ; implicit-def: $vgpr0_vgpr1
.LBB4_3429:                             ;   in Loop: Header=BB4_2679 Depth=2
	s_andn2_saveexec_b64 s[18:19], s[76:77]
	s_cbranch_execz .LBB4_3435
; %bb.3430:                             ;   in Loop: Header=BB4_2679 Depth=2
	v_cmp_ne_u64_e32 vcc, 0, v[0:1]
                                        ; implicit-def: $vgpr57
	s_and_saveexec_b64 s[76:77], vcc
	s_xor_b64 s[76:77], exec, s[76:77]
; %bb.3431:                             ;   in Loop: Header=BB4_2679 Depth=2
	v_or_b32_sdwa v57, v2, s54 dst_sel:DWORD dst_unused:UNUSED_PAD src0_sel:BYTE_3 src1_sel:DWORD
                                        ; implicit-def: $vgpr2
; %bb.3432:                             ;   in Loop: Header=BB4_2679 Depth=2
	s_andn2_saveexec_b64 s[76:77], s[76:77]
; %bb.3433:                             ;   in Loop: Header=BB4_2679 Depth=2
	v_cmp_lt_i32_e32 vcc, -1, v2
	v_bfrev_b32_e32 v0, 0.5
	v_mov_b32_e32 v1, 0x7c
	v_cndmask_b32_e32 v57, v0, v1, vcc
; %bb.3434:                             ;   in Loop: Header=BB4_2679 Depth=2
	s_or_b64 exec, exec, s[76:77]
.LBB4_3435:                             ;   in Loop: Header=BB4_2679 Depth=2
	s_or_b64 exec, exec, s[18:19]
	v_lshrrev_b16_e32 v0, 8, v50
	v_cmp_ne_u16_e32 vcc, 0, v0
	v_mov_b32_e32 v2, 0
	v_mov_b32_e32 v1, 0
	s_and_saveexec_b64 s[18:19], vcc
	s_cbranch_execz .LBB4_3443
; %bb.3436:                             ;   in Loop: Header=BB4_2679 Depth=2
	v_cmp_ne_u16_e32 vcc, s52, v0
	v_bfrev_b32_e32 v1, 1
	s_and_saveexec_b64 s[76:77], vcc
	s_cbranch_execz .LBB4_3442
; %bb.3437:                             ;   in Loop: Header=BB4_2679 Depth=2
	v_and_b32_e32 v1, 0x7c, v0
	v_and_b32_e32 v40, 3, v0
	v_cmp_ne_u32_e32 vcc, s50, v1
                                        ; implicit-def: $vgpr1
	s_and_saveexec_b64 s[78:79], vcc
	s_xor_b64 s[78:79], exec, s[78:79]
	s_cbranch_execz .LBB4_3439
; %bb.3438:                             ;   in Loop: Header=BB4_2679 Depth=2
	v_ffbh_u32_e32 v27, v40
	v_min_u32_e32 v27, 32, v27
	v_mov_b32_e32 v1, v51
	v_subrev_u32_e32 v41, 29, v27
	v_bfe_u32 v26, v0, 2, 5
	v_lshlrev_b64 v[0:1], v41, v[0:1]
	v_sub_u32_e32 v1, 30, v27
	v_cmp_eq_u32_e32 vcc, 0, v26
	v_cndmask_b32_e32 v1, v26, v1, vcc
	v_lshlrev_b32_e32 v26, 16, v50
	v_and_b32_e32 v0, 3, v0
	v_and_b32_e32 v26, 0x80000000, v26
	v_cndmask_b32_e32 v0, v40, v0, vcc
	v_lshl_add_u32 v1, v1, 23, v26
	v_lshl_or_b32 v0, v0, 21, v1
	v_add_u32_e32 v1, 0x38000000, v0
                                        ; implicit-def: $vgpr40
.LBB4_3439:                             ;   in Loop: Header=BB4_2679 Depth=2
	s_andn2_saveexec_b64 s[78:79], s[78:79]
; %bb.3440:                             ;   in Loop: Header=BB4_2679 Depth=2
	v_cmp_lt_i16_e32 vcc, -1, v50
	v_cndmask_b32_e32 v0, v5, v36, vcc
	v_cmp_eq_u32_e32 vcc, 0, v40
	v_cndmask_b32_e32 v1, v37, v0, vcc
; %bb.3441:                             ;   in Loop: Header=BB4_2679 Depth=2
	s_or_b64 exec, exec, s[78:79]
.LBB4_3442:                             ;   in Loop: Header=BB4_2679 Depth=2
	s_or_b64 exec, exec, s[76:77]
.LBB4_3443:                             ;   in Loop: Header=BB4_2679 Depth=2
	s_or_b64 exec, exec, s[18:19]
	v_lshrrev_b16_e32 v50, 8, v11
	v_cmp_ne_u16_e32 vcc, 0, v50
	s_and_saveexec_b64 s[18:19], vcc
	s_cbranch_execz .LBB4_3451
; %bb.3444:                             ;   in Loop: Header=BB4_2679 Depth=2
	v_cmp_ne_u16_e32 vcc, s52, v50
	v_bfrev_b32_e32 v2, 1
	s_and_saveexec_b64 s[76:77], vcc
	s_cbranch_execz .LBB4_3450
; %bb.3445:                             ;   in Loop: Header=BB4_2679 Depth=2
	v_and_b32_e32 v2, 0x7c, v50
	v_and_b32_e32 v0, 3, v50
	v_cmp_ne_u32_e32 vcc, s50, v2
                                        ; implicit-def: $vgpr2
	s_and_saveexec_b64 s[78:79], vcc
	s_xor_b64 s[78:79], exec, s[78:79]
	s_cbranch_execz .LBB4_3447
; %bb.3446:                             ;   in Loop: Header=BB4_2679 Depth=2
	v_ffbh_u32_e32 v26, v0
	v_min_u32_e32 v26, 32, v26
	v_bfe_u32 v2, v50, 2, 5
	v_subrev_u32_e32 v27, 29, v26
	v_lshlrev_b64 v[40:41], v27, v[50:51]
	v_sub_u32_e32 v26, 30, v26
	v_cmp_eq_u32_e32 vcc, 0, v2
	v_cndmask_b32_e32 v2, v2, v26, vcc
	v_lshlrev_b32_e32 v26, 16, v11
	v_and_b32_e32 v27, 3, v40
	v_and_b32_e32 v26, 0x80000000, v26
	v_cndmask_b32_e32 v0, v0, v27, vcc
	v_lshl_add_u32 v2, v2, 23, v26
	v_lshl_or_b32 v0, v0, 21, v2
	v_add_u32_e32 v2, 0x38000000, v0
                                        ; implicit-def: $vgpr0
.LBB4_3447:                             ;   in Loop: Header=BB4_2679 Depth=2
	s_andn2_saveexec_b64 s[78:79], s[78:79]
; %bb.3448:                             ;   in Loop: Header=BB4_2679 Depth=2
	v_cmp_lt_i16_e32 vcc, -1, v11
	v_cndmask_b32_e32 v2, v5, v36, vcc
	v_cmp_eq_u32_e32 vcc, 0, v0
	v_cndmask_b32_e32 v2, v37, v2, vcc
; %bb.3449:                             ;   in Loop: Header=BB4_2679 Depth=2
	s_or_b64 exec, exec, s[78:79]
.LBB4_3450:                             ;   in Loop: Header=BB4_2679 Depth=2
	s_or_b64 exec, exec, s[76:77]
.LBB4_3451:                             ;   in Loop: Header=BB4_2679 Depth=2
	s_or_b64 exec, exec, s[18:19]
	v_mul_f32_e32 v0, v1, v2
	v_and_b32_e32 v1, 0x7f800000, v0
	v_mov_b32_e32 v2, v51
	v_cmp_ne_u64_e32 vcc, s[58:59], v[1:2]
	v_and_b32_e32 v50, 0x7fffff, v0
                                        ; implicit-def: $vgpr58
	s_and_saveexec_b64 s[18:19], vcc
	s_xor_b64 s[76:77], exec, s[18:19]
	s_cbranch_execz .LBB4_3465
; %bb.3452:                             ;   in Loop: Header=BB4_2679 Depth=2
	v_and_b32_e32 v1, 0x7fffffff, v0
	v_mov_b32_e32 v2, v51
	v_cmp_gt_u64_e32 vcc, s[60:61], v[1:2]
	v_and_b32_sdwa v40, v0, s52 dst_sel:DWORD dst_unused:UNUSED_PAD src0_sel:BYTE_3 src1_sel:DWORD
                                        ; implicit-def: $vgpr58
	s_and_saveexec_b64 s[18:19], vcc
	s_xor_b64 s[78:79], exec, s[18:19]
	s_cbranch_execz .LBB4_3462
; %bb.3453:                             ;   in Loop: Header=BB4_2679 Depth=2
	v_mov_b32_e32 v58, 0
	v_cmp_ne_u32_e32 vcc, 0, v0
	s_and_saveexec_b64 s[88:89], vcc
	s_cbranch_execz .LBB4_3461
; %bb.3454:                             ;   in Loop: Header=BB4_2679 Depth=2
	v_bfe_u32 v41, v0, 23, 8
	v_cmp_gt_u32_e64 s[18:19], s53, v41
	v_sub_u32_e32 v0, 0x71, v41
	v_cmp_eq_u32_e32 vcc, 0, v41
	v_cndmask_b32_e64 v0, 0, v0, s[18:19]
	v_mov_b32_e32 v2, 0x70
	v_cndmask_b32_e32 v58, v0, v2, vcc
	v_or_b32_e32 v1, 0x800000, v50
	v_add_u32_e32 v0, 21, v58
	v_cndmask_b32_e32 v50, v1, v50, vcc
	v_lshlrev_b64 v[0:1], v0, -1
	v_add_u32_e32 v2, 20, v58
	v_lshlrev_b64 v[42:43], v2, 1
	v_bfi_b32 v1, v1, 0, 0
	v_bfi_b32 v0, v0, 0, v50
	v_cmp_eq_u64_e64 s[18:19], v[0:1], v[42:43]
	v_lshrrev_b64 v[0:1], v58, v[50:51]
	v_mov_b32_e32 v2, v1
	v_mov_b32_e32 v1, v0
	s_and_saveexec_b64 s[90:91], s[18:19]
; %bb.3455:                             ;   in Loop: Header=BB4_2679 Depth=2
	v_bfe_u32 v1, v0, 21, 1
	v_add_co_u32_e64 v1, s[18:19], v0, v1
	v_add_co_u32_e64 v1, s[18:19], -1, v1
; %bb.3456:                             ;   in Loop: Header=BB4_2679 Depth=2
	s_or_b64 exec, exec, s[90:91]
	v_add_u32_e32 v2, 0xffffff81, v41
	v_mov_b32_e32 v26, 0xffffff82
	v_cndmask_b32_e32 v2, v2, v26, vcc
	v_lshrrev_b32_e32 v26, 23, v0
	v_add3_u32 v42, v58, v2, v26
	v_add_u32_e32 v41, 14, v42
	v_and_b32_e32 v1, 0x1fffff, v1
	v_add_u32_e32 v50, v1, v0
	v_cmp_ne_u32_e32 vcc, 0, v41
                                        ; implicit-def: $vgpr0_vgpr1
                                        ; implicit-def: $vgpr2
	s_and_saveexec_b64 s[18:19], vcc
	s_xor_b64 s[18:19], exec, s[18:19]
; %bb.3457:                             ;   in Loop: Header=BB4_2679 Depth=2
	v_cmp_lt_u64_e32 vcc, s[62:63], v[50:51]
	v_add_u32_e32 v0, 15, v42
	v_cndmask_b32_e32 v2, v41, v0, vcc
	v_cndmask_b32_e64 v0, 0, 1, vcc
	v_lshrrev_b64 v[0:1], v0, v[50:51]
; %bb.3458:                             ;   in Loop: Header=BB4_2679 Depth=2
	s_or_saveexec_b64 s[18:19], s[18:19]
	v_mov_b32_e32 v43, -1
	s_xor_b64 exec, exec, s[18:19]
; %bb.3459:                             ;   in Loop: Header=BB4_2679 Depth=2
	v_mov_b32_e32 v0, v50
	v_bfe_u32 v2, v50, 23, 1
	v_mov_b32_e32 v1, v51
; %bb.3460:                             ;   in Loop: Header=BB4_2679 Depth=2
	s_or_b64 exec, exec, s[18:19]
	v_lshrrev_b64 v[0:1], 21, v[0:1]
	v_cmp_gt_i32_e32 vcc, 32, v2
	v_cndmask_b32_e32 v1, 0, v1, vcc
	v_cndmask_b32_e32 v0, 3, v0, vcc
	v_cmp_eq_u64_e64 s[18:19], 0, v[0:1]
	v_min_i32_e32 v1, 31, v2
	v_lshlrev_b32_e32 v1, 2, v1
	v_cmp_eq_u32_e32 vcc, 0, v2
	v_and_b32_e32 v1, 0xfc, v1
	v_and_or_b32 v0, v0, 3, v1
	s_and_b64 s[18:19], vcc, s[18:19]
	v_cndmask_b32_e64 v0, v0, 0, s[18:19]
	v_or_b32_e32 v58, v0, v40
.LBB4_3461:                             ;   in Loop: Header=BB4_2679 Depth=2
	s_or_b64 exec, exec, s[88:89]
                                        ; implicit-def: $vgpr40
.LBB4_3462:                             ;   in Loop: Header=BB4_2679 Depth=2
	s_andn2_saveexec_b64 s[18:19], s[78:79]
; %bb.3463:                             ;   in Loop: Header=BB4_2679 Depth=2
	v_or_b32_e32 v58, 0x7b, v40
; %bb.3464:                             ;   in Loop: Header=BB4_2679 Depth=2
	s_or_b64 exec, exec, s[18:19]
                                        ; implicit-def: $vgpr0
.LBB4_3465:                             ;   in Loop: Header=BB4_2679 Depth=2
	s_andn2_saveexec_b64 s[18:19], s[76:77]
	s_cbranch_execz .LBB4_3471
; %bb.3466:                             ;   in Loop: Header=BB4_2679 Depth=2
	v_cmp_ne_u64_e32 vcc, 0, v[50:51]
                                        ; implicit-def: $vgpr58
	s_and_saveexec_b64 s[76:77], vcc
	s_xor_b64 s[76:77], exec, s[76:77]
; %bb.3467:                             ;   in Loop: Header=BB4_2679 Depth=2
	v_or_b32_sdwa v58, v0, s54 dst_sel:DWORD dst_unused:UNUSED_PAD src0_sel:BYTE_3 src1_sel:DWORD
                                        ; implicit-def: $vgpr0
; %bb.3468:                             ;   in Loop: Header=BB4_2679 Depth=2
	s_andn2_saveexec_b64 s[76:77], s[76:77]
; %bb.3469:                             ;   in Loop: Header=BB4_2679 Depth=2
	v_cmp_lt_i32_e32 vcc, -1, v0
	v_bfrev_b32_e32 v0, 0.5
	v_mov_b32_e32 v1, 0x7c
	v_cndmask_b32_e32 v58, v0, v1, vcc
; %bb.3470:                             ;   in Loop: Header=BB4_2679 Depth=2
	s_or_b64 exec, exec, s[76:77]
.LBB4_3471:                             ;   in Loop: Header=BB4_2679 Depth=2
	s_or_b64 exec, exec, s[18:19]
	v_lshrrev_b32_e32 v0, 16, v15
	v_cmp_ne_u16_sdwa s[76:77], v0, v51 src0_sel:BYTE_0 src1_sel:DWORD
	v_mov_b32_e32 v1, 0
	v_mov_b32_e32 v2, 0
	s_and_saveexec_b64 s[18:19], s[76:77]
	s_cbranch_execz .LBB4_3479
; %bb.3472:                             ;   in Loop: Header=BB4_2679 Depth=2
	v_cmp_ne_u16_sdwa s[78:79], v0, s52 src0_sel:BYTE_0 src1_sel:DWORD
	v_bfrev_b32_e32 v2, 1
	s_and_saveexec_b64 s[76:77], s[78:79]
	s_cbranch_execz .LBB4_3478
; %bb.3473:                             ;   in Loop: Header=BB4_2679 Depth=2
	v_and_b32_e32 v2, 0x7c0000, v15
	v_bfe_u32 v50, v15, 16, 2
	v_cmp_ne_u32_e32 vcc, s55, v2
                                        ; implicit-def: $vgpr2
	s_and_saveexec_b64 s[78:79], vcc
	s_xor_b64 s[78:79], exec, s[78:79]
	s_cbranch_execz .LBB4_3475
; %bb.3474:                             ;   in Loop: Header=BB4_2679 Depth=2
	v_ffbh_u32_e32 v26, v50
	v_min_u32_e32 v26, 32, v26
	v_subrev_u32_e32 v27, 29, v26
	v_lshlrev_b64 v[40:41], v27, v[0:1]
	v_bfe_u32 v2, v15, 18, 5
	v_sub_u32_e32 v0, 30, v26
	v_and_b32_e32 v26, 3, v40
	v_cmp_eq_u32_e32 vcc, 0, v2
	v_cndmask_b32_e32 v0, v2, v0, vcc
	v_cndmask_b32_e32 v2, v50, v26, vcc
	v_lshlrev_b32_e32 v26, 8, v15
	v_and_b32_e32 v26, 0x80000000, v26
	v_lshl_add_u32 v0, v0, 23, v26
	v_lshl_or_b32 v0, v2, 21, v0
	v_add_u32_e32 v2, 0x38000000, v0
                                        ; implicit-def: $vgpr50
                                        ; implicit-def: $vgpr0
.LBB4_3475:                             ;   in Loop: Header=BB4_2679 Depth=2
	s_andn2_saveexec_b64 s[78:79], s[78:79]
; %bb.3476:                             ;   in Loop: Header=BB4_2679 Depth=2
	v_cmp_gt_i16_sdwa vcc, sext(v0), v43 src0_sel:BYTE_0 src1_sel:DWORD
	v_cndmask_b32_e32 v0, v5, v36, vcc
	v_cmp_eq_u32_e32 vcc, 0, v50
	v_cndmask_b32_e32 v2, v37, v0, vcc
; %bb.3477:                             ;   in Loop: Header=BB4_2679 Depth=2
	s_or_b64 exec, exec, s[78:79]
.LBB4_3478:                             ;   in Loop: Header=BB4_2679 Depth=2
	s_or_b64 exec, exec, s[76:77]
.LBB4_3479:                             ;   in Loop: Header=BB4_2679 Depth=2
	s_or_b64 exec, exec, s[18:19]
	v_lshrrev_b32_e32 v0, 16, v11
	v_cmp_ne_u16_sdwa s[76:77], v0, v51 src0_sel:BYTE_0 src1_sel:DWORD
	s_and_saveexec_b64 s[18:19], s[76:77]
	s_cbranch_execz .LBB4_3487
; %bb.3480:                             ;   in Loop: Header=BB4_2679 Depth=2
	v_cmp_ne_u16_sdwa s[78:79], v0, s52 src0_sel:BYTE_0 src1_sel:DWORD
	v_bfrev_b32_e32 v1, 1
	s_and_saveexec_b64 s[76:77], s[78:79]
	s_cbranch_execz .LBB4_3486
; %bb.3481:                             ;   in Loop: Header=BB4_2679 Depth=2
	v_and_b32_e32 v1, 0x7c0000, v11
	v_bfe_u32 v50, v11, 16, 2
	v_cmp_ne_u32_e32 vcc, s55, v1
                                        ; implicit-def: $vgpr1
	s_and_saveexec_b64 s[78:79], vcc
	s_xor_b64 s[78:79], exec, s[78:79]
	s_cbranch_execz .LBB4_3483
; %bb.3482:                             ;   in Loop: Header=BB4_2679 Depth=2
	v_ffbh_u32_e32 v1, v50
	v_min_u32_e32 v27, 32, v1
	v_subrev_u32_e32 v1, 29, v27
	v_bfe_u32 v26, v11, 18, 5
	v_lshlrev_b64 v[0:1], v1, v[0:1]
	v_sub_u32_e32 v1, 30, v27
	v_cmp_eq_u32_e32 vcc, 0, v26
	v_cndmask_b32_e32 v1, v26, v1, vcc
	v_lshlrev_b32_e32 v26, 8, v11
	v_and_b32_e32 v0, 3, v0
	v_and_b32_e32 v26, 0x80000000, v26
	v_cndmask_b32_e32 v0, v50, v0, vcc
	v_lshl_add_u32 v1, v1, 23, v26
	v_lshl_or_b32 v0, v0, 21, v1
	v_add_u32_e32 v1, 0x38000000, v0
                                        ; implicit-def: $vgpr50
                                        ; implicit-def: $vgpr0
.LBB4_3483:                             ;   in Loop: Header=BB4_2679 Depth=2
	s_andn2_saveexec_b64 s[78:79], s[78:79]
; %bb.3484:                             ;   in Loop: Header=BB4_2679 Depth=2
	v_cmp_gt_i16_sdwa vcc, sext(v0), v43 src0_sel:BYTE_0 src1_sel:DWORD
	v_cndmask_b32_e32 v0, v5, v36, vcc
	v_cmp_eq_u32_e32 vcc, 0, v50
	v_cndmask_b32_e32 v1, v37, v0, vcc
; %bb.3485:                             ;   in Loop: Header=BB4_2679 Depth=2
	s_or_b64 exec, exec, s[78:79]
.LBB4_3486:                             ;   in Loop: Header=BB4_2679 Depth=2
	s_or_b64 exec, exec, s[76:77]
.LBB4_3487:                             ;   in Loop: Header=BB4_2679 Depth=2
	s_or_b64 exec, exec, s[18:19]
	v_mul_f32_e32 v0, v2, v1
	v_and_b32_e32 v1, 0x7f800000, v0
	v_mov_b32_e32 v2, v51
	v_cmp_ne_u64_e32 vcc, s[58:59], v[1:2]
	v_and_b32_e32 v50, 0x7fffff, v0
                                        ; implicit-def: $vgpr59
	s_and_saveexec_b64 s[18:19], vcc
	s_xor_b64 s[76:77], exec, s[18:19]
	s_cbranch_execz .LBB4_3501
; %bb.3488:                             ;   in Loop: Header=BB4_2679 Depth=2
	v_and_b32_e32 v1, 0x7fffffff, v0
	v_mov_b32_e32 v2, v51
	v_cmp_gt_u64_e32 vcc, s[60:61], v[1:2]
	v_and_b32_sdwa v40, v0, s52 dst_sel:DWORD dst_unused:UNUSED_PAD src0_sel:BYTE_3 src1_sel:DWORD
                                        ; implicit-def: $vgpr59
	s_and_saveexec_b64 s[18:19], vcc
	s_xor_b64 s[78:79], exec, s[18:19]
	s_cbranch_execz .LBB4_3498
; %bb.3489:                             ;   in Loop: Header=BB4_2679 Depth=2
	v_mov_b32_e32 v59, 0
	v_cmp_ne_u32_e32 vcc, 0, v0
	s_and_saveexec_b64 s[88:89], vcc
	s_cbranch_execz .LBB4_3497
; %bb.3490:                             ;   in Loop: Header=BB4_2679 Depth=2
	v_bfe_u32 v41, v0, 23, 8
	v_cmp_gt_u32_e64 s[18:19], s53, v41
	v_sub_u32_e32 v0, 0x71, v41
	v_cmp_eq_u32_e32 vcc, 0, v41
	v_cndmask_b32_e64 v0, 0, v0, s[18:19]
	v_mov_b32_e32 v2, 0x70
	v_cndmask_b32_e32 v59, v0, v2, vcc
	v_or_b32_e32 v1, 0x800000, v50
	v_add_u32_e32 v0, 21, v59
	v_cndmask_b32_e32 v50, v1, v50, vcc
	v_lshlrev_b64 v[0:1], v0, -1
	v_add_u32_e32 v2, 20, v59
	v_lshlrev_b64 v[42:43], v2, 1
	v_bfi_b32 v1, v1, 0, 0
	v_bfi_b32 v0, v0, 0, v50
	v_cmp_eq_u64_e64 s[18:19], v[0:1], v[42:43]
	v_lshrrev_b64 v[0:1], v59, v[50:51]
	v_mov_b32_e32 v2, v1
	v_mov_b32_e32 v1, v0
	s_and_saveexec_b64 s[90:91], s[18:19]
; %bb.3491:                             ;   in Loop: Header=BB4_2679 Depth=2
	v_bfe_u32 v1, v0, 21, 1
	v_add_co_u32_e64 v1, s[18:19], v0, v1
	v_add_co_u32_e64 v1, s[18:19], -1, v1
; %bb.3492:                             ;   in Loop: Header=BB4_2679 Depth=2
	s_or_b64 exec, exec, s[90:91]
	v_add_u32_e32 v2, 0xffffff81, v41
	v_mov_b32_e32 v26, 0xffffff82
	v_cndmask_b32_e32 v2, v2, v26, vcc
	v_lshrrev_b32_e32 v26, 23, v0
	v_add3_u32 v42, v59, v2, v26
	v_add_u32_e32 v41, 14, v42
	v_and_b32_e32 v1, 0x1fffff, v1
	v_add_u32_e32 v50, v1, v0
	v_cmp_ne_u32_e32 vcc, 0, v41
                                        ; implicit-def: $vgpr0_vgpr1
                                        ; implicit-def: $vgpr2
	s_and_saveexec_b64 s[18:19], vcc
	s_xor_b64 s[18:19], exec, s[18:19]
; %bb.3493:                             ;   in Loop: Header=BB4_2679 Depth=2
	v_cmp_lt_u64_e32 vcc, s[62:63], v[50:51]
	v_add_u32_e32 v0, 15, v42
	v_cndmask_b32_e32 v2, v41, v0, vcc
	v_cndmask_b32_e64 v0, 0, 1, vcc
	v_lshrrev_b64 v[0:1], v0, v[50:51]
; %bb.3494:                             ;   in Loop: Header=BB4_2679 Depth=2
	s_or_saveexec_b64 s[18:19], s[18:19]
	v_mov_b32_e32 v43, -1
	s_xor_b64 exec, exec, s[18:19]
; %bb.3495:                             ;   in Loop: Header=BB4_2679 Depth=2
	v_mov_b32_e32 v0, v50
	v_bfe_u32 v2, v50, 23, 1
	v_mov_b32_e32 v1, v51
; %bb.3496:                             ;   in Loop: Header=BB4_2679 Depth=2
	s_or_b64 exec, exec, s[18:19]
	v_lshrrev_b64 v[0:1], 21, v[0:1]
	v_cmp_gt_i32_e32 vcc, 32, v2
	v_cndmask_b32_e32 v1, 0, v1, vcc
	v_cndmask_b32_e32 v0, 3, v0, vcc
	v_cmp_eq_u64_e64 s[18:19], 0, v[0:1]
	v_min_i32_e32 v1, 31, v2
	v_lshlrev_b32_e32 v1, 2, v1
	v_cmp_eq_u32_e32 vcc, 0, v2
	v_and_b32_e32 v1, 0xfc, v1
	v_and_or_b32 v0, v0, 3, v1
	s_and_b64 s[18:19], vcc, s[18:19]
	v_cndmask_b32_e64 v0, v0, 0, s[18:19]
	v_or_b32_e32 v59, v0, v40
.LBB4_3497:                             ;   in Loop: Header=BB4_2679 Depth=2
	s_or_b64 exec, exec, s[88:89]
                                        ; implicit-def: $vgpr40
.LBB4_3498:                             ;   in Loop: Header=BB4_2679 Depth=2
	s_andn2_saveexec_b64 s[18:19], s[78:79]
; %bb.3499:                             ;   in Loop: Header=BB4_2679 Depth=2
	v_or_b32_e32 v59, 0x7b, v40
; %bb.3500:                             ;   in Loop: Header=BB4_2679 Depth=2
	s_or_b64 exec, exec, s[18:19]
                                        ; implicit-def: $vgpr0
.LBB4_3501:                             ;   in Loop: Header=BB4_2679 Depth=2
	s_andn2_saveexec_b64 s[18:19], s[76:77]
	s_cbranch_execz .LBB4_3507
; %bb.3502:                             ;   in Loop: Header=BB4_2679 Depth=2
	v_cmp_ne_u64_e32 vcc, 0, v[50:51]
                                        ; implicit-def: $vgpr59
	s_and_saveexec_b64 s[76:77], vcc
	s_xor_b64 s[76:77], exec, s[76:77]
; %bb.3503:                             ;   in Loop: Header=BB4_2679 Depth=2
	v_or_b32_sdwa v59, v0, s54 dst_sel:DWORD dst_unused:UNUSED_PAD src0_sel:BYTE_3 src1_sel:DWORD
                                        ; implicit-def: $vgpr0
; %bb.3504:                             ;   in Loop: Header=BB4_2679 Depth=2
	s_andn2_saveexec_b64 s[76:77], s[76:77]
; %bb.3505:                             ;   in Loop: Header=BB4_2679 Depth=2
	v_cmp_lt_i32_e32 vcc, -1, v0
	v_bfrev_b32_e32 v0, 0.5
	v_mov_b32_e32 v1, 0x7c
	v_cndmask_b32_e32 v59, v0, v1, vcc
; %bb.3506:                             ;   in Loop: Header=BB4_2679 Depth=2
	s_or_b64 exec, exec, s[76:77]
.LBB4_3507:                             ;   in Loop: Header=BB4_2679 Depth=2
	s_or_b64 exec, exec, s[18:19]
	v_cmp_lt_u64_e32 vcc, s[56:57], v[14:15]
	v_mov_b32_e32 v1, 0
	v_mov_b32_e32 v2, 0
	s_and_saveexec_b64 s[18:19], vcc
	s_cbranch_execz .LBB4_3515
; %bb.3508:                             ;   in Loop: Header=BB4_2679 Depth=2
	v_lshrrev_b32_e32 v0, 24, v15
	v_cmp_ne_u32_e32 vcc, s52, v0
	v_bfrev_b32_e32 v2, 1
	s_and_saveexec_b64 s[76:77], vcc
	s_cbranch_execz .LBB4_3514
; %bb.3509:                             ;   in Loop: Header=BB4_2679 Depth=2
	v_and_b32_e32 v2, 0x7c000000, v15
	v_bfe_u32 v50, v15, 24, 2
	v_cmp_ne_u32_e32 vcc, s64, v2
                                        ; implicit-def: $vgpr2
	s_and_saveexec_b64 s[78:79], vcc
	s_xor_b64 s[78:79], exec, s[78:79]
	s_cbranch_execz .LBB4_3511
; %bb.3510:                             ;   in Loop: Header=BB4_2679 Depth=2
	v_ffbh_u32_e32 v26, v50
	v_min_u32_e32 v26, 32, v26
	v_subrev_u32_e32 v27, 29, v26
	v_lshlrev_b64 v[40:41], v27, v[0:1]
	v_bfe_u32 v2, v15, 26, 5
	v_sub_u32_e32 v0, 30, v26
	v_and_b32_e32 v26, 3, v40
	v_cmp_eq_u32_e32 vcc, 0, v2
	v_cndmask_b32_e32 v0, v2, v0, vcc
	v_cndmask_b32_e32 v2, v50, v26, vcc
	v_and_b32_e32 v26, 0x80000000, v15
	v_lshl_add_u32 v0, v0, 23, v26
	v_lshl_or_b32 v0, v2, 21, v0
	v_add_u32_e32 v2, 0x38000000, v0
                                        ; implicit-def: $vgpr50
.LBB4_3511:                             ;   in Loop: Header=BB4_2679 Depth=2
	s_andn2_saveexec_b64 s[78:79], s[78:79]
; %bb.3512:                             ;   in Loop: Header=BB4_2679 Depth=2
	v_cmp_lt_i64_e32 vcc, -1, v[14:15]
	v_cndmask_b32_e32 v0, v5, v36, vcc
	v_cmp_eq_u32_e32 vcc, 0, v50
	v_cndmask_b32_e32 v2, v37, v0, vcc
; %bb.3513:                             ;   in Loop: Header=BB4_2679 Depth=2
	s_or_b64 exec, exec, s[78:79]
.LBB4_3514:                             ;   in Loop: Header=BB4_2679 Depth=2
	s_or_b64 exec, exec, s[76:77]
.LBB4_3515:                             ;   in Loop: Header=BB4_2679 Depth=2
	s_or_b64 exec, exec, s[18:19]
	v_cmp_lt_u64_e32 vcc, s[56:57], v[10:11]
	s_and_saveexec_b64 s[18:19], vcc
	s_cbranch_execz .LBB4_3523
; %bb.3516:                             ;   in Loop: Header=BB4_2679 Depth=2
	v_lshrrev_b32_e32 v0, 24, v11
	v_cmp_ne_u32_e32 vcc, s52, v0
	v_bfrev_b32_e32 v1, 1
	s_and_saveexec_b64 s[76:77], vcc
	s_cbranch_execz .LBB4_3522
; %bb.3517:                             ;   in Loop: Header=BB4_2679 Depth=2
	v_and_b32_e32 v1, 0x7c000000, v11
	v_bfe_u32 v14, v11, 24, 2
	v_cmp_ne_u32_e32 vcc, s64, v1
                                        ; implicit-def: $vgpr1
	s_and_saveexec_b64 s[78:79], vcc
	s_xor_b64 s[78:79], exec, s[78:79]
	s_cbranch_execz .LBB4_3519
; %bb.3518:                             ;   in Loop: Header=BB4_2679 Depth=2
	v_ffbh_u32_e32 v1, v14
	v_min_u32_e32 v26, 32, v1
	v_subrev_u32_e32 v1, 29, v26
	v_lshlrev_b64 v[0:1], v1, v[0:1]
	v_bfe_u32 v15, v11, 26, 5
	v_sub_u32_e32 v1, 30, v26
	v_and_b32_e32 v0, 3, v0
	v_cmp_eq_u32_e32 vcc, 0, v15
	v_cndmask_b32_e32 v1, v15, v1, vcc
	v_cndmask_b32_e32 v0, v14, v0, vcc
	v_and_b32_e32 v14, 0x80000000, v11
	v_lshl_add_u32 v1, v1, 23, v14
	v_lshl_or_b32 v0, v0, 21, v1
	v_add_u32_e32 v1, 0x38000000, v0
                                        ; implicit-def: $vgpr14
.LBB4_3519:                             ;   in Loop: Header=BB4_2679 Depth=2
	s_andn2_saveexec_b64 s[78:79], s[78:79]
; %bb.3520:                             ;   in Loop: Header=BB4_2679 Depth=2
	v_cmp_lt_i64_e32 vcc, -1, v[10:11]
	v_cndmask_b32_e32 v0, v5, v36, vcc
	v_cmp_eq_u32_e32 vcc, 0, v14
	v_cndmask_b32_e32 v1, v37, v0, vcc
; %bb.3521:                             ;   in Loop: Header=BB4_2679 Depth=2
	s_or_b64 exec, exec, s[78:79]
.LBB4_3522:                             ;   in Loop: Header=BB4_2679 Depth=2
	s_or_b64 exec, exec, s[76:77]
.LBB4_3523:                             ;   in Loop: Header=BB4_2679 Depth=2
	s_or_b64 exec, exec, s[18:19]
	v_mul_f32_e32 v0, v2, v1
	v_and_b32_e32 v1, 0x7f800000, v0
	v_mov_b32_e32 v2, v51
	v_cmp_ne_u64_e32 vcc, s[58:59], v[1:2]
	v_and_b32_e32 v50, 0x7fffff, v0
                                        ; implicit-def: $vgpr10
	s_and_saveexec_b64 s[18:19], vcc
	s_xor_b64 s[76:77], exec, s[18:19]
	s_cbranch_execz .LBB4_3537
; %bb.3524:                             ;   in Loop: Header=BB4_2679 Depth=2
	v_and_b32_e32 v1, 0x7fffffff, v0
	v_mov_b32_e32 v2, v51
	v_cmp_gt_u64_e32 vcc, s[60:61], v[1:2]
	v_and_b32_sdwa v11, v0, s52 dst_sel:DWORD dst_unused:UNUSED_PAD src0_sel:BYTE_3 src1_sel:DWORD
                                        ; implicit-def: $vgpr10
	s_and_saveexec_b64 s[18:19], vcc
	s_xor_b64 s[78:79], exec, s[18:19]
	s_cbranch_execz .LBB4_3534
; %bb.3525:                             ;   in Loop: Header=BB4_2679 Depth=2
	v_mov_b32_e32 v10, 0
	v_cmp_ne_u32_e32 vcc, 0, v0
	s_and_saveexec_b64 s[88:89], vcc
	s_cbranch_execz .LBB4_3533
; %bb.3526:                             ;   in Loop: Header=BB4_2679 Depth=2
	v_bfe_u32 v10, v0, 23, 8
	v_cmp_gt_u32_e64 s[18:19], s53, v10
	v_sub_u32_e32 v0, 0x71, v10
	v_cmp_eq_u32_e32 vcc, 0, v10
	v_cndmask_b32_e64 v0, 0, v0, s[18:19]
	v_mov_b32_e32 v2, 0x70
	v_cndmask_b32_e32 v14, v0, v2, vcc
	v_or_b32_e32 v1, 0x800000, v50
	v_add_u32_e32 v0, 21, v14
	v_cndmask_b32_e32 v50, v1, v50, vcc
	v_lshlrev_b64 v[0:1], v0, -1
	v_add_u32_e32 v2, 20, v14
	v_lshlrev_b64 v[40:41], v2, 1
	v_bfi_b32 v1, v1, 0, 0
	v_bfi_b32 v0, v0, 0, v50
	v_cmp_eq_u64_e64 s[18:19], v[0:1], v[40:41]
	v_lshrrev_b64 v[0:1], v14, v[50:51]
	v_mov_b32_e32 v2, v1
	v_mov_b32_e32 v1, v0
	s_and_saveexec_b64 s[90:91], s[18:19]
; %bb.3527:                             ;   in Loop: Header=BB4_2679 Depth=2
	v_bfe_u32 v1, v0, 21, 1
	v_add_co_u32_e64 v1, s[18:19], v0, v1
	v_add_co_u32_e64 v1, s[18:19], -1, v1
; %bb.3528:                             ;   in Loop: Header=BB4_2679 Depth=2
	s_or_b64 exec, exec, s[90:91]
	v_add_u32_e32 v2, 0xffffff81, v10
	v_mov_b32_e32 v10, 0xffffff82
	v_cndmask_b32_e32 v2, v2, v10, vcc
	v_lshrrev_b32_e32 v10, 23, v0
	v_add3_u32 v14, v14, v2, v10
	v_add_u32_e32 v10, 14, v14
	v_and_b32_e32 v1, 0x1fffff, v1
	v_add_u32_e32 v50, v1, v0
	v_cmp_ne_u32_e32 vcc, 0, v10
                                        ; implicit-def: $vgpr0_vgpr1
                                        ; implicit-def: $vgpr2
	s_and_saveexec_b64 s[18:19], vcc
	s_xor_b64 s[18:19], exec, s[18:19]
; %bb.3529:                             ;   in Loop: Header=BB4_2679 Depth=2
	v_cmp_lt_u64_e32 vcc, s[62:63], v[50:51]
	v_add_u32_e32 v0, 15, v14
	v_cndmask_b32_e32 v2, v10, v0, vcc
	v_cndmask_b32_e64 v0, 0, 1, vcc
	v_lshrrev_b64 v[0:1], v0, v[50:51]
; %bb.3530:                             ;   in Loop: Header=BB4_2679 Depth=2
	s_andn2_saveexec_b64 s[18:19], s[18:19]
; %bb.3531:                             ;   in Loop: Header=BB4_2679 Depth=2
	v_mov_b32_e32 v0, v50
	v_bfe_u32 v2, v50, 23, 1
	v_mov_b32_e32 v1, v51
; %bb.3532:                             ;   in Loop: Header=BB4_2679 Depth=2
	s_or_b64 exec, exec, s[18:19]
	v_lshrrev_b64 v[0:1], 21, v[0:1]
	v_cmp_gt_i32_e32 vcc, 32, v2
	v_cndmask_b32_e32 v1, 0, v1, vcc
	v_cndmask_b32_e32 v0, 3, v0, vcc
	v_cmp_eq_u64_e64 s[18:19], 0, v[0:1]
	v_min_i32_e32 v1, 31, v2
	v_lshlrev_b32_e32 v1, 2, v1
	v_cmp_eq_u32_e32 vcc, 0, v2
	v_and_b32_e32 v1, 0xfc, v1
	v_and_or_b32 v0, v0, 3, v1
	s_and_b64 s[18:19], vcc, s[18:19]
	v_cndmask_b32_e64 v0, v0, 0, s[18:19]
	v_or_b32_e32 v10, v0, v11
.LBB4_3533:                             ;   in Loop: Header=BB4_2679 Depth=2
	s_or_b64 exec, exec, s[88:89]
                                        ; implicit-def: $vgpr11
.LBB4_3534:                             ;   in Loop: Header=BB4_2679 Depth=2
	s_andn2_saveexec_b64 s[18:19], s[78:79]
; %bb.3535:                             ;   in Loop: Header=BB4_2679 Depth=2
	v_or_b32_e32 v10, 0x7b, v11
; %bb.3536:                             ;   in Loop: Header=BB4_2679 Depth=2
	s_or_b64 exec, exec, s[18:19]
                                        ; implicit-def: $vgpr0
.LBB4_3537:                             ;   in Loop: Header=BB4_2679 Depth=2
	s_andn2_saveexec_b64 s[18:19], s[76:77]
	s_cbranch_execz .LBB4_3543
; %bb.3538:                             ;   in Loop: Header=BB4_2679 Depth=2
	v_cmp_ne_u64_e32 vcc, 0, v[50:51]
                                        ; implicit-def: $vgpr10
	s_and_saveexec_b64 s[76:77], vcc
	s_xor_b64 s[76:77], exec, s[76:77]
; %bb.3539:                             ;   in Loop: Header=BB4_2679 Depth=2
	v_or_b32_sdwa v10, v0, s54 dst_sel:DWORD dst_unused:UNUSED_PAD src0_sel:BYTE_3 src1_sel:DWORD
                                        ; implicit-def: $vgpr0
; %bb.3540:                             ;   in Loop: Header=BB4_2679 Depth=2
	s_andn2_saveexec_b64 s[76:77], s[76:77]
; %bb.3541:                             ;   in Loop: Header=BB4_2679 Depth=2
	v_cmp_lt_i32_e32 vcc, -1, v0
	v_bfrev_b32_e32 v0, 0.5
	v_mov_b32_e32 v1, 0x7c
	v_cndmask_b32_e32 v10, v0, v1, vcc
; %bb.3542:                             ;   in Loop: Header=BB4_2679 Depth=2
	s_or_b64 exec, exec, s[76:77]
.LBB4_3543:                             ;   in Loop: Header=BB4_2679 Depth=2
	s_or_b64 exec, exec, s[18:19]
	v_cmp_ne_u16_sdwa s[76:77], v16, v51 src0_sel:BYTE_0 src1_sel:DWORD
	v_mov_b32_e32 v0, 0
	v_mov_b32_e32 v1, 0
	s_and_saveexec_b64 s[18:19], s[76:77]
	s_cbranch_execz .LBB4_3551
; %bb.3544:                             ;   in Loop: Header=BB4_2679 Depth=2
	v_cmp_ne_u16_sdwa s[78:79], sext(v16), s49 src0_sel:BYTE_0 src1_sel:DWORD
	v_bfrev_b32_e32 v1, 1
	s_and_saveexec_b64 s[76:77], s[78:79]
	s_cbranch_execz .LBB4_3550
; %bb.3545:                             ;   in Loop: Header=BB4_2679 Depth=2
	v_and_b32_e32 v1, 0x7c, v16
	v_and_b32_e32 v2, 3, v16
	v_cmp_ne_u32_e32 vcc, s50, v1
                                        ; implicit-def: $vgpr1
	s_and_saveexec_b64 s[78:79], vcc
	s_xor_b64 s[78:79], exec, s[78:79]
	s_cbranch_execz .LBB4_3547
; %bb.3546:                             ;   in Loop: Header=BB4_2679 Depth=2
	v_ffbh_u32_e32 v11, v2
	v_min_u32_e32 v11, 32, v11
	v_bfe_u32 v1, v16, 2, 5
	v_subrev_u32_e32 v14, 29, v11
	v_lshlrev_b64 v[14:15], v14, v[16:17]
	v_sub_u32_e32 v11, 30, v11
	v_cmp_eq_u32_e32 vcc, 0, v1
	v_cndmask_b32_e32 v1, v1, v11, vcc
	v_lshlrev_b32_e32 v11, 24, v16
	v_and_b32_e32 v14, 3, v14
	v_and_b32_e32 v11, 0x80000000, v11
	v_cndmask_b32_e32 v2, v2, v14, vcc
	v_lshl_add_u32 v1, v1, 23, v11
	v_lshl_or_b32 v1, v2, 21, v1
	v_add_u32_e32 v1, 0x38000000, v1
                                        ; implicit-def: $vgpr2
.LBB4_3547:                             ;   in Loop: Header=BB4_2679 Depth=2
	s_andn2_saveexec_b64 s[78:79], s[78:79]
; %bb.3548:                             ;   in Loop: Header=BB4_2679 Depth=2
	v_cmp_gt_i16_sdwa vcc, sext(v16), v43 src0_sel:BYTE_0 src1_sel:DWORD
	v_cndmask_b32_e32 v1, v5, v36, vcc
	v_cmp_eq_u32_e32 vcc, 0, v2
	v_cndmask_b32_e32 v1, v37, v1, vcc
; %bb.3549:                             ;   in Loop: Header=BB4_2679 Depth=2
	s_or_b64 exec, exec, s[78:79]
.LBB4_3550:                             ;   in Loop: Header=BB4_2679 Depth=2
	s_or_b64 exec, exec, s[76:77]
.LBB4_3551:                             ;   in Loop: Header=BB4_2679 Depth=2
	s_or_b64 exec, exec, s[18:19]
	v_cmp_ne_u16_sdwa s[76:77], v12, v51 src0_sel:BYTE_0 src1_sel:DWORD
	s_and_saveexec_b64 s[18:19], s[76:77]
	s_cbranch_execz .LBB4_3559
; %bb.3552:                             ;   in Loop: Header=BB4_2679 Depth=2
	v_cmp_ne_u16_sdwa s[78:79], sext(v12), s49 src0_sel:BYTE_0 src1_sel:DWORD
	v_bfrev_b32_e32 v0, 1
	s_and_saveexec_b64 s[76:77], s[78:79]
	s_cbranch_execz .LBB4_3558
; %bb.3553:                             ;   in Loop: Header=BB4_2679 Depth=2
	v_and_b32_e32 v0, 0x7c, v12
	v_and_b32_e32 v2, 3, v12
	v_cmp_ne_u32_e32 vcc, s50, v0
                                        ; implicit-def: $vgpr0
	s_and_saveexec_b64 s[78:79], vcc
	s_xor_b64 s[78:79], exec, s[78:79]
	s_cbranch_execz .LBB4_3555
; %bb.3554:                             ;   in Loop: Header=BB4_2679 Depth=2
	v_ffbh_u32_e32 v11, v2
	v_min_u32_e32 v11, 32, v11
	v_bfe_u32 v0, v12, 2, 5
	v_subrev_u32_e32 v14, 29, v11
	v_lshlrev_b64 v[14:15], v14, v[12:13]
	v_sub_u32_e32 v11, 30, v11
	v_cmp_eq_u32_e32 vcc, 0, v0
	v_cndmask_b32_e32 v0, v0, v11, vcc
	v_lshlrev_b32_e32 v11, 24, v12
	v_and_b32_e32 v14, 3, v14
	v_and_b32_e32 v11, 0x80000000, v11
	v_cndmask_b32_e32 v2, v2, v14, vcc
	v_lshl_add_u32 v0, v0, 23, v11
	v_lshl_or_b32 v0, v2, 21, v0
	v_add_u32_e32 v0, 0x38000000, v0
                                        ; implicit-def: $vgpr2
.LBB4_3555:                             ;   in Loop: Header=BB4_2679 Depth=2
	s_andn2_saveexec_b64 s[78:79], s[78:79]
; %bb.3556:                             ;   in Loop: Header=BB4_2679 Depth=2
	v_cmp_gt_i16_sdwa vcc, sext(v12), v43 src0_sel:BYTE_0 src1_sel:DWORD
	v_cndmask_b32_e32 v0, v5, v36, vcc
	v_cmp_eq_u32_e32 vcc, 0, v2
	v_cndmask_b32_e32 v0, v37, v0, vcc
; %bb.3557:                             ;   in Loop: Header=BB4_2679 Depth=2
	s_or_b64 exec, exec, s[78:79]
.LBB4_3558:                             ;   in Loop: Header=BB4_2679 Depth=2
	s_or_b64 exec, exec, s[76:77]
.LBB4_3559:                             ;   in Loop: Header=BB4_2679 Depth=2
	s_or_b64 exec, exec, s[18:19]
	v_mul_f32_e32 v0, v1, v0
	v_and_b32_e32 v1, 0x7f800000, v0
	v_mov_b32_e32 v2, v51
	v_cmp_ne_u64_e32 vcc, s[58:59], v[1:2]
	v_and_b32_e32 v50, 0x7fffff, v0
                                        ; implicit-def: $vgpr11
	s_and_saveexec_b64 s[18:19], vcc
	s_xor_b64 s[76:77], exec, s[18:19]
	s_cbranch_execz .LBB4_3573
; %bb.3560:                             ;   in Loop: Header=BB4_2679 Depth=2
	v_and_b32_e32 v1, 0x7fffffff, v0
	v_mov_b32_e32 v2, v51
	v_cmp_gt_u64_e32 vcc, s[60:61], v[1:2]
	v_and_b32_sdwa v14, v0, s52 dst_sel:DWORD dst_unused:UNUSED_PAD src0_sel:BYTE_3 src1_sel:DWORD
                                        ; implicit-def: $vgpr11
	s_and_saveexec_b64 s[18:19], vcc
	s_xor_b64 s[78:79], exec, s[18:19]
	s_cbranch_execz .LBB4_3570
; %bb.3561:                             ;   in Loop: Header=BB4_2679 Depth=2
	v_mov_b32_e32 v11, 0
	v_cmp_ne_u32_e32 vcc, 0, v0
	s_and_saveexec_b64 s[88:89], vcc
	s_cbranch_execz .LBB4_3569
; %bb.3562:                             ;   in Loop: Header=BB4_2679 Depth=2
	v_bfe_u32 v11, v0, 23, 8
	v_cmp_gt_u32_e64 s[18:19], s53, v11
	v_sub_u32_e32 v0, 0x71, v11
	v_cmp_eq_u32_e32 vcc, 0, v11
	v_cndmask_b32_e64 v0, 0, v0, s[18:19]
	v_mov_b32_e32 v2, 0x70
	v_cndmask_b32_e32 v15, v0, v2, vcc
	v_or_b32_e32 v1, 0x800000, v50
	v_add_u32_e32 v0, 21, v15
	v_cndmask_b32_e32 v50, v1, v50, vcc
	v_lshlrev_b64 v[0:1], v0, -1
	v_add_u32_e32 v2, 20, v15
	v_lshlrev_b64 v[40:41], v2, 1
	v_bfi_b32 v1, v1, 0, 0
	v_bfi_b32 v0, v0, 0, v50
	v_cmp_eq_u64_e64 s[18:19], v[0:1], v[40:41]
	v_lshrrev_b64 v[0:1], v15, v[50:51]
	v_mov_b32_e32 v2, v1
	v_mov_b32_e32 v1, v0
	s_and_saveexec_b64 s[90:91], s[18:19]
; %bb.3563:                             ;   in Loop: Header=BB4_2679 Depth=2
	v_bfe_u32 v1, v0, 21, 1
	v_add_co_u32_e64 v1, s[18:19], v0, v1
	v_add_co_u32_e64 v1, s[18:19], -1, v1
; %bb.3564:                             ;   in Loop: Header=BB4_2679 Depth=2
	s_or_b64 exec, exec, s[90:91]
	v_add_u32_e32 v2, 0xffffff81, v11
	v_mov_b32_e32 v11, 0xffffff82
	v_cndmask_b32_e32 v2, v2, v11, vcc
	v_lshrrev_b32_e32 v11, 23, v0
	v_add3_u32 v15, v15, v2, v11
	v_add_u32_e32 v11, 14, v15
	v_and_b32_e32 v1, 0x1fffff, v1
	v_add_u32_e32 v50, v1, v0
	v_cmp_ne_u32_e32 vcc, 0, v11
                                        ; implicit-def: $vgpr0_vgpr1
                                        ; implicit-def: $vgpr2
	s_and_saveexec_b64 s[18:19], vcc
	s_xor_b64 s[18:19], exec, s[18:19]
; %bb.3565:                             ;   in Loop: Header=BB4_2679 Depth=2
	v_cmp_lt_u64_e32 vcc, s[62:63], v[50:51]
	v_add_u32_e32 v0, 15, v15
	v_cndmask_b32_e32 v2, v11, v0, vcc
	v_cndmask_b32_e64 v0, 0, 1, vcc
	v_lshrrev_b64 v[0:1], v0, v[50:51]
; %bb.3566:                             ;   in Loop: Header=BB4_2679 Depth=2
	s_andn2_saveexec_b64 s[18:19], s[18:19]
; %bb.3567:                             ;   in Loop: Header=BB4_2679 Depth=2
	v_mov_b32_e32 v0, v50
	v_bfe_u32 v2, v50, 23, 1
	v_mov_b32_e32 v1, v51
; %bb.3568:                             ;   in Loop: Header=BB4_2679 Depth=2
	s_or_b64 exec, exec, s[18:19]
	v_lshrrev_b64 v[0:1], 21, v[0:1]
	v_cmp_gt_i32_e32 vcc, 32, v2
	v_cndmask_b32_e32 v1, 0, v1, vcc
	v_cndmask_b32_e32 v0, 3, v0, vcc
	v_cmp_eq_u64_e64 s[18:19], 0, v[0:1]
	v_min_i32_e32 v1, 31, v2
	v_lshlrev_b32_e32 v1, 2, v1
	v_cmp_eq_u32_e32 vcc, 0, v2
	v_and_b32_e32 v1, 0xfc, v1
	v_and_or_b32 v0, v0, 3, v1
	s_and_b64 s[18:19], vcc, s[18:19]
	v_cndmask_b32_e64 v0, v0, 0, s[18:19]
	v_or_b32_e32 v11, v0, v14
.LBB4_3569:                             ;   in Loop: Header=BB4_2679 Depth=2
	s_or_b64 exec, exec, s[88:89]
                                        ; implicit-def: $vgpr14
.LBB4_3570:                             ;   in Loop: Header=BB4_2679 Depth=2
	s_andn2_saveexec_b64 s[18:19], s[78:79]
; %bb.3571:                             ;   in Loop: Header=BB4_2679 Depth=2
	v_or_b32_e32 v11, 0x7b, v14
; %bb.3572:                             ;   in Loop: Header=BB4_2679 Depth=2
	s_or_b64 exec, exec, s[18:19]
                                        ; implicit-def: $vgpr0
.LBB4_3573:                             ;   in Loop: Header=BB4_2679 Depth=2
	s_andn2_saveexec_b64 s[18:19], s[76:77]
	s_cbranch_execz .LBB4_3579
; %bb.3574:                             ;   in Loop: Header=BB4_2679 Depth=2
	v_cmp_ne_u64_e32 vcc, 0, v[50:51]
                                        ; implicit-def: $vgpr11
	s_and_saveexec_b64 s[76:77], vcc
	s_xor_b64 s[76:77], exec, s[76:77]
; %bb.3575:                             ;   in Loop: Header=BB4_2679 Depth=2
	v_or_b32_sdwa v11, v0, s54 dst_sel:DWORD dst_unused:UNUSED_PAD src0_sel:BYTE_3 src1_sel:DWORD
                                        ; implicit-def: $vgpr0
; %bb.3576:                             ;   in Loop: Header=BB4_2679 Depth=2
	s_andn2_saveexec_b64 s[76:77], s[76:77]
; %bb.3577:                             ;   in Loop: Header=BB4_2679 Depth=2
	v_cmp_lt_i32_e32 vcc, -1, v0
	v_bfrev_b32_e32 v0, 0.5
	v_mov_b32_e32 v1, 0x7c
	v_cndmask_b32_e32 v11, v0, v1, vcc
; %bb.3578:                             ;   in Loop: Header=BB4_2679 Depth=2
	s_or_b64 exec, exec, s[76:77]
.LBB4_3579:                             ;   in Loop: Header=BB4_2679 Depth=2
	s_or_b64 exec, exec, s[18:19]
	v_lshrrev_b16_e32 v50, 8, v16
	v_cmp_ne_u16_e32 vcc, 0, v50
	v_mov_b32_e32 v0, 0
	v_mov_b32_e32 v1, 0
	s_and_saveexec_b64 s[18:19], vcc
	s_cbranch_execz .LBB4_3587
; %bb.3580:                             ;   in Loop: Header=BB4_2679 Depth=2
	v_cmp_ne_u16_e32 vcc, s52, v50
	v_bfrev_b32_e32 v1, 1
	s_and_saveexec_b64 s[76:77], vcc
	s_cbranch_execz .LBB4_3586
; %bb.3581:                             ;   in Loop: Header=BB4_2679 Depth=2
	v_and_b32_e32 v1, 0x7c, v50
	v_and_b32_e32 v2, 3, v50
	v_cmp_ne_u32_e32 vcc, s50, v1
                                        ; implicit-def: $vgpr1
	s_and_saveexec_b64 s[78:79], vcc
	s_xor_b64 s[78:79], exec, s[78:79]
	s_cbranch_execz .LBB4_3583
; %bb.3582:                             ;   in Loop: Header=BB4_2679 Depth=2
	v_ffbh_u32_e32 v14, v2
	v_min_u32_e32 v26, 32, v14
	v_subrev_u32_e32 v14, 29, v26
	v_lshlrev_b64 v[14:15], v14, v[50:51]
	v_bfe_u32 v1, v50, 2, 5
	v_and_b32_e32 v14, 3, v14
	v_cmp_eq_u32_e32 vcc, 0, v1
	v_sub_u32_e32 v15, 30, v26
	v_cndmask_b32_e32 v2, v2, v14, vcc
	v_lshlrev_b32_e32 v14, 16, v16
	v_cndmask_b32_e32 v1, v1, v15, vcc
	v_and_b32_e32 v14, 0x80000000, v14
	v_lshl_add_u32 v1, v1, 23, v14
	v_lshl_or_b32 v1, v2, 21, v1
	v_add_u32_e32 v1, 0x38000000, v1
                                        ; implicit-def: $vgpr2
.LBB4_3583:                             ;   in Loop: Header=BB4_2679 Depth=2
	s_andn2_saveexec_b64 s[78:79], s[78:79]
; %bb.3584:                             ;   in Loop: Header=BB4_2679 Depth=2
	v_cmp_lt_i16_e32 vcc, -1, v16
	v_cndmask_b32_e32 v1, v5, v36, vcc
	v_cmp_eq_u32_e32 vcc, 0, v2
	v_cndmask_b32_e32 v1, v37, v1, vcc
; %bb.3585:                             ;   in Loop: Header=BB4_2679 Depth=2
	s_or_b64 exec, exec, s[78:79]
.LBB4_3586:                             ;   in Loop: Header=BB4_2679 Depth=2
	s_or_b64 exec, exec, s[76:77]
.LBB4_3587:                             ;   in Loop: Header=BB4_2679 Depth=2
	s_or_b64 exec, exec, s[18:19]
	v_lshrrev_b16_e32 v50, 8, v12
	v_cmp_ne_u16_e32 vcc, 0, v50
	s_and_saveexec_b64 s[18:19], vcc
	s_cbranch_execz .LBB4_3595
; %bb.3588:                             ;   in Loop: Header=BB4_2679 Depth=2
	v_cmp_ne_u16_e32 vcc, s52, v50
	v_bfrev_b32_e32 v0, 1
	s_and_saveexec_b64 s[76:77], vcc
	s_cbranch_execz .LBB4_3594
; %bb.3589:                             ;   in Loop: Header=BB4_2679 Depth=2
	v_and_b32_e32 v0, 0x7c, v50
	v_and_b32_e32 v2, 3, v50
	v_cmp_ne_u32_e32 vcc, s50, v0
                                        ; implicit-def: $vgpr0
	s_and_saveexec_b64 s[78:79], vcc
	s_xor_b64 s[78:79], exec, s[78:79]
	s_cbranch_execz .LBB4_3591
; %bb.3590:                             ;   in Loop: Header=BB4_2679 Depth=2
	v_ffbh_u32_e32 v14, v2
	v_min_u32_e32 v26, 32, v14
	v_subrev_u32_e32 v14, 29, v26
	v_lshlrev_b64 v[14:15], v14, v[50:51]
	v_bfe_u32 v0, v50, 2, 5
	v_and_b32_e32 v14, 3, v14
	v_cmp_eq_u32_e32 vcc, 0, v0
	v_sub_u32_e32 v15, 30, v26
	v_cndmask_b32_e32 v2, v2, v14, vcc
	v_lshlrev_b32_e32 v14, 16, v12
	v_cndmask_b32_e32 v0, v0, v15, vcc
	v_and_b32_e32 v14, 0x80000000, v14
	v_lshl_add_u32 v0, v0, 23, v14
	v_lshl_or_b32 v0, v2, 21, v0
	v_add_u32_e32 v0, 0x38000000, v0
                                        ; implicit-def: $vgpr2
.LBB4_3591:                             ;   in Loop: Header=BB4_2679 Depth=2
	s_andn2_saveexec_b64 s[78:79], s[78:79]
; %bb.3592:                             ;   in Loop: Header=BB4_2679 Depth=2
	v_cmp_lt_i16_e32 vcc, -1, v12
	v_cndmask_b32_e32 v0, v5, v36, vcc
	v_cmp_eq_u32_e32 vcc, 0, v2
	v_cndmask_b32_e32 v0, v37, v0, vcc
; %bb.3593:                             ;   in Loop: Header=BB4_2679 Depth=2
	s_or_b64 exec, exec, s[78:79]
.LBB4_3594:                             ;   in Loop: Header=BB4_2679 Depth=2
	s_or_b64 exec, exec, s[76:77]
.LBB4_3595:                             ;   in Loop: Header=BB4_2679 Depth=2
	s_or_b64 exec, exec, s[18:19]
	v_mul_f32_e32 v0, v1, v0
	v_and_b32_e32 v1, 0x7f800000, v0
	v_mov_b32_e32 v2, v51
	v_cmp_ne_u64_e32 vcc, s[58:59], v[1:2]
	v_and_b32_e32 v50, 0x7fffff, v0
                                        ; implicit-def: $vgpr14
	s_and_saveexec_b64 s[18:19], vcc
	s_xor_b64 s[76:77], exec, s[18:19]
	s_cbranch_execz .LBB4_3609
; %bb.3596:                             ;   in Loop: Header=BB4_2679 Depth=2
	v_and_b32_e32 v1, 0x7fffffff, v0
	v_mov_b32_e32 v2, v51
	v_cmp_gt_u64_e32 vcc, s[60:61], v[1:2]
	v_and_b32_sdwa v15, v0, s52 dst_sel:DWORD dst_unused:UNUSED_PAD src0_sel:BYTE_3 src1_sel:DWORD
                                        ; implicit-def: $vgpr14
	s_and_saveexec_b64 s[18:19], vcc
	s_xor_b64 s[78:79], exec, s[18:19]
	s_cbranch_execz .LBB4_3606
; %bb.3597:                             ;   in Loop: Header=BB4_2679 Depth=2
	v_mov_b32_e32 v14, 0
	v_cmp_ne_u32_e32 vcc, 0, v0
	s_and_saveexec_b64 s[88:89], vcc
	s_cbranch_execz .LBB4_3605
; %bb.3598:                             ;   in Loop: Header=BB4_2679 Depth=2
	v_bfe_u32 v14, v0, 23, 8
	v_cmp_gt_u32_e64 s[18:19], s53, v14
	v_sub_u32_e32 v0, 0x71, v14
	v_cmp_eq_u32_e32 vcc, 0, v14
	v_cndmask_b32_e64 v0, 0, v0, s[18:19]
	v_mov_b32_e32 v2, 0x70
	v_cndmask_b32_e32 v40, v0, v2, vcc
	v_or_b32_e32 v1, 0x800000, v50
	v_add_u32_e32 v0, 21, v40
	v_cndmask_b32_e32 v50, v1, v50, vcc
	v_lshlrev_b64 v[0:1], v0, -1
	v_add_u32_e32 v2, 20, v40
	v_lshlrev_b64 v[41:42], v2, 1
	v_bfi_b32 v1, v1, 0, 0
	v_bfi_b32 v0, v0, 0, v50
	v_cmp_eq_u64_e64 s[18:19], v[0:1], v[41:42]
	v_lshrrev_b64 v[0:1], v40, v[50:51]
	v_mov_b32_e32 v2, v1
	v_mov_b32_e32 v1, v0
	s_and_saveexec_b64 s[90:91], s[18:19]
; %bb.3599:                             ;   in Loop: Header=BB4_2679 Depth=2
	v_bfe_u32 v1, v0, 21, 1
	v_add_co_u32_e64 v1, s[18:19], v0, v1
	v_add_co_u32_e64 v1, s[18:19], -1, v1
; %bb.3600:                             ;   in Loop: Header=BB4_2679 Depth=2
	s_or_b64 exec, exec, s[90:91]
	v_add_u32_e32 v2, 0xffffff81, v14
	v_mov_b32_e32 v14, 0xffffff82
	v_cndmask_b32_e32 v2, v2, v14, vcc
	v_lshrrev_b32_e32 v14, 23, v0
	v_add3_u32 v40, v40, v2, v14
	v_add_u32_e32 v14, 14, v40
	v_and_b32_e32 v1, 0x1fffff, v1
	v_add_u32_e32 v50, v1, v0
	v_cmp_ne_u32_e32 vcc, 0, v14
                                        ; implicit-def: $vgpr0_vgpr1
                                        ; implicit-def: $vgpr2
	s_and_saveexec_b64 s[18:19], vcc
	s_xor_b64 s[18:19], exec, s[18:19]
; %bb.3601:                             ;   in Loop: Header=BB4_2679 Depth=2
	v_cmp_lt_u64_e32 vcc, s[62:63], v[50:51]
	v_add_u32_e32 v0, 15, v40
	v_cndmask_b32_e32 v2, v14, v0, vcc
	v_cndmask_b32_e64 v0, 0, 1, vcc
	v_lshrrev_b64 v[0:1], v0, v[50:51]
; %bb.3602:                             ;   in Loop: Header=BB4_2679 Depth=2
	s_andn2_saveexec_b64 s[18:19], s[18:19]
; %bb.3603:                             ;   in Loop: Header=BB4_2679 Depth=2
	v_mov_b32_e32 v0, v50
	v_bfe_u32 v2, v50, 23, 1
	v_mov_b32_e32 v1, v51
; %bb.3604:                             ;   in Loop: Header=BB4_2679 Depth=2
	s_or_b64 exec, exec, s[18:19]
	v_lshrrev_b64 v[0:1], 21, v[0:1]
	v_cmp_gt_i32_e32 vcc, 32, v2
	v_cndmask_b32_e32 v1, 0, v1, vcc
	v_cndmask_b32_e32 v0, 3, v0, vcc
	v_cmp_eq_u64_e64 s[18:19], 0, v[0:1]
	v_min_i32_e32 v1, 31, v2
	v_lshlrev_b32_e32 v1, 2, v1
	v_cmp_eq_u32_e32 vcc, 0, v2
	v_and_b32_e32 v1, 0xfc, v1
	v_and_or_b32 v0, v0, 3, v1
	s_and_b64 s[18:19], vcc, s[18:19]
	v_cndmask_b32_e64 v0, v0, 0, s[18:19]
	v_or_b32_e32 v14, v0, v15
.LBB4_3605:                             ;   in Loop: Header=BB4_2679 Depth=2
	s_or_b64 exec, exec, s[88:89]
                                        ; implicit-def: $vgpr15
.LBB4_3606:                             ;   in Loop: Header=BB4_2679 Depth=2
	s_andn2_saveexec_b64 s[18:19], s[78:79]
; %bb.3607:                             ;   in Loop: Header=BB4_2679 Depth=2
	v_or_b32_e32 v14, 0x7b, v15
; %bb.3608:                             ;   in Loop: Header=BB4_2679 Depth=2
	s_or_b64 exec, exec, s[18:19]
                                        ; implicit-def: $vgpr0
.LBB4_3609:                             ;   in Loop: Header=BB4_2679 Depth=2
	s_andn2_saveexec_b64 s[18:19], s[76:77]
	s_cbranch_execz .LBB4_3615
; %bb.3610:                             ;   in Loop: Header=BB4_2679 Depth=2
	v_cmp_ne_u64_e32 vcc, 0, v[50:51]
                                        ; implicit-def: $vgpr14
	s_and_saveexec_b64 s[76:77], vcc
	s_xor_b64 s[76:77], exec, s[76:77]
; %bb.3611:                             ;   in Loop: Header=BB4_2679 Depth=2
	v_or_b32_sdwa v14, v0, s54 dst_sel:DWORD dst_unused:UNUSED_PAD src0_sel:BYTE_3 src1_sel:DWORD
                                        ; implicit-def: $vgpr0
; %bb.3612:                             ;   in Loop: Header=BB4_2679 Depth=2
	s_andn2_saveexec_b64 s[76:77], s[76:77]
; %bb.3613:                             ;   in Loop: Header=BB4_2679 Depth=2
	v_cmp_lt_i32_e32 vcc, -1, v0
	v_bfrev_b32_e32 v0, 0.5
	v_mov_b32_e32 v1, 0x7c
	v_cndmask_b32_e32 v14, v0, v1, vcc
; %bb.3614:                             ;   in Loop: Header=BB4_2679 Depth=2
	s_or_b64 exec, exec, s[76:77]
.LBB4_3615:                             ;   in Loop: Header=BB4_2679 Depth=2
	s_or_b64 exec, exec, s[18:19]
	v_lshrrev_b32_e32 v0, 16, v16
	v_cmp_ne_u16_sdwa s[76:77], v0, v51 src0_sel:BYTE_0 src1_sel:DWORD
	v_mov_b32_e32 v1, 0
	v_mov_b32_e32 v2, 0
	s_and_saveexec_b64 s[18:19], s[76:77]
	s_cbranch_execz .LBB4_3623
; %bb.3616:                             ;   in Loop: Header=BB4_2679 Depth=2
	v_cmp_ne_u16_sdwa s[78:79], v0, s52 src0_sel:BYTE_0 src1_sel:DWORD
	v_bfrev_b32_e32 v2, 1
	s_and_saveexec_b64 s[76:77], s[78:79]
	s_cbranch_execz .LBB4_3622
; %bb.3617:                             ;   in Loop: Header=BB4_2679 Depth=2
	v_and_b32_e32 v2, 0x7c0000, v16
	v_bfe_u32 v15, v16, 16, 2
	v_cmp_ne_u32_e32 vcc, s55, v2
                                        ; implicit-def: $vgpr2
	s_and_saveexec_b64 s[78:79], vcc
	s_xor_b64 s[78:79], exec, s[78:79]
	s_cbranch_execz .LBB4_3619
; %bb.3618:                             ;   in Loop: Header=BB4_2679 Depth=2
	v_ffbh_u32_e32 v26, v15
	v_min_u32_e32 v26, 32, v26
	v_subrev_u32_e32 v27, 29, v26
	v_lshlrev_b64 v[40:41], v27, v[0:1]
	v_bfe_u32 v2, v16, 18, 5
	v_sub_u32_e32 v0, 30, v26
	v_and_b32_e32 v26, 3, v40
	v_cmp_eq_u32_e32 vcc, 0, v2
	v_cndmask_b32_e32 v0, v2, v0, vcc
	v_cndmask_b32_e32 v2, v15, v26, vcc
	v_lshlrev_b32_e32 v15, 8, v16
	v_and_b32_e32 v15, 0x80000000, v15
	v_lshl_add_u32 v0, v0, 23, v15
	v_lshl_or_b32 v0, v2, 21, v0
	v_add_u32_e32 v2, 0x38000000, v0
                                        ; implicit-def: $vgpr15
                                        ; implicit-def: $vgpr0
.LBB4_3619:                             ;   in Loop: Header=BB4_2679 Depth=2
	s_andn2_saveexec_b64 s[78:79], s[78:79]
; %bb.3620:                             ;   in Loop: Header=BB4_2679 Depth=2
	v_cmp_gt_i16_sdwa vcc, sext(v0), v43 src0_sel:BYTE_0 src1_sel:DWORD
	v_cndmask_b32_e32 v0, v5, v36, vcc
	v_cmp_eq_u32_e32 vcc, 0, v15
	v_cndmask_b32_e32 v2, v37, v0, vcc
; %bb.3621:                             ;   in Loop: Header=BB4_2679 Depth=2
	s_or_b64 exec, exec, s[78:79]
.LBB4_3622:                             ;   in Loop: Header=BB4_2679 Depth=2
	s_or_b64 exec, exec, s[76:77]
.LBB4_3623:                             ;   in Loop: Header=BB4_2679 Depth=2
	s_or_b64 exec, exec, s[18:19]
	v_lshrrev_b32_e32 v0, 16, v12
	v_cmp_ne_u16_sdwa s[76:77], v0, v51 src0_sel:BYTE_0 src1_sel:DWORD
	s_and_saveexec_b64 s[18:19], s[76:77]
	s_cbranch_execz .LBB4_3631
; %bb.3624:                             ;   in Loop: Header=BB4_2679 Depth=2
	v_cmp_ne_u16_sdwa s[78:79], v0, s52 src0_sel:BYTE_0 src1_sel:DWORD
	v_bfrev_b32_e32 v1, 1
	s_and_saveexec_b64 s[76:77], s[78:79]
	s_cbranch_execz .LBB4_3630
; %bb.3625:                             ;   in Loop: Header=BB4_2679 Depth=2
	v_and_b32_e32 v1, 0x7c0000, v12
	v_bfe_u32 v15, v12, 16, 2
	v_cmp_ne_u32_e32 vcc, s55, v1
                                        ; implicit-def: $vgpr1
	s_and_saveexec_b64 s[78:79], vcc
	s_xor_b64 s[78:79], exec, s[78:79]
	s_cbranch_execz .LBB4_3627
; %bb.3626:                             ;   in Loop: Header=BB4_2679 Depth=2
	v_ffbh_u32_e32 v1, v15
	v_min_u32_e32 v27, 32, v1
	v_subrev_u32_e32 v1, 29, v27
	v_lshlrev_b64 v[0:1], v1, v[0:1]
	v_bfe_u32 v26, v12, 18, 5
	v_and_b32_e32 v0, 3, v0
	v_cmp_eq_u32_e32 vcc, 0, v26
	v_sub_u32_e32 v1, 30, v27
	v_cndmask_b32_e32 v0, v15, v0, vcc
	v_lshlrev_b32_e32 v15, 8, v12
	v_cndmask_b32_e32 v1, v26, v1, vcc
	v_and_b32_e32 v15, 0x80000000, v15
	v_lshl_add_u32 v1, v1, 23, v15
	v_lshl_or_b32 v0, v0, 21, v1
	v_add_u32_e32 v1, 0x38000000, v0
                                        ; implicit-def: $vgpr15
                                        ; implicit-def: $vgpr0
.LBB4_3627:                             ;   in Loop: Header=BB4_2679 Depth=2
	s_andn2_saveexec_b64 s[78:79], s[78:79]
; %bb.3628:                             ;   in Loop: Header=BB4_2679 Depth=2
	v_cmp_gt_i16_sdwa vcc, sext(v0), v43 src0_sel:BYTE_0 src1_sel:DWORD
	v_cndmask_b32_e32 v0, v5, v36, vcc
	v_cmp_eq_u32_e32 vcc, 0, v15
	v_cndmask_b32_e32 v1, v37, v0, vcc
; %bb.3629:                             ;   in Loop: Header=BB4_2679 Depth=2
	s_or_b64 exec, exec, s[78:79]
.LBB4_3630:                             ;   in Loop: Header=BB4_2679 Depth=2
	s_or_b64 exec, exec, s[76:77]
.LBB4_3631:                             ;   in Loop: Header=BB4_2679 Depth=2
	s_or_b64 exec, exec, s[18:19]
	v_mul_f32_e32 v0, v2, v1
	v_and_b32_e32 v1, 0x7f800000, v0
	v_mov_b32_e32 v2, v51
	v_cmp_ne_u64_e32 vcc, s[58:59], v[1:2]
	v_and_b32_e32 v50, 0x7fffff, v0
                                        ; implicit-def: $vgpr15
	s_and_saveexec_b64 s[18:19], vcc
	s_xor_b64 s[76:77], exec, s[18:19]
	s_cbranch_execz .LBB4_3645
; %bb.3632:                             ;   in Loop: Header=BB4_2679 Depth=2
	v_and_b32_e32 v1, 0x7fffffff, v0
	v_mov_b32_e32 v2, v51
	v_cmp_gt_u64_e32 vcc, s[60:61], v[1:2]
	v_and_b32_sdwa v40, v0, s52 dst_sel:DWORD dst_unused:UNUSED_PAD src0_sel:BYTE_3 src1_sel:DWORD
                                        ; implicit-def: $vgpr15
	s_and_saveexec_b64 s[18:19], vcc
	s_xor_b64 s[78:79], exec, s[18:19]
	s_cbranch_execz .LBB4_3642
; %bb.3633:                             ;   in Loop: Header=BB4_2679 Depth=2
	v_mov_b32_e32 v15, 0
	v_cmp_ne_u32_e32 vcc, 0, v0
	s_and_saveexec_b64 s[88:89], vcc
	s_cbranch_execz .LBB4_3641
; %bb.3634:                             ;   in Loop: Header=BB4_2679 Depth=2
	v_bfe_u32 v15, v0, 23, 8
	v_cmp_gt_u32_e64 s[18:19], s53, v15
	v_sub_u32_e32 v0, 0x71, v15
	v_cmp_eq_u32_e32 vcc, 0, v15
	v_cndmask_b32_e64 v0, 0, v0, s[18:19]
	v_mov_b32_e32 v2, 0x70
	v_cndmask_b32_e32 v41, v0, v2, vcc
	v_or_b32_e32 v1, 0x800000, v50
	v_add_u32_e32 v0, 21, v41
	v_cndmask_b32_e32 v50, v1, v50, vcc
	v_lshlrev_b64 v[0:1], v0, -1
	v_add_u32_e32 v2, 20, v41
	v_lshlrev_b64 v[42:43], v2, 1
	v_bfi_b32 v1, v1, 0, 0
	v_bfi_b32 v0, v0, 0, v50
	v_cmp_eq_u64_e64 s[18:19], v[0:1], v[42:43]
	v_lshrrev_b64 v[0:1], v41, v[50:51]
	v_mov_b32_e32 v2, v1
	v_mov_b32_e32 v1, v0
	s_and_saveexec_b64 s[90:91], s[18:19]
; %bb.3635:                             ;   in Loop: Header=BB4_2679 Depth=2
	v_bfe_u32 v1, v0, 21, 1
	v_add_co_u32_e64 v1, s[18:19], v0, v1
	v_add_co_u32_e64 v1, s[18:19], -1, v1
; %bb.3636:                             ;   in Loop: Header=BB4_2679 Depth=2
	s_or_b64 exec, exec, s[90:91]
	v_add_u32_e32 v2, 0xffffff81, v15
	v_mov_b32_e32 v15, 0xffffff82
	v_cndmask_b32_e32 v2, v2, v15, vcc
	v_lshrrev_b32_e32 v15, 23, v0
	v_add3_u32 v41, v41, v2, v15
	v_add_u32_e32 v15, 14, v41
	v_and_b32_e32 v1, 0x1fffff, v1
	v_add_u32_e32 v50, v1, v0
	v_cmp_ne_u32_e32 vcc, 0, v15
                                        ; implicit-def: $vgpr0_vgpr1
                                        ; implicit-def: $vgpr2
	s_and_saveexec_b64 s[18:19], vcc
	s_xor_b64 s[18:19], exec, s[18:19]
; %bb.3637:                             ;   in Loop: Header=BB4_2679 Depth=2
	v_cmp_lt_u64_e32 vcc, s[62:63], v[50:51]
	v_add_u32_e32 v0, 15, v41
	v_cndmask_b32_e32 v2, v15, v0, vcc
	v_cndmask_b32_e64 v0, 0, 1, vcc
	v_lshrrev_b64 v[0:1], v0, v[50:51]
; %bb.3638:                             ;   in Loop: Header=BB4_2679 Depth=2
	s_or_saveexec_b64 s[18:19], s[18:19]
	v_mov_b32_e32 v43, -1
	s_xor_b64 exec, exec, s[18:19]
; %bb.3639:                             ;   in Loop: Header=BB4_2679 Depth=2
	v_mov_b32_e32 v0, v50
	v_bfe_u32 v2, v50, 23, 1
	v_mov_b32_e32 v1, v51
; %bb.3640:                             ;   in Loop: Header=BB4_2679 Depth=2
	s_or_b64 exec, exec, s[18:19]
	v_lshrrev_b64 v[0:1], 21, v[0:1]
	v_cmp_gt_i32_e32 vcc, 32, v2
	v_cndmask_b32_e32 v1, 0, v1, vcc
	v_cndmask_b32_e32 v0, 3, v0, vcc
	v_cmp_eq_u64_e64 s[18:19], 0, v[0:1]
	v_min_i32_e32 v1, 31, v2
	v_lshlrev_b32_e32 v1, 2, v1
	v_cmp_eq_u32_e32 vcc, 0, v2
	v_and_b32_e32 v1, 0xfc, v1
	v_and_or_b32 v0, v0, 3, v1
	s_and_b64 s[18:19], vcc, s[18:19]
	v_cndmask_b32_e64 v0, v0, 0, s[18:19]
	v_or_b32_e32 v15, v0, v40
.LBB4_3641:                             ;   in Loop: Header=BB4_2679 Depth=2
	s_or_b64 exec, exec, s[88:89]
                                        ; implicit-def: $vgpr40
.LBB4_3642:                             ;   in Loop: Header=BB4_2679 Depth=2
	s_andn2_saveexec_b64 s[18:19], s[78:79]
; %bb.3643:                             ;   in Loop: Header=BB4_2679 Depth=2
	v_or_b32_e32 v15, 0x7b, v40
; %bb.3644:                             ;   in Loop: Header=BB4_2679 Depth=2
	s_or_b64 exec, exec, s[18:19]
                                        ; implicit-def: $vgpr0
.LBB4_3645:                             ;   in Loop: Header=BB4_2679 Depth=2
	s_andn2_saveexec_b64 s[18:19], s[76:77]
	s_cbranch_execz .LBB4_3651
; %bb.3646:                             ;   in Loop: Header=BB4_2679 Depth=2
	v_cmp_ne_u64_e32 vcc, 0, v[50:51]
                                        ; implicit-def: $vgpr15
	s_and_saveexec_b64 s[76:77], vcc
	s_xor_b64 s[76:77], exec, s[76:77]
; %bb.3647:                             ;   in Loop: Header=BB4_2679 Depth=2
	v_or_b32_sdwa v15, v0, s54 dst_sel:DWORD dst_unused:UNUSED_PAD src0_sel:BYTE_3 src1_sel:DWORD
                                        ; implicit-def: $vgpr0
; %bb.3648:                             ;   in Loop: Header=BB4_2679 Depth=2
	s_andn2_saveexec_b64 s[76:77], s[76:77]
; %bb.3649:                             ;   in Loop: Header=BB4_2679 Depth=2
	v_cmp_lt_i32_e32 vcc, -1, v0
	v_bfrev_b32_e32 v0, 0.5
	v_mov_b32_e32 v1, 0x7c
	v_cndmask_b32_e32 v15, v0, v1, vcc
; %bb.3650:                             ;   in Loop: Header=BB4_2679 Depth=2
	s_or_b64 exec, exec, s[76:77]
.LBB4_3651:                             ;   in Loop: Header=BB4_2679 Depth=2
	s_or_b64 exec, exec, s[18:19]
	v_cmp_lt_u32_e32 vcc, s57, v16
	v_mov_b32_e32 v1, 0
	v_mov_b32_e32 v2, 0
	s_and_saveexec_b64 s[18:19], vcc
	s_cbranch_execz .LBB4_3659
; %bb.3652:                             ;   in Loop: Header=BB4_2679 Depth=2
	v_lshrrev_b32_e32 v0, 24, v16
	v_cmp_ne_u32_e32 vcc, s52, v0
	v_bfrev_b32_e32 v2, 1
	s_and_saveexec_b64 s[76:77], vcc
	s_cbranch_execz .LBB4_3658
; %bb.3653:                             ;   in Loop: Header=BB4_2679 Depth=2
	v_and_b32_e32 v2, 0x7c000000, v16
	v_bfe_u32 v50, v16, 24, 2
	v_cmp_ne_u32_e32 vcc, s64, v2
                                        ; implicit-def: $vgpr2
	s_and_saveexec_b64 s[78:79], vcc
	s_xor_b64 s[78:79], exec, s[78:79]
	s_cbranch_execz .LBB4_3655
; %bb.3654:                             ;   in Loop: Header=BB4_2679 Depth=2
	v_ffbh_u32_e32 v26, v50
	v_min_u32_e32 v26, 32, v26
	v_subrev_u32_e32 v27, 29, v26
	v_lshlrev_b64 v[40:41], v27, v[0:1]
	v_bfe_u32 v2, v16, 26, 5
	v_sub_u32_e32 v0, 30, v26
	v_and_b32_e32 v26, 3, v40
	v_cmp_eq_u32_e32 vcc, 0, v2
	v_cndmask_b32_e32 v0, v2, v0, vcc
	v_cndmask_b32_e32 v2, v50, v26, vcc
	v_and_b32_e32 v26, 0x80000000, v16
	v_lshl_add_u32 v0, v0, 23, v26
	v_lshl_or_b32 v0, v2, 21, v0
	v_add_u32_e32 v2, 0x38000000, v0
                                        ; implicit-def: $vgpr50
.LBB4_3655:                             ;   in Loop: Header=BB4_2679 Depth=2
	s_andn2_saveexec_b64 s[78:79], s[78:79]
; %bb.3656:                             ;   in Loop: Header=BB4_2679 Depth=2
	v_cmp_lt_i32_e32 vcc, -1, v16
	v_cndmask_b32_e32 v0, v5, v36, vcc
	v_cmp_eq_u32_e32 vcc, 0, v50
	v_cndmask_b32_e32 v2, v37, v0, vcc
; %bb.3657:                             ;   in Loop: Header=BB4_2679 Depth=2
	s_or_b64 exec, exec, s[78:79]
.LBB4_3658:                             ;   in Loop: Header=BB4_2679 Depth=2
	s_or_b64 exec, exec, s[76:77]
.LBB4_3659:                             ;   in Loop: Header=BB4_2679 Depth=2
	s_or_b64 exec, exec, s[18:19]
	v_cmp_lt_u32_e32 vcc, s57, v12
	s_and_saveexec_b64 s[18:19], vcc
	s_cbranch_execz .LBB4_3667
; %bb.3660:                             ;   in Loop: Header=BB4_2679 Depth=2
	v_lshrrev_b32_e32 v0, 24, v12
	v_cmp_ne_u32_e32 vcc, s52, v0
	v_bfrev_b32_e32 v1, 1
	s_and_saveexec_b64 s[76:77], vcc
	s_cbranch_execz .LBB4_3666
; %bb.3661:                             ;   in Loop: Header=BB4_2679 Depth=2
	v_and_b32_e32 v1, 0x7c000000, v12
	v_bfe_u32 v50, v12, 24, 2
	v_cmp_ne_u32_e32 vcc, s64, v1
                                        ; implicit-def: $vgpr1
	s_and_saveexec_b64 s[78:79], vcc
	s_xor_b64 s[78:79], exec, s[78:79]
	s_cbranch_execz .LBB4_3663
; %bb.3662:                             ;   in Loop: Header=BB4_2679 Depth=2
	v_ffbh_u32_e32 v1, v50
	v_min_u32_e32 v27, 32, v1
	v_subrev_u32_e32 v1, 29, v27
	v_bfe_u32 v26, v12, 26, 5
	v_lshlrev_b64 v[0:1], v1, v[0:1]
	v_sub_u32_e32 v1, 30, v27
	v_cmp_eq_u32_e32 vcc, 0, v26
	v_and_b32_e32 v0, 3, v0
	v_cndmask_b32_e32 v1, v26, v1, vcc
	v_and_b32_e32 v26, 0x80000000, v12
	v_cndmask_b32_e32 v0, v50, v0, vcc
	v_lshl_add_u32 v1, v1, 23, v26
	v_lshl_or_b32 v0, v0, 21, v1
	v_add_u32_e32 v1, 0x38000000, v0
                                        ; implicit-def: $vgpr50
.LBB4_3663:                             ;   in Loop: Header=BB4_2679 Depth=2
	s_andn2_saveexec_b64 s[78:79], s[78:79]
; %bb.3664:                             ;   in Loop: Header=BB4_2679 Depth=2
	v_cmp_lt_i32_e32 vcc, -1, v12
	v_cndmask_b32_e32 v0, v5, v36, vcc
	v_cmp_eq_u32_e32 vcc, 0, v50
	v_cndmask_b32_e32 v1, v37, v0, vcc
; %bb.3665:                             ;   in Loop: Header=BB4_2679 Depth=2
	s_or_b64 exec, exec, s[78:79]
.LBB4_3666:                             ;   in Loop: Header=BB4_2679 Depth=2
	s_or_b64 exec, exec, s[76:77]
.LBB4_3667:                             ;   in Loop: Header=BB4_2679 Depth=2
	s_or_b64 exec, exec, s[18:19]
	v_mul_f32_e32 v0, v2, v1
	v_and_b32_e32 v1, 0x7f800000, v0
	v_mov_b32_e32 v2, v51
	v_cmp_ne_u64_e32 vcc, s[58:59], v[1:2]
	v_and_b32_e32 v50, 0x7fffff, v0
                                        ; implicit-def: $vgpr60
	s_and_saveexec_b64 s[18:19], vcc
	s_xor_b64 s[76:77], exec, s[18:19]
	s_cbranch_execz .LBB4_3681
; %bb.3668:                             ;   in Loop: Header=BB4_2679 Depth=2
	v_and_b32_e32 v1, 0x7fffffff, v0
	v_mov_b32_e32 v2, v51
	v_cmp_gt_u64_e32 vcc, s[60:61], v[1:2]
	v_and_b32_sdwa v40, v0, s52 dst_sel:DWORD dst_unused:UNUSED_PAD src0_sel:BYTE_3 src1_sel:DWORD
                                        ; implicit-def: $vgpr60
	s_and_saveexec_b64 s[18:19], vcc
	s_xor_b64 s[78:79], exec, s[18:19]
	s_cbranch_execz .LBB4_3678
; %bb.3669:                             ;   in Loop: Header=BB4_2679 Depth=2
	v_mov_b32_e32 v60, 0
	v_cmp_ne_u32_e32 vcc, 0, v0
	s_and_saveexec_b64 s[88:89], vcc
	s_cbranch_execz .LBB4_3677
; %bb.3670:                             ;   in Loop: Header=BB4_2679 Depth=2
	v_bfe_u32 v41, v0, 23, 8
	v_cmp_gt_u32_e64 s[18:19], s53, v41
	v_sub_u32_e32 v0, 0x71, v41
	v_cmp_eq_u32_e32 vcc, 0, v41
	v_cndmask_b32_e64 v0, 0, v0, s[18:19]
	v_mov_b32_e32 v2, 0x70
	v_cndmask_b32_e32 v60, v0, v2, vcc
	v_or_b32_e32 v1, 0x800000, v50
	v_add_u32_e32 v0, 21, v60
	v_cndmask_b32_e32 v50, v1, v50, vcc
	v_lshlrev_b64 v[0:1], v0, -1
	v_add_u32_e32 v2, 20, v60
	v_lshlrev_b64 v[42:43], v2, 1
	v_bfi_b32 v1, v1, 0, 0
	v_bfi_b32 v0, v0, 0, v50
	v_cmp_eq_u64_e64 s[18:19], v[0:1], v[42:43]
	v_lshrrev_b64 v[0:1], v60, v[50:51]
	v_mov_b32_e32 v2, v1
	v_mov_b32_e32 v1, v0
	s_and_saveexec_b64 s[90:91], s[18:19]
; %bb.3671:                             ;   in Loop: Header=BB4_2679 Depth=2
	v_bfe_u32 v1, v0, 21, 1
	v_add_co_u32_e64 v1, s[18:19], v0, v1
	v_add_co_u32_e64 v1, s[18:19], -1, v1
; %bb.3672:                             ;   in Loop: Header=BB4_2679 Depth=2
	s_or_b64 exec, exec, s[90:91]
	v_add_u32_e32 v2, 0xffffff81, v41
	v_mov_b32_e32 v26, 0xffffff82
	v_cndmask_b32_e32 v2, v2, v26, vcc
	v_lshrrev_b32_e32 v26, 23, v0
	v_add3_u32 v42, v60, v2, v26
	v_add_u32_e32 v41, 14, v42
	v_and_b32_e32 v1, 0x1fffff, v1
	v_add_u32_e32 v50, v1, v0
	v_cmp_ne_u32_e32 vcc, 0, v41
                                        ; implicit-def: $vgpr0_vgpr1
                                        ; implicit-def: $vgpr2
	s_and_saveexec_b64 s[18:19], vcc
	s_xor_b64 s[18:19], exec, s[18:19]
; %bb.3673:                             ;   in Loop: Header=BB4_2679 Depth=2
	v_cmp_lt_u64_e32 vcc, s[62:63], v[50:51]
	v_add_u32_e32 v0, 15, v42
	v_cndmask_b32_e32 v2, v41, v0, vcc
	v_cndmask_b32_e64 v0, 0, 1, vcc
	v_lshrrev_b64 v[0:1], v0, v[50:51]
; %bb.3674:                             ;   in Loop: Header=BB4_2679 Depth=2
	s_or_saveexec_b64 s[18:19], s[18:19]
	v_mov_b32_e32 v43, -1
	s_xor_b64 exec, exec, s[18:19]
; %bb.3675:                             ;   in Loop: Header=BB4_2679 Depth=2
	v_mov_b32_e32 v0, v50
	v_bfe_u32 v2, v50, 23, 1
	v_mov_b32_e32 v1, v51
; %bb.3676:                             ;   in Loop: Header=BB4_2679 Depth=2
	s_or_b64 exec, exec, s[18:19]
	v_lshrrev_b64 v[0:1], 21, v[0:1]
	v_cmp_gt_i32_e32 vcc, 32, v2
	v_cndmask_b32_e32 v1, 0, v1, vcc
	v_cndmask_b32_e32 v0, 3, v0, vcc
	v_cmp_eq_u64_e64 s[18:19], 0, v[0:1]
	v_min_i32_e32 v1, 31, v2
	v_lshlrev_b32_e32 v1, 2, v1
	v_cmp_eq_u32_e32 vcc, 0, v2
	v_and_b32_e32 v1, 0xfc, v1
	v_and_or_b32 v0, v0, 3, v1
	s_and_b64 s[18:19], vcc, s[18:19]
	v_cndmask_b32_e64 v0, v0, 0, s[18:19]
	v_or_b32_e32 v60, v0, v40
.LBB4_3677:                             ;   in Loop: Header=BB4_2679 Depth=2
	s_or_b64 exec, exec, s[88:89]
                                        ; implicit-def: $vgpr40
.LBB4_3678:                             ;   in Loop: Header=BB4_2679 Depth=2
	s_andn2_saveexec_b64 s[18:19], s[78:79]
; %bb.3679:                             ;   in Loop: Header=BB4_2679 Depth=2
	v_or_b32_e32 v60, 0x7b, v40
; %bb.3680:                             ;   in Loop: Header=BB4_2679 Depth=2
	s_or_b64 exec, exec, s[18:19]
                                        ; implicit-def: $vgpr0
.LBB4_3681:                             ;   in Loop: Header=BB4_2679 Depth=2
	s_andn2_saveexec_b64 s[18:19], s[76:77]
	s_cbranch_execz .LBB4_3687
; %bb.3682:                             ;   in Loop: Header=BB4_2679 Depth=2
	v_cmp_ne_u64_e32 vcc, 0, v[50:51]
                                        ; implicit-def: $vgpr60
	s_and_saveexec_b64 s[76:77], vcc
	s_xor_b64 s[76:77], exec, s[76:77]
; %bb.3683:                             ;   in Loop: Header=BB4_2679 Depth=2
	v_or_b32_sdwa v60, v0, s54 dst_sel:DWORD dst_unused:UNUSED_PAD src0_sel:BYTE_3 src1_sel:DWORD
                                        ; implicit-def: $vgpr0
; %bb.3684:                             ;   in Loop: Header=BB4_2679 Depth=2
	s_andn2_saveexec_b64 s[76:77], s[76:77]
; %bb.3685:                             ;   in Loop: Header=BB4_2679 Depth=2
	v_cmp_lt_i32_e32 vcc, -1, v0
	v_bfrev_b32_e32 v0, 0.5
	v_mov_b32_e32 v1, 0x7c
	v_cndmask_b32_e32 v60, v0, v1, vcc
; %bb.3686:                             ;   in Loop: Header=BB4_2679 Depth=2
	s_or_b64 exec, exec, s[76:77]
.LBB4_3687:                             ;   in Loop: Header=BB4_2679 Depth=2
	s_or_b64 exec, exec, s[18:19]
	v_mov_b32_e32 v50, v17
	v_cmp_ne_u16_sdwa s[76:77], v17, v51 src0_sel:BYTE_0 src1_sel:DWORD
	v_mov_b32_e32 v1, 0
	v_mov_b32_e32 v0, 0
	s_and_saveexec_b64 s[18:19], s[76:77]
	s_cbranch_execz .LBB4_3695
; %bb.3688:                             ;   in Loop: Header=BB4_2679 Depth=2
	v_cmp_ne_u16_sdwa s[78:79], v17, s52 src0_sel:BYTE_0 src1_sel:DWORD
	v_bfrev_b32_e32 v0, 1
	s_and_saveexec_b64 s[76:77], s[78:79]
	s_cbranch_execz .LBB4_3694
; %bb.3689:                             ;   in Loop: Header=BB4_2679 Depth=2
	v_and_b32_e32 v0, 0x7c, v17
	v_and_b32_e32 v2, 3, v17
	v_cmp_ne_u32_e32 vcc, s50, v0
                                        ; implicit-def: $vgpr0
	s_and_saveexec_b64 s[78:79], vcc
	s_xor_b64 s[78:79], exec, s[78:79]
	s_cbranch_execz .LBB4_3691
; %bb.3690:                             ;   in Loop: Header=BB4_2679 Depth=2
	v_ffbh_u32_e32 v26, v2
	v_min_u32_e32 v26, 32, v26
	v_bfe_u32 v0, v17, 2, 5
	v_subrev_u32_e32 v27, 29, v26
	v_lshlrev_b64 v[40:41], v27, v[50:51]
	v_sub_u32_e32 v26, 30, v26
	v_cmp_eq_u32_e32 vcc, 0, v0
	v_cndmask_b32_e32 v0, v0, v26, vcc
	v_lshlrev_b32_e32 v26, 24, v17
	v_and_b32_e32 v27, 3, v40
	v_and_b32_e32 v26, 0x80000000, v26
	v_cndmask_b32_e32 v2, v2, v27, vcc
	v_lshl_add_u32 v0, v0, 23, v26
	v_lshl_or_b32 v0, v2, 21, v0
	v_add_u32_e32 v0, 0x38000000, v0
                                        ; implicit-def: $vgpr2
.LBB4_3691:                             ;   in Loop: Header=BB4_2679 Depth=2
	s_andn2_saveexec_b64 s[78:79], s[78:79]
; %bb.3692:                             ;   in Loop: Header=BB4_2679 Depth=2
	v_cmp_gt_i16_sdwa vcc, sext(v17), v43 src0_sel:BYTE_0 src1_sel:DWORD
	v_cndmask_b32_e32 v0, v5, v36, vcc
	v_cmp_eq_u32_e32 vcc, 0, v2
	v_cndmask_b32_e32 v0, v37, v0, vcc
; %bb.3693:                             ;   in Loop: Header=BB4_2679 Depth=2
	s_or_b64 exec, exec, s[78:79]
.LBB4_3694:                             ;   in Loop: Header=BB4_2679 Depth=2
	s_or_b64 exec, exec, s[76:77]
.LBB4_3695:                             ;   in Loop: Header=BB4_2679 Depth=2
	s_or_b64 exec, exec, s[18:19]
	v_cmp_ne_u16_sdwa s[76:77], v13, v51 src0_sel:BYTE_0 src1_sel:DWORD
	s_and_saveexec_b64 s[18:19], s[76:77]
	s_cbranch_execz .LBB4_3703
; %bb.3696:                             ;   in Loop: Header=BB4_2679 Depth=2
	v_cmp_ne_u16_sdwa s[78:79], v13, s52 src0_sel:BYTE_0 src1_sel:DWORD
	v_bfrev_b32_e32 v1, 1
	s_and_saveexec_b64 s[76:77], s[78:79]
	s_cbranch_execz .LBB4_3702
; %bb.3697:                             ;   in Loop: Header=BB4_2679 Depth=2
	v_and_b32_e32 v1, 0x7c, v13
	v_and_b32_e32 v2, 3, v13
	v_cmp_ne_u32_e32 vcc, s50, v1
                                        ; implicit-def: $vgpr1
	s_and_saveexec_b64 s[78:79], vcc
	s_xor_b64 s[78:79], exec, s[78:79]
	s_cbranch_execz .LBB4_3699
; %bb.3698:                             ;   in Loop: Header=BB4_2679 Depth=2
	v_ffbh_u32_e32 v26, v2
	v_min_u32_e32 v26, 32, v26
	v_mov_b32_e32 v40, v13
	v_mov_b32_e32 v41, v51
	v_bfe_u32 v1, v13, 2, 5
	v_subrev_u32_e32 v27, 29, v26
	v_lshlrev_b64 v[40:41], v27, v[40:41]
	v_sub_u32_e32 v26, 30, v26
	v_cmp_eq_u32_e32 vcc, 0, v1
	v_cndmask_b32_e32 v1, v1, v26, vcc
	v_lshlrev_b32_e32 v26, 24, v13
	v_and_b32_e32 v27, 3, v40
	v_and_b32_e32 v26, 0x80000000, v26
	v_cndmask_b32_e32 v2, v2, v27, vcc
	v_lshl_add_u32 v1, v1, 23, v26
	v_lshl_or_b32 v1, v2, 21, v1
	v_add_u32_e32 v1, 0x38000000, v1
                                        ; implicit-def: $vgpr2
.LBB4_3699:                             ;   in Loop: Header=BB4_2679 Depth=2
	s_andn2_saveexec_b64 s[78:79], s[78:79]
; %bb.3700:                             ;   in Loop: Header=BB4_2679 Depth=2
	v_cmp_gt_i16_sdwa vcc, sext(v13), v43 src0_sel:BYTE_0 src1_sel:DWORD
	v_cndmask_b32_e32 v1, v5, v36, vcc
	v_cmp_eq_u32_e32 vcc, 0, v2
	v_cndmask_b32_e32 v1, v37, v1, vcc
; %bb.3701:                             ;   in Loop: Header=BB4_2679 Depth=2
	s_or_b64 exec, exec, s[78:79]
.LBB4_3702:                             ;   in Loop: Header=BB4_2679 Depth=2
	s_or_b64 exec, exec, s[76:77]
.LBB4_3703:                             ;   in Loop: Header=BB4_2679 Depth=2
	s_or_b64 exec, exec, s[18:19]
	v_mul_f32_e32 v2, v0, v1
	v_and_b32_e32 v40, 0x7f800000, v2
	v_mov_b32_e32 v41, v51
	v_cmp_ne_u64_e32 vcc, s[58:59], v[40:41]
	v_and_b32_e32 v0, 0x7fffff, v2
	v_mov_b32_e32 v1, v51
                                        ; implicit-def: $vgpr61
	s_and_saveexec_b64 s[18:19], vcc
	s_xor_b64 s[76:77], exec, s[18:19]
	s_cbranch_execz .LBB4_3717
; %bb.3704:                             ;   in Loop: Header=BB4_2679 Depth=2
	v_and_b32_e32 v40, 0x7fffffff, v2
	v_mov_b32_e32 v41, v51
	v_cmp_gt_u64_e32 vcc, s[60:61], v[40:41]
	v_and_b32_sdwa v40, v2, s52 dst_sel:DWORD dst_unused:UNUSED_PAD src0_sel:BYTE_3 src1_sel:DWORD
                                        ; implicit-def: $vgpr61
	s_and_saveexec_b64 s[18:19], vcc
	s_xor_b64 s[78:79], exec, s[18:19]
	s_cbranch_execz .LBB4_3714
; %bb.3705:                             ;   in Loop: Header=BB4_2679 Depth=2
	v_mov_b32_e32 v61, 0
	v_cmp_ne_u32_e32 vcc, 0, v2
	s_and_saveexec_b64 s[88:89], vcc
	s_cbranch_execz .LBB4_3713
; %bb.3706:                             ;   in Loop: Header=BB4_2679 Depth=2
	v_bfe_u32 v41, v2, 23, 8
	v_cmp_gt_u32_e64 s[18:19], s53, v41
	v_sub_u32_e32 v2, 0x71, v41
	v_cmp_eq_u32_e32 vcc, 0, v41
	v_cndmask_b32_e64 v2, 0, v2, s[18:19]
	v_mov_b32_e32 v27, 0x70
	v_cndmask_b32_e32 v61, v2, v27, vcc
	v_add_u32_e32 v2, 21, v61
	v_or_b32_e32 v26, 0x800000, v0
	v_lshlrev_b64 v[42:43], v2, -1
	v_cndmask_b32_e32 v0, v26, v0, vcc
	v_add_u32_e32 v2, 20, v61
	v_bfi_b32 v42, v42, 0, v0
	v_lshlrev_b64 v[26:27], v2, 1
	v_lshrrev_b64 v[0:1], v61, v[0:1]
	v_bfi_b32 v43, v43, 0, 0
	v_cmp_eq_u64_e64 s[18:19], v[42:43], v[26:27]
	v_mov_b32_e32 v2, v1
	v_mov_b32_e32 v1, v0
	s_and_saveexec_b64 s[90:91], s[18:19]
; %bb.3707:                             ;   in Loop: Header=BB4_2679 Depth=2
	v_bfe_u32 v1, v0, 21, 1
	v_add_co_u32_e64 v1, s[18:19], v0, v1
	v_add_co_u32_e64 v1, s[18:19], -1, v1
; %bb.3708:                             ;   in Loop: Header=BB4_2679 Depth=2
	s_or_b64 exec, exec, s[90:91]
	v_add_u32_e32 v2, 0xffffff81, v41
	v_mov_b32_e32 v26, 0xffffff82
	v_cndmask_b32_e32 v2, v2, v26, vcc
	v_lshrrev_b32_e32 v26, 23, v0
	v_add3_u32 v42, v61, v2, v26
	v_add_u32_e32 v41, 14, v42
	v_and_b32_e32 v1, 0x1fffff, v1
	v_add_u32_e32 v0, v1, v0
	v_mov_b32_e32 v1, v51
	v_cmp_ne_u32_e32 vcc, 0, v41
                                        ; implicit-def: $vgpr2
	s_and_saveexec_b64 s[18:19], vcc
	s_xor_b64 s[18:19], exec, s[18:19]
; %bb.3709:                             ;   in Loop: Header=BB4_2679 Depth=2
	v_cmp_lt_u64_e32 vcc, s[62:63], v[0:1]
	v_add_u32_e32 v2, 15, v42
	v_cndmask_b32_e64 v26, 0, 1, vcc
	v_lshrrev_b64 v[0:1], v26, v[0:1]
	v_cndmask_b32_e32 v2, v41, v2, vcc
; %bb.3710:                             ;   in Loop: Header=BB4_2679 Depth=2
	s_or_saveexec_b64 s[18:19], s[18:19]
	v_mov_b32_e32 v43, -1
	s_xor_b64 exec, exec, s[18:19]
; %bb.3711:                             ;   in Loop: Header=BB4_2679 Depth=2
	v_bfe_u32 v2, v0, 23, 1
; %bb.3712:                             ;   in Loop: Header=BB4_2679 Depth=2
	s_or_b64 exec, exec, s[18:19]
	v_lshrrev_b64 v[0:1], 21, v[0:1]
	v_cmp_gt_i32_e32 vcc, 32, v2
	v_cndmask_b32_e32 v1, 0, v1, vcc
	v_cndmask_b32_e32 v0, 3, v0, vcc
	v_cmp_eq_u64_e64 s[18:19], 0, v[0:1]
	v_min_i32_e32 v1, 31, v2
	v_lshlrev_b32_e32 v1, 2, v1
	v_cmp_eq_u32_e32 vcc, 0, v2
	v_and_b32_e32 v1, 0xfc, v1
	v_and_or_b32 v0, v0, 3, v1
	s_and_b64 s[18:19], vcc, s[18:19]
	v_cndmask_b32_e64 v0, v0, 0, s[18:19]
	v_or_b32_e32 v61, v0, v40
.LBB4_3713:                             ;   in Loop: Header=BB4_2679 Depth=2
	s_or_b64 exec, exec, s[88:89]
                                        ; implicit-def: $vgpr40
.LBB4_3714:                             ;   in Loop: Header=BB4_2679 Depth=2
	s_andn2_saveexec_b64 s[18:19], s[78:79]
; %bb.3715:                             ;   in Loop: Header=BB4_2679 Depth=2
	v_or_b32_e32 v61, 0x7b, v40
; %bb.3716:                             ;   in Loop: Header=BB4_2679 Depth=2
	s_or_b64 exec, exec, s[18:19]
                                        ; implicit-def: $vgpr2
                                        ; implicit-def: $vgpr0_vgpr1
.LBB4_3717:                             ;   in Loop: Header=BB4_2679 Depth=2
	s_andn2_saveexec_b64 s[18:19], s[76:77]
	s_cbranch_execz .LBB4_3723
; %bb.3718:                             ;   in Loop: Header=BB4_2679 Depth=2
	v_cmp_ne_u64_e32 vcc, 0, v[0:1]
                                        ; implicit-def: $vgpr61
	s_and_saveexec_b64 s[76:77], vcc
	s_xor_b64 s[76:77], exec, s[76:77]
; %bb.3719:                             ;   in Loop: Header=BB4_2679 Depth=2
	v_or_b32_sdwa v61, v2, s54 dst_sel:DWORD dst_unused:UNUSED_PAD src0_sel:BYTE_3 src1_sel:DWORD
                                        ; implicit-def: $vgpr2
; %bb.3720:                             ;   in Loop: Header=BB4_2679 Depth=2
	s_andn2_saveexec_b64 s[76:77], s[76:77]
; %bb.3721:                             ;   in Loop: Header=BB4_2679 Depth=2
	v_cmp_lt_i32_e32 vcc, -1, v2
	v_bfrev_b32_e32 v0, 0.5
	v_mov_b32_e32 v1, 0x7c
	v_cndmask_b32_e32 v61, v0, v1, vcc
; %bb.3722:                             ;   in Loop: Header=BB4_2679 Depth=2
	s_or_b64 exec, exec, s[76:77]
.LBB4_3723:                             ;   in Loop: Header=BB4_2679 Depth=2
	s_or_b64 exec, exec, s[18:19]
	v_lshrrev_b16_e32 v0, 8, v50
	v_cmp_ne_u16_e32 vcc, 0, v0
	v_mov_b32_e32 v2, 0
	v_mov_b32_e32 v1, 0
	s_and_saveexec_b64 s[18:19], vcc
	s_cbranch_execz .LBB4_3731
; %bb.3724:                             ;   in Loop: Header=BB4_2679 Depth=2
	v_cmp_ne_u16_e32 vcc, s52, v0
	v_bfrev_b32_e32 v1, 1
	s_and_saveexec_b64 s[76:77], vcc
	s_cbranch_execz .LBB4_3730
; %bb.3725:                             ;   in Loop: Header=BB4_2679 Depth=2
	v_and_b32_e32 v1, 0x7c, v0
	v_and_b32_e32 v40, 3, v0
	v_cmp_ne_u32_e32 vcc, s50, v1
                                        ; implicit-def: $vgpr1
	s_and_saveexec_b64 s[78:79], vcc
	s_xor_b64 s[78:79], exec, s[78:79]
	s_cbranch_execz .LBB4_3727
; %bb.3726:                             ;   in Loop: Header=BB4_2679 Depth=2
	v_ffbh_u32_e32 v27, v40
	v_min_u32_e32 v27, 32, v27
	v_mov_b32_e32 v1, v51
	v_subrev_u32_e32 v41, 29, v27
	v_bfe_u32 v26, v0, 2, 5
	v_lshlrev_b64 v[0:1], v41, v[0:1]
	v_sub_u32_e32 v1, 30, v27
	v_cmp_eq_u32_e32 vcc, 0, v26
	v_cndmask_b32_e32 v1, v26, v1, vcc
	v_lshlrev_b32_e32 v26, 16, v50
	v_and_b32_e32 v0, 3, v0
	v_and_b32_e32 v26, 0x80000000, v26
	v_cndmask_b32_e32 v0, v40, v0, vcc
	v_lshl_add_u32 v1, v1, 23, v26
	v_lshl_or_b32 v0, v0, 21, v1
	v_add_u32_e32 v1, 0x38000000, v0
                                        ; implicit-def: $vgpr40
.LBB4_3727:                             ;   in Loop: Header=BB4_2679 Depth=2
	s_andn2_saveexec_b64 s[78:79], s[78:79]
; %bb.3728:                             ;   in Loop: Header=BB4_2679 Depth=2
	v_cmp_lt_i16_e32 vcc, -1, v50
	v_cndmask_b32_e32 v0, v5, v36, vcc
	v_cmp_eq_u32_e32 vcc, 0, v40
	v_cndmask_b32_e32 v1, v37, v0, vcc
; %bb.3729:                             ;   in Loop: Header=BB4_2679 Depth=2
	s_or_b64 exec, exec, s[78:79]
.LBB4_3730:                             ;   in Loop: Header=BB4_2679 Depth=2
	s_or_b64 exec, exec, s[76:77]
.LBB4_3731:                             ;   in Loop: Header=BB4_2679 Depth=2
	s_or_b64 exec, exec, s[18:19]
	v_lshrrev_b16_e32 v50, 8, v13
	v_cmp_ne_u16_e32 vcc, 0, v50
	s_and_saveexec_b64 s[18:19], vcc
	s_cbranch_execz .LBB4_3739
; %bb.3732:                             ;   in Loop: Header=BB4_2679 Depth=2
	v_cmp_ne_u16_e32 vcc, s52, v50
	v_bfrev_b32_e32 v2, 1
	s_and_saveexec_b64 s[76:77], vcc
	s_cbranch_execz .LBB4_3738
; %bb.3733:                             ;   in Loop: Header=BB4_2679 Depth=2
	v_and_b32_e32 v2, 0x7c, v50
	v_and_b32_e32 v0, 3, v50
	v_cmp_ne_u32_e32 vcc, s50, v2
                                        ; implicit-def: $vgpr2
	s_and_saveexec_b64 s[78:79], vcc
	s_xor_b64 s[78:79], exec, s[78:79]
	s_cbranch_execz .LBB4_3735
; %bb.3734:                             ;   in Loop: Header=BB4_2679 Depth=2
	v_ffbh_u32_e32 v26, v0
	v_min_u32_e32 v40, 32, v26
	v_subrev_u32_e32 v26, 29, v40
	v_lshlrev_b64 v[26:27], v26, v[50:51]
	v_bfe_u32 v2, v50, 2, 5
	v_and_b32_e32 v26, 3, v26
	v_cmp_eq_u32_e32 vcc, 0, v2
	v_sub_u32_e32 v27, 30, v40
	v_cndmask_b32_e32 v0, v0, v26, vcc
	v_lshlrev_b32_e32 v26, 16, v13
	v_cndmask_b32_e32 v2, v2, v27, vcc
	v_and_b32_e32 v26, 0x80000000, v26
	v_lshl_add_u32 v2, v2, 23, v26
	v_lshl_or_b32 v0, v0, 21, v2
	v_add_u32_e32 v2, 0x38000000, v0
                                        ; implicit-def: $vgpr0
.LBB4_3735:                             ;   in Loop: Header=BB4_2679 Depth=2
	s_andn2_saveexec_b64 s[78:79], s[78:79]
; %bb.3736:                             ;   in Loop: Header=BB4_2679 Depth=2
	v_cmp_lt_i16_e32 vcc, -1, v13
	v_cndmask_b32_e32 v2, v5, v36, vcc
	v_cmp_eq_u32_e32 vcc, 0, v0
	v_cndmask_b32_e32 v2, v37, v2, vcc
; %bb.3737:                             ;   in Loop: Header=BB4_2679 Depth=2
	s_or_b64 exec, exec, s[78:79]
.LBB4_3738:                             ;   in Loop: Header=BB4_2679 Depth=2
	s_or_b64 exec, exec, s[76:77]
.LBB4_3739:                             ;   in Loop: Header=BB4_2679 Depth=2
	s_or_b64 exec, exec, s[18:19]
	v_mul_f32_e32 v0, v1, v2
	v_and_b32_e32 v1, 0x7f800000, v0
	v_mov_b32_e32 v2, v51
	v_cmp_ne_u64_e32 vcc, s[58:59], v[1:2]
	v_and_b32_e32 v50, 0x7fffff, v0
                                        ; implicit-def: $vgpr62
	s_and_saveexec_b64 s[18:19], vcc
	s_xor_b64 s[76:77], exec, s[18:19]
	s_cbranch_execz .LBB4_3753
; %bb.3740:                             ;   in Loop: Header=BB4_2679 Depth=2
	v_and_b32_e32 v1, 0x7fffffff, v0
	v_mov_b32_e32 v2, v51
	v_cmp_gt_u64_e32 vcc, s[60:61], v[1:2]
	v_and_b32_sdwa v40, v0, s52 dst_sel:DWORD dst_unused:UNUSED_PAD src0_sel:BYTE_3 src1_sel:DWORD
                                        ; implicit-def: $vgpr62
	s_and_saveexec_b64 s[18:19], vcc
	s_xor_b64 s[78:79], exec, s[18:19]
	s_cbranch_execz .LBB4_3750
; %bb.3741:                             ;   in Loop: Header=BB4_2679 Depth=2
	v_mov_b32_e32 v62, 0
	v_cmp_ne_u32_e32 vcc, 0, v0
	s_and_saveexec_b64 s[88:89], vcc
	s_cbranch_execz .LBB4_3749
; %bb.3742:                             ;   in Loop: Header=BB4_2679 Depth=2
	v_bfe_u32 v41, v0, 23, 8
	v_cmp_gt_u32_e64 s[18:19], s53, v41
	v_sub_u32_e32 v0, 0x71, v41
	v_cmp_eq_u32_e32 vcc, 0, v41
	v_cndmask_b32_e64 v0, 0, v0, s[18:19]
	v_mov_b32_e32 v2, 0x70
	v_cndmask_b32_e32 v62, v0, v2, vcc
	v_or_b32_e32 v1, 0x800000, v50
	v_add_u32_e32 v0, 21, v62
	v_cndmask_b32_e32 v50, v1, v50, vcc
	v_lshlrev_b64 v[0:1], v0, -1
	v_add_u32_e32 v2, 20, v62
	v_lshlrev_b64 v[26:27], v2, 1
	v_bfi_b32 v1, v1, 0, 0
	v_bfi_b32 v0, v0, 0, v50
	v_cmp_eq_u64_e64 s[18:19], v[0:1], v[26:27]
	v_lshrrev_b64 v[0:1], v62, v[50:51]
	v_mov_b32_e32 v2, v1
	v_mov_b32_e32 v1, v0
	s_and_saveexec_b64 s[90:91], s[18:19]
; %bb.3743:                             ;   in Loop: Header=BB4_2679 Depth=2
	v_bfe_u32 v1, v0, 21, 1
	v_add_co_u32_e64 v1, s[18:19], v0, v1
	v_add_co_u32_e64 v1, s[18:19], -1, v1
; %bb.3744:                             ;   in Loop: Header=BB4_2679 Depth=2
	s_or_b64 exec, exec, s[90:91]
	v_add_u32_e32 v2, 0xffffff81, v41
	v_mov_b32_e32 v26, 0xffffff82
	v_cndmask_b32_e32 v2, v2, v26, vcc
	v_lshrrev_b32_e32 v26, 23, v0
	v_add3_u32 v42, v62, v2, v26
	v_add_u32_e32 v41, 14, v42
	v_and_b32_e32 v1, 0x1fffff, v1
	v_add_u32_e32 v50, v1, v0
	v_cmp_ne_u32_e32 vcc, 0, v41
                                        ; implicit-def: $vgpr0_vgpr1
                                        ; implicit-def: $vgpr2
	s_and_saveexec_b64 s[18:19], vcc
	s_xor_b64 s[18:19], exec, s[18:19]
; %bb.3745:                             ;   in Loop: Header=BB4_2679 Depth=2
	v_cmp_lt_u64_e32 vcc, s[62:63], v[50:51]
	v_add_u32_e32 v0, 15, v42
	v_cndmask_b32_e32 v2, v41, v0, vcc
	v_cndmask_b32_e64 v0, 0, 1, vcc
	v_lshrrev_b64 v[0:1], v0, v[50:51]
; %bb.3746:                             ;   in Loop: Header=BB4_2679 Depth=2
	s_andn2_saveexec_b64 s[18:19], s[18:19]
; %bb.3747:                             ;   in Loop: Header=BB4_2679 Depth=2
	v_mov_b32_e32 v0, v50
	v_bfe_u32 v2, v50, 23, 1
	v_mov_b32_e32 v1, v51
; %bb.3748:                             ;   in Loop: Header=BB4_2679 Depth=2
	s_or_b64 exec, exec, s[18:19]
	v_lshrrev_b64 v[0:1], 21, v[0:1]
	v_cmp_gt_i32_e32 vcc, 32, v2
	v_cndmask_b32_e32 v1, 0, v1, vcc
	v_cndmask_b32_e32 v0, 3, v0, vcc
	v_cmp_eq_u64_e64 s[18:19], 0, v[0:1]
	v_min_i32_e32 v1, 31, v2
	v_lshlrev_b32_e32 v1, 2, v1
	v_cmp_eq_u32_e32 vcc, 0, v2
	v_and_b32_e32 v1, 0xfc, v1
	v_and_or_b32 v0, v0, 3, v1
	s_and_b64 s[18:19], vcc, s[18:19]
	v_cndmask_b32_e64 v0, v0, 0, s[18:19]
	v_or_b32_e32 v62, v0, v40
.LBB4_3749:                             ;   in Loop: Header=BB4_2679 Depth=2
	s_or_b64 exec, exec, s[88:89]
                                        ; implicit-def: $vgpr40
.LBB4_3750:                             ;   in Loop: Header=BB4_2679 Depth=2
	s_andn2_saveexec_b64 s[18:19], s[78:79]
; %bb.3751:                             ;   in Loop: Header=BB4_2679 Depth=2
	v_or_b32_e32 v62, 0x7b, v40
; %bb.3752:                             ;   in Loop: Header=BB4_2679 Depth=2
	s_or_b64 exec, exec, s[18:19]
                                        ; implicit-def: $vgpr0
.LBB4_3753:                             ;   in Loop: Header=BB4_2679 Depth=2
	s_andn2_saveexec_b64 s[18:19], s[76:77]
	s_cbranch_execz .LBB4_3759
; %bb.3754:                             ;   in Loop: Header=BB4_2679 Depth=2
	v_cmp_ne_u64_e32 vcc, 0, v[50:51]
                                        ; implicit-def: $vgpr62
	s_and_saveexec_b64 s[76:77], vcc
	s_xor_b64 s[76:77], exec, s[76:77]
; %bb.3755:                             ;   in Loop: Header=BB4_2679 Depth=2
	v_or_b32_sdwa v62, v0, s54 dst_sel:DWORD dst_unused:UNUSED_PAD src0_sel:BYTE_3 src1_sel:DWORD
                                        ; implicit-def: $vgpr0
; %bb.3756:                             ;   in Loop: Header=BB4_2679 Depth=2
	s_andn2_saveexec_b64 s[76:77], s[76:77]
; %bb.3757:                             ;   in Loop: Header=BB4_2679 Depth=2
	v_cmp_lt_i32_e32 vcc, -1, v0
	v_bfrev_b32_e32 v0, 0.5
	v_mov_b32_e32 v1, 0x7c
	v_cndmask_b32_e32 v62, v0, v1, vcc
; %bb.3758:                             ;   in Loop: Header=BB4_2679 Depth=2
	s_or_b64 exec, exec, s[76:77]
.LBB4_3759:                             ;   in Loop: Header=BB4_2679 Depth=2
	s_or_b64 exec, exec, s[18:19]
	v_lshrrev_b32_e32 v0, 16, v17
	v_cmp_ne_u16_sdwa s[76:77], v0, v51 src0_sel:BYTE_0 src1_sel:DWORD
	v_mov_b32_e32 v1, 0
	v_mov_b32_e32 v2, 0
	s_and_saveexec_b64 s[18:19], s[76:77]
	s_cbranch_execz .LBB4_3767
; %bb.3760:                             ;   in Loop: Header=BB4_2679 Depth=2
	v_cmp_ne_u16_sdwa s[78:79], v0, s52 src0_sel:BYTE_0 src1_sel:DWORD
	v_bfrev_b32_e32 v2, 1
	s_and_saveexec_b64 s[76:77], s[78:79]
	s_cbranch_execz .LBB4_3766
; %bb.3761:                             ;   in Loop: Header=BB4_2679 Depth=2
	v_and_b32_e32 v2, 0x7c0000, v17
	v_bfe_u32 v50, v17, 16, 2
	v_cmp_ne_u32_e32 vcc, s55, v2
                                        ; implicit-def: $vgpr2
	s_and_saveexec_b64 s[78:79], vcc
	s_xor_b64 s[78:79], exec, s[78:79]
	s_cbranch_execz .LBB4_3763
; %bb.3762:                             ;   in Loop: Header=BB4_2679 Depth=2
	v_ffbh_u32_e32 v26, v50
	v_min_u32_e32 v40, 32, v26
	v_subrev_u32_e32 v26, 29, v40
	v_lshlrev_b64 v[26:27], v26, v[0:1]
	v_bfe_u32 v2, v17, 18, 5
	v_sub_u32_e32 v0, 30, v40
	v_and_b32_e32 v26, 3, v26
	v_cmp_eq_u32_e32 vcc, 0, v2
	v_cndmask_b32_e32 v0, v2, v0, vcc
	v_cndmask_b32_e32 v2, v50, v26, vcc
	v_lshlrev_b32_e32 v26, 8, v17
	v_and_b32_e32 v26, 0x80000000, v26
	v_lshl_add_u32 v0, v0, 23, v26
	v_lshl_or_b32 v0, v2, 21, v0
	v_add_u32_e32 v2, 0x38000000, v0
                                        ; implicit-def: $vgpr50
                                        ; implicit-def: $vgpr0
.LBB4_3763:                             ;   in Loop: Header=BB4_2679 Depth=2
	s_andn2_saveexec_b64 s[78:79], s[78:79]
; %bb.3764:                             ;   in Loop: Header=BB4_2679 Depth=2
	v_cmp_gt_i16_sdwa vcc, sext(v0), v43 src0_sel:BYTE_0 src1_sel:DWORD
	v_cndmask_b32_e32 v0, v5, v36, vcc
	v_cmp_eq_u32_e32 vcc, 0, v50
	v_cndmask_b32_e32 v2, v37, v0, vcc
; %bb.3765:                             ;   in Loop: Header=BB4_2679 Depth=2
	s_or_b64 exec, exec, s[78:79]
.LBB4_3766:                             ;   in Loop: Header=BB4_2679 Depth=2
	s_or_b64 exec, exec, s[76:77]
.LBB4_3767:                             ;   in Loop: Header=BB4_2679 Depth=2
	s_or_b64 exec, exec, s[18:19]
	v_lshrrev_b32_e32 v0, 16, v13
	v_cmp_ne_u16_sdwa s[76:77], v0, v51 src0_sel:BYTE_0 src1_sel:DWORD
	s_and_saveexec_b64 s[18:19], s[76:77]
	s_cbranch_execz .LBB4_3775
; %bb.3768:                             ;   in Loop: Header=BB4_2679 Depth=2
	v_cmp_ne_u16_sdwa s[78:79], v0, s52 src0_sel:BYTE_0 src1_sel:DWORD
	v_bfrev_b32_e32 v1, 1
	s_and_saveexec_b64 s[76:77], s[78:79]
	s_cbranch_execz .LBB4_3774
; %bb.3769:                             ;   in Loop: Header=BB4_2679 Depth=2
	v_and_b32_e32 v1, 0x7c0000, v13
	v_bfe_u32 v50, v13, 16, 2
	v_cmp_ne_u32_e32 vcc, s55, v1
                                        ; implicit-def: $vgpr1
	s_and_saveexec_b64 s[78:79], vcc
	s_xor_b64 s[78:79], exec, s[78:79]
	s_cbranch_execz .LBB4_3771
; %bb.3770:                             ;   in Loop: Header=BB4_2679 Depth=2
	v_ffbh_u32_e32 v1, v50
	v_min_u32_e32 v27, 32, v1
	v_subrev_u32_e32 v1, 29, v27
	v_bfe_u32 v26, v13, 18, 5
	v_lshlrev_b64 v[0:1], v1, v[0:1]
	v_sub_u32_e32 v1, 30, v27
	v_cmp_eq_u32_e32 vcc, 0, v26
	v_cndmask_b32_e32 v1, v26, v1, vcc
	v_lshlrev_b32_e32 v26, 8, v13
	v_and_b32_e32 v0, 3, v0
	v_and_b32_e32 v26, 0x80000000, v26
	v_cndmask_b32_e32 v0, v50, v0, vcc
	v_lshl_add_u32 v1, v1, 23, v26
	v_lshl_or_b32 v0, v0, 21, v1
	v_add_u32_e32 v1, 0x38000000, v0
                                        ; implicit-def: $vgpr50
                                        ; implicit-def: $vgpr0
.LBB4_3771:                             ;   in Loop: Header=BB4_2679 Depth=2
	s_andn2_saveexec_b64 s[78:79], s[78:79]
; %bb.3772:                             ;   in Loop: Header=BB4_2679 Depth=2
	v_cmp_gt_i16_sdwa vcc, sext(v0), v43 src0_sel:BYTE_0 src1_sel:DWORD
	v_cndmask_b32_e32 v0, v5, v36, vcc
	v_cmp_eq_u32_e32 vcc, 0, v50
	v_cndmask_b32_e32 v1, v37, v0, vcc
; %bb.3773:                             ;   in Loop: Header=BB4_2679 Depth=2
	s_or_b64 exec, exec, s[78:79]
.LBB4_3774:                             ;   in Loop: Header=BB4_2679 Depth=2
	s_or_b64 exec, exec, s[76:77]
.LBB4_3775:                             ;   in Loop: Header=BB4_2679 Depth=2
	s_or_b64 exec, exec, s[18:19]
	v_mul_f32_e32 v0, v2, v1
	v_and_b32_e32 v1, 0x7f800000, v0
	v_mov_b32_e32 v2, v51
	v_cmp_ne_u64_e32 vcc, s[58:59], v[1:2]
	v_and_b32_e32 v50, 0x7fffff, v0
                                        ; implicit-def: $vgpr40
	s_and_saveexec_b64 s[18:19], vcc
	s_xor_b64 s[76:77], exec, s[18:19]
	s_cbranch_execz .LBB4_3789
; %bb.3776:                             ;   in Loop: Header=BB4_2679 Depth=2
	v_and_b32_e32 v1, 0x7fffffff, v0
	v_mov_b32_e32 v2, v51
	v_cmp_gt_u64_e32 vcc, s[60:61], v[1:2]
	v_and_b32_sdwa v41, v0, s52 dst_sel:DWORD dst_unused:UNUSED_PAD src0_sel:BYTE_3 src1_sel:DWORD
                                        ; implicit-def: $vgpr40
	s_and_saveexec_b64 s[18:19], vcc
	s_xor_b64 s[78:79], exec, s[18:19]
	s_cbranch_execz .LBB4_3786
; %bb.3777:                             ;   in Loop: Header=BB4_2679 Depth=2
	v_mov_b32_e32 v40, 0
	v_cmp_ne_u32_e32 vcc, 0, v0
	s_and_saveexec_b64 s[88:89], vcc
	s_cbranch_execz .LBB4_3785
; %bb.3778:                             ;   in Loop: Header=BB4_2679 Depth=2
	v_bfe_u32 v40, v0, 23, 8
	v_cmp_gt_u32_e64 s[18:19], s53, v40
	v_sub_u32_e32 v0, 0x71, v40
	v_cmp_eq_u32_e32 vcc, 0, v40
	v_cndmask_b32_e64 v0, 0, v0, s[18:19]
	v_mov_b32_e32 v2, 0x70
	v_cndmask_b32_e32 v42, v0, v2, vcc
	v_or_b32_e32 v1, 0x800000, v50
	v_add_u32_e32 v0, 21, v42
	v_cndmask_b32_e32 v50, v1, v50, vcc
	v_lshlrev_b64 v[0:1], v0, -1
	v_add_u32_e32 v2, 20, v42
	v_lshlrev_b64 v[26:27], v2, 1
	v_bfi_b32 v1, v1, 0, 0
	v_bfi_b32 v0, v0, 0, v50
	v_cmp_eq_u64_e64 s[18:19], v[0:1], v[26:27]
	v_lshrrev_b64 v[0:1], v42, v[50:51]
	v_mov_b32_e32 v2, v1
	v_mov_b32_e32 v1, v0
	s_and_saveexec_b64 s[90:91], s[18:19]
; %bb.3779:                             ;   in Loop: Header=BB4_2679 Depth=2
	v_bfe_u32 v1, v0, 21, 1
	v_add_co_u32_e64 v1, s[18:19], v0, v1
	v_add_co_u32_e64 v1, s[18:19], -1, v1
; %bb.3780:                             ;   in Loop: Header=BB4_2679 Depth=2
	s_or_b64 exec, exec, s[90:91]
	v_add_u32_e32 v2, 0xffffff81, v40
	v_mov_b32_e32 v26, 0xffffff82
	v_cndmask_b32_e32 v2, v2, v26, vcc
	v_lshrrev_b32_e32 v26, 23, v0
	v_add3_u32 v42, v42, v2, v26
	v_add_u32_e32 v40, 14, v42
	v_and_b32_e32 v1, 0x1fffff, v1
	v_add_u32_e32 v50, v1, v0
	v_cmp_ne_u32_e32 vcc, 0, v40
                                        ; implicit-def: $vgpr0_vgpr1
                                        ; implicit-def: $vgpr2
	s_and_saveexec_b64 s[18:19], vcc
	s_xor_b64 s[18:19], exec, s[18:19]
; %bb.3781:                             ;   in Loop: Header=BB4_2679 Depth=2
	v_cmp_lt_u64_e32 vcc, s[62:63], v[50:51]
	v_add_u32_e32 v0, 15, v42
	v_cndmask_b32_e32 v2, v40, v0, vcc
	v_cndmask_b32_e64 v0, 0, 1, vcc
	v_lshrrev_b64 v[0:1], v0, v[50:51]
; %bb.3782:                             ;   in Loop: Header=BB4_2679 Depth=2
	s_andn2_saveexec_b64 s[18:19], s[18:19]
; %bb.3783:                             ;   in Loop: Header=BB4_2679 Depth=2
	v_mov_b32_e32 v0, v50
	v_bfe_u32 v2, v50, 23, 1
	v_mov_b32_e32 v1, v51
; %bb.3784:                             ;   in Loop: Header=BB4_2679 Depth=2
	s_or_b64 exec, exec, s[18:19]
	v_lshrrev_b64 v[0:1], 21, v[0:1]
	v_cmp_gt_i32_e32 vcc, 32, v2
	v_cndmask_b32_e32 v1, 0, v1, vcc
	v_cndmask_b32_e32 v0, 3, v0, vcc
	v_cmp_eq_u64_e64 s[18:19], 0, v[0:1]
	v_min_i32_e32 v1, 31, v2
	v_lshlrev_b32_e32 v1, 2, v1
	v_cmp_eq_u32_e32 vcc, 0, v2
	v_and_b32_e32 v1, 0xfc, v1
	v_and_or_b32 v0, v0, 3, v1
	s_and_b64 s[18:19], vcc, s[18:19]
	v_cndmask_b32_e64 v0, v0, 0, s[18:19]
	v_or_b32_e32 v40, v0, v41
.LBB4_3785:                             ;   in Loop: Header=BB4_2679 Depth=2
	s_or_b64 exec, exec, s[88:89]
                                        ; implicit-def: $vgpr41
.LBB4_3786:                             ;   in Loop: Header=BB4_2679 Depth=2
	s_andn2_saveexec_b64 s[18:19], s[78:79]
; %bb.3787:                             ;   in Loop: Header=BB4_2679 Depth=2
	v_or_b32_e32 v40, 0x7b, v41
; %bb.3788:                             ;   in Loop: Header=BB4_2679 Depth=2
	s_or_b64 exec, exec, s[18:19]
                                        ; implicit-def: $vgpr0
.LBB4_3789:                             ;   in Loop: Header=BB4_2679 Depth=2
	s_andn2_saveexec_b64 s[18:19], s[76:77]
	s_cbranch_execz .LBB4_3795
; %bb.3790:                             ;   in Loop: Header=BB4_2679 Depth=2
	v_cmp_ne_u64_e32 vcc, 0, v[50:51]
                                        ; implicit-def: $vgpr40
	s_and_saveexec_b64 s[76:77], vcc
	s_xor_b64 s[76:77], exec, s[76:77]
; %bb.3791:                             ;   in Loop: Header=BB4_2679 Depth=2
	v_or_b32_sdwa v40, v0, s54 dst_sel:DWORD dst_unused:UNUSED_PAD src0_sel:BYTE_3 src1_sel:DWORD
                                        ; implicit-def: $vgpr0
; %bb.3792:                             ;   in Loop: Header=BB4_2679 Depth=2
	s_andn2_saveexec_b64 s[76:77], s[76:77]
; %bb.3793:                             ;   in Loop: Header=BB4_2679 Depth=2
	v_cmp_lt_i32_e32 vcc, -1, v0
	v_bfrev_b32_e32 v0, 0.5
	v_mov_b32_e32 v1, 0x7c
	v_cndmask_b32_e32 v40, v0, v1, vcc
; %bb.3794:                             ;   in Loop: Header=BB4_2679 Depth=2
	s_or_b64 exec, exec, s[76:77]
.LBB4_3795:                             ;   in Loop: Header=BB4_2679 Depth=2
	s_or_b64 exec, exec, s[18:19]
	v_cmp_lt_u64_e32 vcc, s[56:57], v[16:17]
	v_mov_b32_e32 v1, 0
	v_mov_b32_e32 v2, 0
	s_and_saveexec_b64 s[18:19], vcc
	s_cbranch_execz .LBB4_3803
; %bb.3796:                             ;   in Loop: Header=BB4_2679 Depth=2
	v_lshrrev_b32_e32 v0, 24, v17
	v_cmp_ne_u32_e32 vcc, s52, v0
	v_bfrev_b32_e32 v2, 1
	s_and_saveexec_b64 s[76:77], vcc
	s_cbranch_execz .LBB4_3802
; %bb.3797:                             ;   in Loop: Header=BB4_2679 Depth=2
	v_and_b32_e32 v2, 0x7c000000, v17
	v_bfe_u32 v50, v17, 24, 2
	v_cmp_ne_u32_e32 vcc, s64, v2
                                        ; implicit-def: $vgpr2
	s_and_saveexec_b64 s[78:79], vcc
	s_xor_b64 s[78:79], exec, s[78:79]
	s_cbranch_execz .LBB4_3799
; %bb.3798:                             ;   in Loop: Header=BB4_2679 Depth=2
	v_ffbh_u32_e32 v16, v50
	v_min_u32_e32 v16, 32, v16
	v_subrev_u32_e32 v26, 29, v16
	v_lshlrev_b64 v[26:27], v26, v[0:1]
	v_bfe_u32 v2, v17, 26, 5
	v_sub_u32_e32 v0, 30, v16
	v_and_b32_e32 v16, 3, v26
	v_cmp_eq_u32_e32 vcc, 0, v2
	v_cndmask_b32_e32 v0, v2, v0, vcc
	v_cndmask_b32_e32 v2, v50, v16, vcc
	v_and_b32_e32 v16, 0x80000000, v17
	v_lshl_add_u32 v0, v0, 23, v16
	v_lshl_or_b32 v0, v2, 21, v0
	v_add_u32_e32 v2, 0x38000000, v0
                                        ; implicit-def: $vgpr50
                                        ; implicit-def: $vgpr16_vgpr17
.LBB4_3799:                             ;   in Loop: Header=BB4_2679 Depth=2
	s_andn2_saveexec_b64 s[78:79], s[78:79]
; %bb.3800:                             ;   in Loop: Header=BB4_2679 Depth=2
	v_cmp_lt_i64_e32 vcc, -1, v[16:17]
	v_cndmask_b32_e32 v0, v5, v36, vcc
	v_cmp_eq_u32_e32 vcc, 0, v50
	v_cndmask_b32_e32 v2, v37, v0, vcc
; %bb.3801:                             ;   in Loop: Header=BB4_2679 Depth=2
	s_or_b64 exec, exec, s[78:79]
.LBB4_3802:                             ;   in Loop: Header=BB4_2679 Depth=2
	s_or_b64 exec, exec, s[76:77]
.LBB4_3803:                             ;   in Loop: Header=BB4_2679 Depth=2
	s_or_b64 exec, exec, s[18:19]
	v_cmp_lt_u64_e32 vcc, s[56:57], v[12:13]
	s_and_saveexec_b64 s[18:19], vcc
	s_cbranch_execz .LBB4_3811
; %bb.3804:                             ;   in Loop: Header=BB4_2679 Depth=2
	v_lshrrev_b32_e32 v0, 24, v13
	v_cmp_ne_u32_e32 vcc, s52, v0
	v_bfrev_b32_e32 v1, 1
	s_and_saveexec_b64 s[76:77], vcc
	s_cbranch_execz .LBB4_3810
; %bb.3805:                             ;   in Loop: Header=BB4_2679 Depth=2
	v_and_b32_e32 v1, 0x7c000000, v13
	v_bfe_u32 v16, v13, 24, 2
	v_cmp_ne_u32_e32 vcc, s64, v1
                                        ; implicit-def: $vgpr1
	s_and_saveexec_b64 s[78:79], vcc
	s_xor_b64 s[78:79], exec, s[78:79]
	s_cbranch_execz .LBB4_3807
; %bb.3806:                             ;   in Loop: Header=BB4_2679 Depth=2
	v_ffbh_u32_e32 v1, v16
	v_min_u32_e32 v17, 32, v1
	v_subrev_u32_e32 v1, 29, v17
	v_bfe_u32 v12, v13, 26, 5
	v_lshlrev_b64 v[0:1], v1, v[0:1]
	v_sub_u32_e32 v1, 30, v17
	v_cmp_eq_u32_e32 vcc, 0, v12
	v_and_b32_e32 v0, 3, v0
	v_cndmask_b32_e32 v1, v12, v1, vcc
	v_and_b32_e32 v12, 0x80000000, v13
	v_cndmask_b32_e32 v0, v16, v0, vcc
	v_lshl_add_u32 v1, v1, 23, v12
	v_lshl_or_b32 v0, v0, 21, v1
	v_add_u32_e32 v1, 0x38000000, v0
                                        ; implicit-def: $vgpr16
                                        ; implicit-def: $vgpr12_vgpr13
.LBB4_3807:                             ;   in Loop: Header=BB4_2679 Depth=2
	s_andn2_saveexec_b64 s[78:79], s[78:79]
; %bb.3808:                             ;   in Loop: Header=BB4_2679 Depth=2
	v_cmp_lt_i64_e32 vcc, -1, v[12:13]
	v_cndmask_b32_e32 v0, v5, v36, vcc
	v_cmp_eq_u32_e32 vcc, 0, v16
	v_cndmask_b32_e32 v1, v37, v0, vcc
; %bb.3809:                             ;   in Loop: Header=BB4_2679 Depth=2
	s_or_b64 exec, exec, s[78:79]
.LBB4_3810:                             ;   in Loop: Header=BB4_2679 Depth=2
	s_or_b64 exec, exec, s[76:77]
.LBB4_3811:                             ;   in Loop: Header=BB4_2679 Depth=2
	s_or_b64 exec, exec, s[18:19]
	v_mul_f32_e32 v1, v2, v1
	v_and_b32_e32 v12, 0x7f800000, v1
	v_mov_b32_e32 v13, v51
	v_cmp_ne_u64_e32 vcc, s[58:59], v[12:13]
	v_and_b32_e32 v50, 0x7fffff, v1
                                        ; implicit-def: $vgpr0
	s_and_saveexec_b64 s[18:19], vcc
	s_xor_b64 s[76:77], exec, s[18:19]
	s_cbranch_execz .LBB4_3825
; %bb.3812:                             ;   in Loop: Header=BB4_2679 Depth=2
	v_and_b32_e32 v12, 0x7fffffff, v1
	v_mov_b32_e32 v13, v51
	v_cmp_gt_u64_e32 vcc, s[60:61], v[12:13]
	v_and_b32_sdwa v12, v1, s52 dst_sel:DWORD dst_unused:UNUSED_PAD src0_sel:BYTE_3 src1_sel:DWORD
                                        ; implicit-def: $vgpr0
	s_and_saveexec_b64 s[18:19], vcc
	s_xor_b64 s[78:79], exec, s[18:19]
	s_cbranch_execz .LBB4_3822
; %bb.3813:                             ;   in Loop: Header=BB4_2679 Depth=2
	v_mov_b32_e32 v0, 0
	v_cmp_ne_u32_e32 vcc, 0, v1
	s_and_saveexec_b64 s[88:89], vcc
	s_cbranch_execz .LBB4_3821
; %bb.3814:                             ;   in Loop: Header=BB4_2679 Depth=2
	v_bfe_u32 v13, v1, 23, 8
	v_cmp_gt_u32_e64 s[18:19], s53, v13
	v_sub_u32_e32 v0, 0x71, v13
	v_cmp_eq_u32_e32 vcc, 0, v13
	v_cndmask_b32_e64 v0, 0, v0, s[18:19]
	v_mov_b32_e32 v2, 0x70
	v_cndmask_b32_e32 v16, v0, v2, vcc
	v_or_b32_e32 v1, 0x800000, v50
	v_add_u32_e32 v0, 21, v16
	v_cndmask_b32_e32 v50, v1, v50, vcc
	v_lshlrev_b64 v[0:1], v0, -1
	v_add_u32_e32 v2, 20, v16
	v_lshlrev_b64 v[26:27], v2, 1
	v_bfi_b32 v1, v1, 0, 0
	v_bfi_b32 v0, v0, 0, v50
	v_cmp_eq_u64_e64 s[18:19], v[0:1], v[26:27]
	v_lshrrev_b64 v[0:1], v16, v[50:51]
	v_mov_b32_e32 v2, v1
	v_mov_b32_e32 v1, v0
	s_and_saveexec_b64 s[90:91], s[18:19]
; %bb.3815:                             ;   in Loop: Header=BB4_2679 Depth=2
	v_bfe_u32 v1, v0, 21, 1
	v_add_co_u32_e64 v1, s[18:19], v0, v1
	v_add_co_u32_e64 v1, s[18:19], -1, v1
; %bb.3816:                             ;   in Loop: Header=BB4_2679 Depth=2
	s_or_b64 exec, exec, s[90:91]
	v_add_u32_e32 v2, 0xffffff81, v13
	v_mov_b32_e32 v13, 0xffffff82
	v_cndmask_b32_e32 v2, v2, v13, vcc
	v_lshrrev_b32_e32 v13, 23, v0
	v_add3_u32 v16, v16, v2, v13
	v_add_u32_e32 v13, 14, v16
	v_and_b32_e32 v1, 0x1fffff, v1
	v_add_u32_e32 v50, v1, v0
	v_cmp_ne_u32_e32 vcc, 0, v13
                                        ; implicit-def: $vgpr0_vgpr1
                                        ; implicit-def: $vgpr2
	s_and_saveexec_b64 s[18:19], vcc
	s_xor_b64 s[18:19], exec, s[18:19]
; %bb.3817:                             ;   in Loop: Header=BB4_2679 Depth=2
	v_cmp_lt_u64_e32 vcc, s[62:63], v[50:51]
	v_add_u32_e32 v0, 15, v16
	v_cndmask_b32_e32 v2, v13, v0, vcc
	v_cndmask_b32_e64 v0, 0, 1, vcc
	v_lshrrev_b64 v[0:1], v0, v[50:51]
; %bb.3818:                             ;   in Loop: Header=BB4_2679 Depth=2
	s_andn2_saveexec_b64 s[18:19], s[18:19]
; %bb.3819:                             ;   in Loop: Header=BB4_2679 Depth=2
	v_mov_b32_e32 v0, v50
	v_bfe_u32 v2, v50, 23, 1
	v_mov_b32_e32 v1, v51
; %bb.3820:                             ;   in Loop: Header=BB4_2679 Depth=2
	s_or_b64 exec, exec, s[18:19]
	v_lshrrev_b64 v[0:1], 21, v[0:1]
	v_cmp_gt_i32_e32 vcc, 32, v2
	v_cndmask_b32_e32 v1, 0, v1, vcc
	v_cndmask_b32_e32 v0, 3, v0, vcc
	v_cmp_eq_u64_e64 s[18:19], 0, v[0:1]
	v_min_i32_e32 v1, 31, v2
	v_lshlrev_b32_e32 v1, 2, v1
	v_cmp_eq_u32_e32 vcc, 0, v2
	v_and_b32_e32 v1, 0xfc, v1
	v_and_or_b32 v0, v0, 3, v1
	s_and_b64 s[18:19], vcc, s[18:19]
	v_cndmask_b32_e64 v0, v0, 0, s[18:19]
	v_or_b32_e32 v0, v0, v12
.LBB4_3821:                             ;   in Loop: Header=BB4_2679 Depth=2
	s_or_b64 exec, exec, s[88:89]
                                        ; implicit-def: $vgpr12
.LBB4_3822:                             ;   in Loop: Header=BB4_2679 Depth=2
	s_andn2_saveexec_b64 s[18:19], s[78:79]
; %bb.3823:                             ;   in Loop: Header=BB4_2679 Depth=2
	v_or_b32_e32 v0, 0x7b, v12
; %bb.3824:                             ;   in Loop: Header=BB4_2679 Depth=2
	s_or_b64 exec, exec, s[18:19]
                                        ; implicit-def: $vgpr1
.LBB4_3825:                             ;   in Loop: Header=BB4_2679 Depth=2
	s_andn2_saveexec_b64 s[18:19], s[76:77]
	s_cbranch_execz .LBB4_2678
; %bb.3826:                             ;   in Loop: Header=BB4_2679 Depth=2
	v_cmp_ne_u64_e32 vcc, 0, v[50:51]
                                        ; implicit-def: $vgpr0
	s_and_saveexec_b64 s[76:77], vcc
	s_xor_b64 s[76:77], exec, s[76:77]
; %bb.3827:                             ;   in Loop: Header=BB4_2679 Depth=2
	v_or_b32_sdwa v0, v1, s54 dst_sel:DWORD dst_unused:UNUSED_PAD src0_sel:BYTE_3 src1_sel:DWORD
                                        ; implicit-def: $vgpr1
; %bb.3828:                             ;   in Loop: Header=BB4_2679 Depth=2
	s_andn2_saveexec_b64 s[76:77], s[76:77]
	s_cbranch_execz .LBB4_2677
; %bb.3829:                             ;   in Loop: Header=BB4_2679 Depth=2
	v_cmp_lt_i32_e32 vcc, -1, v1
	v_bfrev_b32_e32 v0, 0.5
	v_mov_b32_e32 v1, 0x7c
	v_cndmask_b32_e32 v0, v0, v1, vcc
	s_branch .LBB4_2677
.LBB4_3830:                             ;   in Loop: Header=BB4_2603 Depth=1
	s_or_b64 exec, exec, s[22:23]
	buffer_load_dword v44, off, s[0:3], s33 offset:180 ; 4-byte Folded Reload
	buffer_load_dword v60, off, s[0:3], s33 offset:168 ; 4-byte Folded Reload
	buffer_load_dword v61, off, s[0:3], s33 offset:172 ; 4-byte Folded Reload
	buffer_load_dword v47, off, s[0:3], s33 offset:184 ; 4-byte Folded Reload
	buffer_load_dword v56, off, s[0:3], s33 offset:176 ; 4-byte Folded Reload
	buffer_load_dword v45, off, s[0:3], s33 offset:212 ; 4-byte Folded Reload
	buffer_load_dword v46, off, s[0:3], s33 offset:216 ; 4-byte Folded Reload
.LBB4_3831:                             ;   in Loop: Header=BB4_2603 Depth=1
	s_or_b64 exec, exec, s[20:21]
	buffer_load_dword v0, off, s[0:3], s33 offset:148 ; 4-byte Folded Reload
	s_mov_b64 s[18:19], 0
	v_mov_b32_e32 v10, 0
                                        ; implicit-def: $vgpr11
                                        ; implicit-def: $vgpr12
	s_waitcnt vmcnt(0)
	v_and_b32_e32 v1, 0x3ffff800, v0
	v_cmp_ne_u32_e32 vcc, v0, v1
                                        ; implicit-def: $vgpr0
	s_and_saveexec_b64 s[76:77], vcc
	s_cbranch_execz .LBB4_4383
; %bb.3832:                             ;   in Loop: Header=BB4_2603 Depth=1
	buffer_load_dword v11, off, s[0:3], s33 offset:148 ; 4-byte Folded Reload
	v_lshlrev_b32_e32 v0, 6, v3
	buffer_load_dword v3, off, s[0:3], s33 offset:220 ; 4-byte Folded Reload
	s_waitcnt vmcnt(1)
	v_and_b32_e32 v2, 0x7ff, v11
	v_and_b32_e32 v25, 0x3ff, v11
	s_waitcnt vmcnt(0)
	v_sub_u32_e32 v0, v3, v0
	v_ashrrev_i32_e32 v3, 31, v0
	v_lshrrev_b32_e32 v3, 26, v3
	v_add_u32_e32 v3, v0, v3
	v_ashrrev_i32_e32 v10, 6, v3
	v_and_b32_e32 v3, 0xffffffc0, v3
	v_sub_u32_e32 v4, v0, v3
	v_lshlrev_b32_e32 v0, 4, v4
	v_lshl_add_u32 v0, v10, 10, v0
	v_sub_u32_e32 v26, v2, v0
	v_bfe_u32 v2, v11, 10, 1
	v_cmp_lt_u32_e32 vcc, 15, v25
	v_addc_co_u32_e64 v2, s[18:19], 0, v2, vcc
	v_sub_u32_e32 v24, v2, v10
	v_cmp_lt_i32_e64 s[18:19], 15, v26
	s_and_saveexec_b64 s[78:79], s[18:19]
	s_cbranch_execz .LBB4_4380
; %bb.3833:                             ;   in Loop: Header=BB4_2603 Depth=1
	v_add_u32_e32 v2, v0, v1
	s_trap 2
	ds_read_b64 v[0:1], v0
	buffer_load_dword v10, off, s[0:3], s33 offset:160 ; 4-byte Folded Reload
	buffer_load_dword v11, off, s[0:3], s33 offset:164 ; 4-byte Folded Reload
	v_ashrrev_i32_e32 v3, 31, v2
	v_mov_b32_e32 v57, v61
	s_mov_b64 s[88:89], 0
	s_waitcnt vmcnt(1)
	v_add_co_u32_e64 v18, s[18:19], v2, v10
	s_waitcnt vmcnt(0)
	v_addc_co_u32_e64 v19, s[18:19], v3, v11, s[18:19]
	s_waitcnt lgkmcnt(0)
	v_add_co_u32_e64 v20, s[18:19], v0, v2
	v_addc_co_u32_e64 v21, s[18:19], v1, v3, s[18:19]
	buffer_load_dword v0, off, s[0:3], s33 offset:188 ; 4-byte Folded Reload
	buffer_load_dword v1, off, s[0:3], s33 offset:192 ; 4-byte Folded Reload
	s_waitcnt vmcnt(1)
	v_add_co_u32_e64 v22, s[18:19], v2, v0
	s_waitcnt vmcnt(0)
	v_addc_co_u32_e64 v23, s[18:19], v3, v1, s[18:19]
	s_branch .LBB4_3836
.LBB4_3834:                             ;   in Loop: Header=BB4_3836 Depth=2
	s_or_b64 exec, exec, s[22:23]
.LBB4_3835:                             ;   in Loop: Header=BB4_3836 Depth=2
	s_or_b64 exec, exec, s[20:21]
	v_lshl_or_b32 v1, v34, 8, v31
	v_lshlrev_b32_e32 v2, 16, v35
	v_lshlrev_b32_e32 v10, 24, v10
	v_or3_b32 v13, v1, v2, v10
	v_lshl_or_b32 v1, v28, 8, v27
	v_lshlrev_b32_e32 v2, 16, v29
	v_lshlrev_b32_e32 v10, 24, v30
	v_or3_b32 v12, v1, v2, v10
	v_lshl_or_b32 v1, v14, 8, v11
	v_lshlrev_b32_e32 v2, 16, v15
	v_lshlrev_b32_e32 v10, 24, v48
	v_or3_b32 v14, v1, v2, v10
	v_lshlrev_b32_e32 v0, 24, v0
	v_lshlrev_b32_e32 v1, 16, v54
	v_lshl_or_b32 v2, v49, 8, v3
	v_or3_b32 v15, v2, v1, v0
	buffer_load_dword v0, off, s[0:3], s33 offset:112 ; 4-byte Folded Reload
	s_waitcnt vmcnt(0)
	v_add_co_u32_e64 v18, s[18:19], v18, v0
	v_addc_co_u32_e64 v19, s[18:19], 0, v19, s[18:19]
	v_add_co_u32_e64 v20, s[18:19], v20, v0
	v_addc_co_u32_e64 v21, s[18:19], 0, v21, s[18:19]
	global_store_dwordx4 v[22:23], v[12:15], off glc slc
	v_add_co_u32_e64 v22, s[18:19], v22, v0
	v_sub_u32_e32 v26, v26, v0
	buffer_load_dword v0, off, s[0:3], s33 offset:68 ; 4-byte Folded Reload
	v_addc_co_u32_e64 v23, s[18:19], 0, v23, s[18:19]
	v_cmp_gt_i32_e64 s[18:19], 16, v26
	s_or_b64 s[88:89], s[18:19], s[88:89]
	s_waitcnt vmcnt(0)
	v_sub_u32_e32 v24, v24, v0
	s_andn2_b64 exec, exec, s[88:89]
	s_cbranch_execz .LBB4_4379
.LBB4_3836:                             ;   Parent Loop BB4_2603 Depth=1
                                        ; =>  This Inner Loop Header: Depth=2
	global_load_dwordx4 v[14:17], v[18:19], off glc slc
	global_load_dwordx4 v[10:13], v[20:21], off glc slc
	v_mov_b32_e32 v0, 0
	s_waitcnt vmcnt(1)
	v_cmp_ne_u16_sdwa s[18:19], v14, v51 src0_sel:BYTE_0 src1_sel:DWORD
	s_and_saveexec_b64 s[20:21], s[18:19]
	s_cbranch_execz .LBB4_3844
; %bb.3837:                             ;   in Loop: Header=BB4_3836 Depth=2
	v_cmp_ne_u16_sdwa s[18:19], sext(v14), s49 src0_sel:BYTE_0 src1_sel:DWORD
	v_bfrev_b32_e32 v0, 1
	s_and_saveexec_b64 s[22:23], s[18:19]
	s_cbranch_execz .LBB4_3843
; %bb.3838:                             ;   in Loop: Header=BB4_3836 Depth=2
	v_and_b32_e32 v0, 0x7c, v14
	v_and_b32_e32 v1, 3, v14
	v_cmp_ne_u32_e64 s[18:19], s50, v0
                                        ; implicit-def: $vgpr0
	s_and_saveexec_b64 s[90:91], s[18:19]
	s_xor_b64 s[90:91], exec, s[90:91]
	s_cbranch_execz .LBB4_3840
; %bb.3839:                             ;   in Loop: Header=BB4_3836 Depth=2
	v_ffbh_u32_e32 v2, v1
	v_min_u32_e32 v27, 32, v2
	v_subrev_u32_e32 v2, 29, v27
	v_lshlrev_b64 v[2:3], v2, v[14:15]
	v_bfe_u32 v0, v14, 2, 5
	v_and_b32_e32 v2, 3, v2
	v_cmp_eq_u32_e64 s[18:19], 0, v0
	v_sub_u32_e32 v3, 30, v27
	v_cndmask_b32_e64 v1, v1, v2, s[18:19]
	v_lshlrev_b32_e32 v2, 24, v14
	v_cndmask_b32_e64 v0, v0, v3, s[18:19]
	v_and_b32_e32 v2, 0x80000000, v2
	v_lshl_add_u32 v0, v0, 23, v2
	v_lshl_or_b32 v0, v1, 21, v0
	v_add_u32_e32 v0, 0x38000000, v0
                                        ; implicit-def: $vgpr1
.LBB4_3840:                             ;   in Loop: Header=BB4_3836 Depth=2
	s_andn2_saveexec_b64 s[90:91], s[90:91]
; %bb.3841:                             ;   in Loop: Header=BB4_3836 Depth=2
	v_cmp_gt_i16_sdwa s[18:19], sext(v14), v43 src0_sel:BYTE_0 src1_sel:DWORD
	v_cndmask_b32_e64 v0, v5, v36, s[18:19]
	v_cmp_eq_u32_e64 s[18:19], 0, v1
	v_cndmask_b32_e64 v0, v37, v0, s[18:19]
; %bb.3842:                             ;   in Loop: Header=BB4_3836 Depth=2
	s_or_b64 exec, exec, s[90:91]
.LBB4_3843:                             ;   in Loop: Header=BB4_3836 Depth=2
	s_or_b64 exec, exec, s[22:23]
.LBB4_3844:                             ;   in Loop: Header=BB4_3836 Depth=2
	s_or_b64 exec, exec, s[20:21]
	s_waitcnt vmcnt(0)
	v_cmp_gt_i16_sdwa s[20:21], v10, s54 src0_sel:BYTE_0 src1_sel:DWORD
	s_mov_b64 s[18:19], 0
	s_and_saveexec_b64 s[22:23], s[20:21]
	s_xor_b64 s[20:21], exec, s[22:23]
	s_cbranch_execz .LBB4_4359
; %bb.3845:                             ;   in Loop: Header=BB4_3836 Depth=2
	v_cmp_eq_u16_sdwa s[90:91], v10, s52 src0_sel:BYTE_0 src1_sel:DWORD
	s_mov_b64 s[18:19], -1
	s_and_saveexec_b64 s[22:23], s[90:91]
; %bb.3846:                             ;   in Loop: Header=BB4_3836 Depth=2
	s_xor_b64 s[18:19], exec, -1
; %bb.3847:                             ;   in Loop: Header=BB4_3836 Depth=2
	s_or_b64 exec, exec, s[22:23]
	s_and_b64 s[18:19], s[18:19], exec
	s_or_saveexec_b64 s[20:21], s[20:21]
	v_bfrev_b32_e32 v1, 1
	s_xor_b64 exec, exec, s[20:21]
	s_cbranch_execnz .LBB4_4360
.LBB4_3848:                             ;   in Loop: Header=BB4_3836 Depth=2
	s_or_b64 exec, exec, s[20:21]
	s_and_saveexec_b64 s[90:91], s[18:19]
	s_cbranch_execz .LBB4_3850
.LBB4_3849:                             ;   in Loop: Header=BB4_3836 Depth=2
	v_and_b32_e32 v3, 3, v10
	v_and_b32_e32 v1, 0x7c, v10
	v_cmp_eq_u32_e64 s[18:19], s50, v1
	v_ffbh_u32_e32 v1, v3
	v_min_u32_e32 v28, 32, v1
	v_subrev_u32_e32 v1, 29, v28
	v_bfe_u32 v27, v10, 2, 5
	v_lshlrev_b64 v[1:2], v1, v[10:11]
	v_cmp_eq_u32_e64 s[20:21], 0, v27
	v_sub_u32_e32 v2, 30, v28
	v_cndmask_b32_e64 v2, v27, v2, s[20:21]
	v_lshlrev_b32_e32 v27, 24, v10
	v_and_b32_e32 v1, 3, v1
	v_and_b32_e32 v27, 0x80000000, v27
	v_cndmask_b32_e64 v1, v3, v1, s[20:21]
	v_lshl_add_u32 v2, v2, 23, v27
	v_cmp_gt_i16_sdwa s[22:23], sext(v10), v43 src0_sel:BYTE_0 src1_sel:DWORD
	v_lshl_or_b32 v1, v1, 21, v2
	v_cmp_eq_u32_e64 s[20:21], 0, v3
	v_cndmask_b32_e64 v2, v5, v36, s[22:23]
	v_add_u32_e32 v1, 0x38000000, v1
	v_cndmask_b32_e64 v2, v37, v2, s[20:21]
	v_cndmask_b32_e64 v1, v1, v2, s[18:19]
.LBB4_3850:                             ;   in Loop: Header=BB4_3836 Depth=2
	s_or_b64 exec, exec, s[90:91]
	v_mul_f32_e32 v0, v0, v1
	v_and_b32_e32 v1, 0x7f800000, v0
	v_mov_b32_e32 v2, v51
	v_cmp_ne_u64_e64 s[18:19], s[58:59], v[1:2]
	v_and_b32_e32 v50, 0x7fffff, v0
                                        ; implicit-def: $vgpr27
	s_and_saveexec_b64 s[20:21], s[18:19]
	s_xor_b64 s[22:23], exec, s[20:21]
	s_cbranch_execz .LBB4_3864
; %bb.3851:                             ;   in Loop: Header=BB4_3836 Depth=2
	v_and_b32_e32 v1, 0x7fffffff, v0
	v_mov_b32_e32 v2, v51
	v_cmp_gt_u64_e64 s[18:19], s[60:61], v[1:2]
	v_and_b32_sdwa v3, v0, s52 dst_sel:DWORD dst_unused:UNUSED_PAD src0_sel:BYTE_3 src1_sel:DWORD
                                        ; implicit-def: $vgpr27
	s_and_saveexec_b64 s[20:21], s[18:19]
	s_xor_b64 s[90:91], exec, s[20:21]
	s_cbranch_execz .LBB4_3861
; %bb.3852:                             ;   in Loop: Header=BB4_3836 Depth=2
	v_mov_b32_e32 v27, 0
	v_cmp_ne_u32_e64 s[18:19], 0, v0
	s_and_saveexec_b64 s[92:93], s[18:19]
	s_cbranch_execz .LBB4_3860
; %bb.3853:                             ;   in Loop: Header=BB4_3836 Depth=2
	v_bfe_u32 v27, v0, 23, 8
	v_cmp_gt_u32_e64 s[20:21], s53, v27
	v_sub_u32_e32 v0, 0x71, v27
	v_cmp_eq_u32_e64 s[18:19], 0, v27
	v_cndmask_b32_e64 v0, 0, v0, s[20:21]
	v_mov_b32_e32 v2, 0x70
	v_cndmask_b32_e64 v28, v0, v2, s[18:19]
	v_or_b32_e32 v1, 0x800000, v50
	v_add_u32_e32 v0, 21, v28
	v_cndmask_b32_e64 v50, v1, v50, s[18:19]
	v_lshlrev_b64 v[0:1], v0, -1
	v_add_u32_e32 v2, 20, v28
	v_lshlrev_b64 v[29:30], v2, 1
	v_bfi_b32 v1, v1, 0, 0
	v_bfi_b32 v0, v0, 0, v50
	v_cmp_eq_u64_e64 s[20:21], v[0:1], v[29:30]
	v_lshrrev_b64 v[0:1], v28, v[50:51]
	v_mov_b32_e32 v2, v1
	v_mov_b32_e32 v1, v0
	s_and_saveexec_b64 s[94:95], s[20:21]
; %bb.3854:                             ;   in Loop: Header=BB4_3836 Depth=2
	v_bfe_u32 v1, v0, 21, 1
	v_add_co_u32_e64 v1, s[20:21], v0, v1
	v_add_co_u32_e64 v1, s[20:21], -1, v1
; %bb.3855:                             ;   in Loop: Header=BB4_3836 Depth=2
	s_or_b64 exec, exec, s[94:95]
	v_add_u32_e32 v2, 0xffffff81, v27
	v_mov_b32_e32 v27, 0xffffff82
	v_cndmask_b32_e64 v2, v2, v27, s[18:19]
	v_lshrrev_b32_e32 v27, 23, v0
	v_add3_u32 v28, v28, v2, v27
	v_add_u32_e32 v27, 14, v28
	v_and_b32_e32 v1, 0x1fffff, v1
	v_add_u32_e32 v50, v1, v0
	v_cmp_ne_u32_e64 s[18:19], 0, v27
                                        ; implicit-def: $vgpr0_vgpr1
                                        ; implicit-def: $vgpr2
	s_and_saveexec_b64 s[20:21], s[18:19]
	s_xor_b64 s[20:21], exec, s[20:21]
; %bb.3856:                             ;   in Loop: Header=BB4_3836 Depth=2
	v_cmp_lt_u64_e64 s[18:19], s[62:63], v[50:51]
	v_add_u32_e32 v0, 15, v28
	v_cndmask_b32_e64 v2, v27, v0, s[18:19]
	v_cndmask_b32_e64 v0, 0, 1, s[18:19]
	v_lshrrev_b64 v[0:1], v0, v[50:51]
; %bb.3857:                             ;   in Loop: Header=BB4_3836 Depth=2
	s_andn2_saveexec_b64 s[18:19], s[20:21]
; %bb.3858:                             ;   in Loop: Header=BB4_3836 Depth=2
	v_mov_b32_e32 v0, v50
	v_bfe_u32 v2, v50, 23, 1
	v_mov_b32_e32 v1, v51
; %bb.3859:                             ;   in Loop: Header=BB4_3836 Depth=2
	s_or_b64 exec, exec, s[18:19]
	v_lshrrev_b64 v[0:1], 21, v[0:1]
	v_cmp_gt_i32_e64 s[18:19], 32, v2
	v_cndmask_b32_e64 v1, 0, v1, s[18:19]
	v_cndmask_b32_e64 v0, 3, v0, s[18:19]
	v_cmp_eq_u64_e64 s[20:21], 0, v[0:1]
	v_min_i32_e32 v1, 31, v2
	v_lshlrev_b32_e32 v1, 2, v1
	v_cmp_eq_u32_e64 s[18:19], 0, v2
	v_and_b32_e32 v1, 0xfc, v1
	v_and_or_b32 v0, v0, 3, v1
	s_and_b64 s[18:19], s[18:19], s[20:21]
	v_cndmask_b32_e64 v0, v0, 0, s[18:19]
	v_or_b32_e32 v27, v0, v3
.LBB4_3860:                             ;   in Loop: Header=BB4_3836 Depth=2
	s_or_b64 exec, exec, s[92:93]
                                        ; implicit-def: $vgpr3
.LBB4_3861:                             ;   in Loop: Header=BB4_3836 Depth=2
	s_andn2_saveexec_b64 s[18:19], s[90:91]
; %bb.3862:                             ;   in Loop: Header=BB4_3836 Depth=2
	v_or_b32_e32 v27, 0x7b, v3
; %bb.3863:                             ;   in Loop: Header=BB4_3836 Depth=2
	s_or_b64 exec, exec, s[18:19]
                                        ; implicit-def: $vgpr0
.LBB4_3864:                             ;   in Loop: Header=BB4_3836 Depth=2
	s_andn2_saveexec_b64 s[20:21], s[22:23]
	s_cbranch_execz .LBB4_3870
; %bb.3865:                             ;   in Loop: Header=BB4_3836 Depth=2
	v_cmp_ne_u64_e64 s[18:19], 0, v[50:51]
                                        ; implicit-def: $vgpr27
	s_and_saveexec_b64 s[22:23], s[18:19]
	s_xor_b64 s[18:19], exec, s[22:23]
; %bb.3866:                             ;   in Loop: Header=BB4_3836 Depth=2
	v_or_b32_sdwa v27, v0, s54 dst_sel:DWORD dst_unused:UNUSED_PAD src0_sel:BYTE_3 src1_sel:DWORD
                                        ; implicit-def: $vgpr0
; %bb.3867:                             ;   in Loop: Header=BB4_3836 Depth=2
	s_andn2_saveexec_b64 s[22:23], s[18:19]
; %bb.3868:                             ;   in Loop: Header=BB4_3836 Depth=2
	v_cmp_lt_i32_e64 s[18:19], -1, v0
	v_bfrev_b32_e32 v0, 0.5
	v_mov_b32_e32 v1, 0x7c
	v_cndmask_b32_e64 v27, v0, v1, s[18:19]
; %bb.3869:                             ;   in Loop: Header=BB4_3836 Depth=2
	s_or_b64 exec, exec, s[22:23]
.LBB4_3870:                             ;   in Loop: Header=BB4_3836 Depth=2
	s_or_b64 exec, exec, s[20:21]
	v_lshrrev_b16_e32 v50, 8, v14
	v_cmp_ne_u16_e64 s[18:19], 0, v50
	v_mov_b32_e32 v0, 0
	s_and_saveexec_b64 s[20:21], s[18:19]
	s_cbranch_execz .LBB4_3878
; %bb.3871:                             ;   in Loop: Header=BB4_3836 Depth=2
	v_cmp_ne_u16_e64 s[18:19], s52, v50
	v_bfrev_b32_e32 v0, 1
	s_and_saveexec_b64 s[22:23], s[18:19]
	s_cbranch_execz .LBB4_3877
; %bb.3872:                             ;   in Loop: Header=BB4_3836 Depth=2
	v_and_b32_e32 v0, 0x7c, v50
	v_and_b32_e32 v1, 3, v50
	v_cmp_ne_u32_e64 s[18:19], s50, v0
                                        ; implicit-def: $vgpr0
	s_and_saveexec_b64 s[90:91], s[18:19]
	s_xor_b64 s[90:91], exec, s[90:91]
	s_cbranch_execz .LBB4_3874
; %bb.3873:                             ;   in Loop: Header=BB4_3836 Depth=2
	v_ffbh_u32_e32 v2, v1
	v_min_u32_e32 v28, 32, v2
	v_subrev_u32_e32 v2, 29, v28
	v_lshlrev_b64 v[2:3], v2, v[50:51]
	v_bfe_u32 v0, v50, 2, 5
	v_and_b32_e32 v2, 3, v2
	v_cmp_eq_u32_e64 s[18:19], 0, v0
	v_sub_u32_e32 v3, 30, v28
	v_cndmask_b32_e64 v1, v1, v2, s[18:19]
	v_lshlrev_b32_e32 v2, 16, v14
	v_cndmask_b32_e64 v0, v0, v3, s[18:19]
	v_and_b32_e32 v2, 0x80000000, v2
	v_lshl_add_u32 v0, v0, 23, v2
	v_lshl_or_b32 v0, v1, 21, v0
	v_add_u32_e32 v0, 0x38000000, v0
                                        ; implicit-def: $vgpr1
.LBB4_3874:                             ;   in Loop: Header=BB4_3836 Depth=2
	s_andn2_saveexec_b64 s[90:91], s[90:91]
; %bb.3875:                             ;   in Loop: Header=BB4_3836 Depth=2
	v_cmp_lt_i16_e64 s[18:19], -1, v14
	v_cndmask_b32_e64 v0, v5, v36, s[18:19]
	v_cmp_eq_u32_e64 s[18:19], 0, v1
	v_cndmask_b32_e64 v0, v37, v0, s[18:19]
; %bb.3876:                             ;   in Loop: Header=BB4_3836 Depth=2
	s_or_b64 exec, exec, s[90:91]
.LBB4_3877:                             ;   in Loop: Header=BB4_3836 Depth=2
	s_or_b64 exec, exec, s[22:23]
.LBB4_3878:                             ;   in Loop: Header=BB4_3836 Depth=2
	s_or_b64 exec, exec, s[20:21]
	v_lshrrev_b16_e32 v50, 8, v10
	v_cmp_lt_i16_e64 s[18:19], s54, v50
	s_mov_b64 s[20:21], 0
	s_and_saveexec_b64 s[22:23], s[18:19]
	s_xor_b64 s[22:23], exec, s[22:23]
	s_cbranch_execz .LBB4_4361
; %bb.3879:                             ;   in Loop: Header=BB4_3836 Depth=2
	v_cmp_eq_u16_e64 s[18:19], s52, v50
	s_mov_b64 s[20:21], -1
	s_and_saveexec_b64 s[90:91], s[18:19]
; %bb.3880:                             ;   in Loop: Header=BB4_3836 Depth=2
	s_xor_b64 s[20:21], exec, -1
; %bb.3881:                             ;   in Loop: Header=BB4_3836 Depth=2
	s_or_b64 exec, exec, s[90:91]
	s_and_b64 s[20:21], s[20:21], exec
	s_or_saveexec_b64 s[22:23], s[22:23]
	v_bfrev_b32_e32 v1, 1
	s_xor_b64 exec, exec, s[22:23]
	s_cbranch_execnz .LBB4_4362
.LBB4_3882:                             ;   in Loop: Header=BB4_3836 Depth=2
	s_or_b64 exec, exec, s[22:23]
	s_and_saveexec_b64 s[90:91], s[20:21]
	s_cbranch_execz .LBB4_3884
.LBB4_3883:                             ;   in Loop: Header=BB4_3836 Depth=2
	v_and_b32_e32 v3, 3, v50
	v_and_b32_e32 v1, 0x7c, v50
	v_cmp_eq_u32_e64 s[18:19], s50, v1
	v_ffbh_u32_e32 v1, v3
	v_min_u32_e32 v29, 32, v1
	v_subrev_u32_e32 v1, 29, v29
	v_bfe_u32 v28, v50, 2, 5
	v_lshlrev_b64 v[1:2], v1, v[50:51]
	v_cmp_eq_u32_e64 s[20:21], 0, v28
	v_sub_u32_e32 v2, 30, v29
	v_cndmask_b32_e64 v2, v28, v2, s[20:21]
	v_lshlrev_b32_e32 v28, 24, v50
	v_and_b32_e32 v1, 3, v1
	v_and_b32_e32 v28, 0x80000000, v28
	v_cndmask_b32_e64 v1, v3, v1, s[20:21]
	v_lshl_add_u32 v2, v2, 23, v28
	v_cmp_lt_i16_e64 s[22:23], -1, v10
	v_lshl_or_b32 v1, v1, 21, v2
	v_cmp_eq_u32_e64 s[20:21], 0, v3
	v_cndmask_b32_e64 v2, v5, v36, s[22:23]
	v_add_u32_e32 v1, 0x38000000, v1
	v_cndmask_b32_e64 v2, v37, v2, s[20:21]
	v_cndmask_b32_e64 v1, v1, v2, s[18:19]
.LBB4_3884:                             ;   in Loop: Header=BB4_3836 Depth=2
	s_or_b64 exec, exec, s[90:91]
	v_mul_f32_e32 v0, v0, v1
	v_and_b32_e32 v1, 0x7f800000, v0
	v_mov_b32_e32 v2, v51
	v_cmp_ne_u64_e64 s[18:19], s[58:59], v[1:2]
	v_and_b32_e32 v50, 0x7fffff, v0
                                        ; implicit-def: $vgpr28
	s_and_saveexec_b64 s[20:21], s[18:19]
	s_xor_b64 s[22:23], exec, s[20:21]
	s_cbranch_execz .LBB4_3898
; %bb.3885:                             ;   in Loop: Header=BB4_3836 Depth=2
	v_and_b32_e32 v1, 0x7fffffff, v0
	v_mov_b32_e32 v2, v51
	v_cmp_gt_u64_e64 s[18:19], s[60:61], v[1:2]
	v_and_b32_sdwa v3, v0, s52 dst_sel:DWORD dst_unused:UNUSED_PAD src0_sel:BYTE_3 src1_sel:DWORD
                                        ; implicit-def: $vgpr28
	s_and_saveexec_b64 s[20:21], s[18:19]
	s_xor_b64 s[90:91], exec, s[20:21]
	s_cbranch_execz .LBB4_3895
; %bb.3886:                             ;   in Loop: Header=BB4_3836 Depth=2
	v_mov_b32_e32 v28, 0
	v_cmp_ne_u32_e64 s[18:19], 0, v0
	s_and_saveexec_b64 s[92:93], s[18:19]
	s_cbranch_execz .LBB4_3894
; %bb.3887:                             ;   in Loop: Header=BB4_3836 Depth=2
	v_bfe_u32 v28, v0, 23, 8
	v_cmp_gt_u32_e64 s[20:21], s53, v28
	v_sub_u32_e32 v0, 0x71, v28
	v_cmp_eq_u32_e64 s[18:19], 0, v28
	v_cndmask_b32_e64 v0, 0, v0, s[20:21]
	v_mov_b32_e32 v2, 0x70
	v_cndmask_b32_e64 v29, v0, v2, s[18:19]
	v_or_b32_e32 v1, 0x800000, v50
	v_add_u32_e32 v0, 21, v29
	v_cndmask_b32_e64 v50, v1, v50, s[18:19]
	v_lshlrev_b64 v[0:1], v0, -1
	v_add_u32_e32 v2, 20, v29
	v_lshlrev_b64 v[30:31], v2, 1
	v_bfi_b32 v1, v1, 0, 0
	v_bfi_b32 v0, v0, 0, v50
	v_cmp_eq_u64_e64 s[20:21], v[0:1], v[30:31]
	v_lshrrev_b64 v[0:1], v29, v[50:51]
	v_mov_b32_e32 v2, v1
	v_mov_b32_e32 v1, v0
	s_and_saveexec_b64 s[94:95], s[20:21]
; %bb.3888:                             ;   in Loop: Header=BB4_3836 Depth=2
	v_bfe_u32 v1, v0, 21, 1
	v_add_co_u32_e64 v1, s[20:21], v0, v1
	v_add_co_u32_e64 v1, s[20:21], -1, v1
; %bb.3889:                             ;   in Loop: Header=BB4_3836 Depth=2
	s_or_b64 exec, exec, s[94:95]
	v_add_u32_e32 v2, 0xffffff81, v28
	v_mov_b32_e32 v28, 0xffffff82
	v_cndmask_b32_e64 v2, v2, v28, s[18:19]
	v_lshrrev_b32_e32 v28, 23, v0
	v_add3_u32 v29, v29, v2, v28
	v_add_u32_e32 v28, 14, v29
	v_and_b32_e32 v1, 0x1fffff, v1
	v_add_u32_e32 v50, v1, v0
	v_cmp_ne_u32_e64 s[18:19], 0, v28
                                        ; implicit-def: $vgpr0_vgpr1
                                        ; implicit-def: $vgpr2
	s_and_saveexec_b64 s[20:21], s[18:19]
	s_xor_b64 s[20:21], exec, s[20:21]
; %bb.3890:                             ;   in Loop: Header=BB4_3836 Depth=2
	v_cmp_lt_u64_e64 s[18:19], s[62:63], v[50:51]
	v_add_u32_e32 v0, 15, v29
	v_cndmask_b32_e64 v2, v28, v0, s[18:19]
	v_cndmask_b32_e64 v0, 0, 1, s[18:19]
	v_lshrrev_b64 v[0:1], v0, v[50:51]
; %bb.3891:                             ;   in Loop: Header=BB4_3836 Depth=2
	s_andn2_saveexec_b64 s[18:19], s[20:21]
; %bb.3892:                             ;   in Loop: Header=BB4_3836 Depth=2
	v_mov_b32_e32 v0, v50
	v_bfe_u32 v2, v50, 23, 1
	v_mov_b32_e32 v1, v51
; %bb.3893:                             ;   in Loop: Header=BB4_3836 Depth=2
	s_or_b64 exec, exec, s[18:19]
	v_lshrrev_b64 v[0:1], 21, v[0:1]
	v_cmp_gt_i32_e64 s[18:19], 32, v2
	v_cndmask_b32_e64 v1, 0, v1, s[18:19]
	v_cndmask_b32_e64 v0, 3, v0, s[18:19]
	v_cmp_eq_u64_e64 s[20:21], 0, v[0:1]
	v_min_i32_e32 v1, 31, v2
	v_lshlrev_b32_e32 v1, 2, v1
	v_cmp_eq_u32_e64 s[18:19], 0, v2
	v_and_b32_e32 v1, 0xfc, v1
	v_and_or_b32 v0, v0, 3, v1
	s_and_b64 s[18:19], s[18:19], s[20:21]
	v_cndmask_b32_e64 v0, v0, 0, s[18:19]
	v_or_b32_e32 v28, v0, v3
.LBB4_3894:                             ;   in Loop: Header=BB4_3836 Depth=2
	s_or_b64 exec, exec, s[92:93]
                                        ; implicit-def: $vgpr3
.LBB4_3895:                             ;   in Loop: Header=BB4_3836 Depth=2
	s_andn2_saveexec_b64 s[18:19], s[90:91]
; %bb.3896:                             ;   in Loop: Header=BB4_3836 Depth=2
	v_or_b32_e32 v28, 0x7b, v3
; %bb.3897:                             ;   in Loop: Header=BB4_3836 Depth=2
	s_or_b64 exec, exec, s[18:19]
                                        ; implicit-def: $vgpr0
.LBB4_3898:                             ;   in Loop: Header=BB4_3836 Depth=2
	s_andn2_saveexec_b64 s[20:21], s[22:23]
	s_cbranch_execz .LBB4_3904
; %bb.3899:                             ;   in Loop: Header=BB4_3836 Depth=2
	v_cmp_ne_u64_e64 s[18:19], 0, v[50:51]
                                        ; implicit-def: $vgpr28
	s_and_saveexec_b64 s[22:23], s[18:19]
	s_xor_b64 s[18:19], exec, s[22:23]
; %bb.3900:                             ;   in Loop: Header=BB4_3836 Depth=2
	v_or_b32_sdwa v28, v0, s54 dst_sel:DWORD dst_unused:UNUSED_PAD src0_sel:BYTE_3 src1_sel:DWORD
                                        ; implicit-def: $vgpr0
; %bb.3901:                             ;   in Loop: Header=BB4_3836 Depth=2
	s_andn2_saveexec_b64 s[22:23], s[18:19]
; %bb.3902:                             ;   in Loop: Header=BB4_3836 Depth=2
	v_cmp_lt_i32_e64 s[18:19], -1, v0
	v_bfrev_b32_e32 v0, 0.5
	v_mov_b32_e32 v1, 0x7c
	v_cndmask_b32_e64 v28, v0, v1, s[18:19]
; %bb.3903:                             ;   in Loop: Header=BB4_3836 Depth=2
	s_or_b64 exec, exec, s[22:23]
.LBB4_3904:                             ;   in Loop: Header=BB4_3836 Depth=2
	s_or_b64 exec, exec, s[20:21]
	v_lshrrev_b32_e32 v0, 16, v14
	v_cmp_ne_u16_sdwa s[18:19], v0, v51 src0_sel:BYTE_0 src1_sel:DWORD
	v_mov_b32_e32 v1, 0
	s_and_saveexec_b64 s[20:21], s[18:19]
	s_cbranch_execz .LBB4_3912
; %bb.3905:                             ;   in Loop: Header=BB4_3836 Depth=2
	v_cmp_ne_u16_sdwa s[18:19], v0, s52 src0_sel:BYTE_0 src1_sel:DWORD
	v_bfrev_b32_e32 v1, 1
	s_and_saveexec_b64 s[22:23], s[18:19]
	s_cbranch_execz .LBB4_3911
; %bb.3906:                             ;   in Loop: Header=BB4_3836 Depth=2
	v_and_b32_e32 v1, 0x7c0000, v14
	v_bfe_u32 v2, v14, 16, 2
	v_cmp_ne_u32_e64 s[18:19], s55, v1
                                        ; implicit-def: $vgpr1
	s_and_saveexec_b64 s[90:91], s[18:19]
	s_xor_b64 s[90:91], exec, s[90:91]
	s_cbranch_execz .LBB4_3908
; %bb.3907:                             ;   in Loop: Header=BB4_3836 Depth=2
	v_ffbh_u32_e32 v1, v2
	v_min_u32_e32 v29, 32, v1
	v_subrev_u32_e32 v1, 29, v29
	v_lshlrev_b64 v[0:1], v1, v[0:1]
	v_bfe_u32 v3, v14, 18, 5
	v_and_b32_e32 v0, 3, v0
	v_cmp_eq_u32_e64 s[18:19], 0, v3
	v_sub_u32_e32 v1, 30, v29
	v_cndmask_b32_e64 v0, v2, v0, s[18:19]
	v_lshlrev_b32_e32 v2, 8, v14
	v_cndmask_b32_e64 v1, v3, v1, s[18:19]
	v_and_b32_e32 v2, 0x80000000, v2
	v_lshl_add_u32 v1, v1, 23, v2
	v_lshl_or_b32 v0, v0, 21, v1
	v_add_u32_e32 v1, 0x38000000, v0
                                        ; implicit-def: $vgpr2
                                        ; implicit-def: $vgpr0
.LBB4_3908:                             ;   in Loop: Header=BB4_3836 Depth=2
	s_andn2_saveexec_b64 s[90:91], s[90:91]
; %bb.3909:                             ;   in Loop: Header=BB4_3836 Depth=2
	v_cmp_gt_i16_sdwa s[18:19], sext(v0), v43 src0_sel:BYTE_0 src1_sel:DWORD
	v_cndmask_b32_e64 v0, v5, v36, s[18:19]
	v_cmp_eq_u32_e64 s[18:19], 0, v2
	v_cndmask_b32_e64 v1, v37, v0, s[18:19]
; %bb.3910:                             ;   in Loop: Header=BB4_3836 Depth=2
	s_or_b64 exec, exec, s[90:91]
.LBB4_3911:                             ;   in Loop: Header=BB4_3836 Depth=2
	s_or_b64 exec, exec, s[22:23]
.LBB4_3912:                             ;   in Loop: Header=BB4_3836 Depth=2
	s_or_b64 exec, exec, s[20:21]
	v_lshrrev_b32_e32 v0, 16, v10
	v_cmp_gt_i16_sdwa s[20:21], v0, s54 src0_sel:BYTE_0 src1_sel:DWORD
	s_mov_b64 s[18:19], 0
	s_and_saveexec_b64 s[22:23], s[20:21]
	s_xor_b64 s[20:21], exec, s[22:23]
	s_cbranch_execz .LBB4_4363
; %bb.3913:                             ;   in Loop: Header=BB4_3836 Depth=2
	v_cmp_eq_u16_sdwa s[90:91], v0, s52 src0_sel:BYTE_0 src1_sel:DWORD
	s_mov_b64 s[18:19], -1
	s_and_saveexec_b64 s[22:23], s[90:91]
; %bb.3914:                             ;   in Loop: Header=BB4_3836 Depth=2
	s_xor_b64 s[18:19], exec, -1
; %bb.3915:                             ;   in Loop: Header=BB4_3836 Depth=2
	s_or_b64 exec, exec, s[22:23]
	s_and_b64 s[18:19], s[18:19], exec
	s_or_saveexec_b64 s[20:21], s[20:21]
	v_bfrev_b32_e32 v2, 1
	s_xor_b64 exec, exec, s[20:21]
	s_cbranch_execnz .LBB4_4364
.LBB4_3916:                             ;   in Loop: Header=BB4_3836 Depth=2
	s_or_b64 exec, exec, s[20:21]
	s_and_saveexec_b64 s[90:91], s[18:19]
	s_cbranch_execz .LBB4_3918
.LBB4_3917:                             ;   in Loop: Header=BB4_3836 Depth=2
	v_and_b32_e32 v29, 3, v0
	v_and_b32_e32 v2, 0x7c0000, v10
	v_cmp_eq_u32_e64 s[18:19], s55, v2
	v_ffbh_u32_e32 v2, v29
	v_min_u32_e32 v31, 32, v2
	v_subrev_u32_e32 v2, 29, v31
	v_bfe_u32 v30, v10, 18, 5
	v_lshlrev_b64 v[2:3], v2, v[0:1]
	v_cmp_eq_u32_e64 s[20:21], 0, v30
	v_sub_u32_e32 v3, 30, v31
	v_cndmask_b32_e64 v3, v30, v3, s[20:21]
	v_lshlrev_b32_e32 v30, 24, v0
	v_and_b32_e32 v2, 3, v2
	v_and_b32_e32 v30, 0x80000000, v30
	v_cndmask_b32_e64 v2, v29, v2, s[20:21]
	v_lshl_add_u32 v3, v3, 23, v30
	v_cmp_gt_i16_sdwa s[22:23], sext(v0), v43 src0_sel:BYTE_0 src1_sel:DWORD
	v_lshl_or_b32 v2, v2, 21, v3
	v_cmp_eq_u32_e64 s[20:21], 0, v29
	v_cndmask_b32_e64 v0, v5, v36, s[22:23]
	v_add_u32_e32 v2, 0x38000000, v2
	v_cndmask_b32_e64 v0, v37, v0, s[20:21]
	v_cndmask_b32_e64 v2, v2, v0, s[18:19]
.LBB4_3918:                             ;   in Loop: Header=BB4_3836 Depth=2
	s_or_b64 exec, exec, s[90:91]
	v_mul_f32_e32 v0, v1, v2
	v_and_b32_e32 v1, 0x7f800000, v0
	v_mov_b32_e32 v2, v51
	v_cmp_ne_u64_e64 s[18:19], s[58:59], v[1:2]
	v_and_b32_e32 v50, 0x7fffff, v0
                                        ; implicit-def: $vgpr29
	s_and_saveexec_b64 s[20:21], s[18:19]
	s_xor_b64 s[22:23], exec, s[20:21]
	s_cbranch_execz .LBB4_3932
; %bb.3919:                             ;   in Loop: Header=BB4_3836 Depth=2
	v_and_b32_e32 v1, 0x7fffffff, v0
	v_mov_b32_e32 v2, v51
	v_cmp_gt_u64_e64 s[18:19], s[60:61], v[1:2]
	v_and_b32_sdwa v3, v0, s52 dst_sel:DWORD dst_unused:UNUSED_PAD src0_sel:BYTE_3 src1_sel:DWORD
                                        ; implicit-def: $vgpr29
	s_and_saveexec_b64 s[20:21], s[18:19]
	s_xor_b64 s[90:91], exec, s[20:21]
	s_cbranch_execz .LBB4_3929
; %bb.3920:                             ;   in Loop: Header=BB4_3836 Depth=2
	v_mov_b32_e32 v29, 0
	v_cmp_ne_u32_e64 s[18:19], 0, v0
	s_and_saveexec_b64 s[92:93], s[18:19]
	s_cbranch_execz .LBB4_3928
; %bb.3921:                             ;   in Loop: Header=BB4_3836 Depth=2
	v_bfe_u32 v29, v0, 23, 8
	v_cmp_gt_u32_e64 s[20:21], s53, v29
	v_sub_u32_e32 v0, 0x71, v29
	v_cmp_eq_u32_e64 s[18:19], 0, v29
	v_cndmask_b32_e64 v0, 0, v0, s[20:21]
	v_mov_b32_e32 v2, 0x70
	v_cndmask_b32_e64 v30, v0, v2, s[18:19]
	v_or_b32_e32 v1, 0x800000, v50
	v_add_u32_e32 v0, 21, v30
	v_cndmask_b32_e64 v50, v1, v50, s[18:19]
	v_lshlrev_b64 v[0:1], v0, -1
	v_add_u32_e32 v2, 20, v30
	v_lshlrev_b64 v[34:35], v2, 1
	v_bfi_b32 v1, v1, 0, 0
	v_bfi_b32 v0, v0, 0, v50
	v_cmp_eq_u64_e64 s[20:21], v[0:1], v[34:35]
	v_lshrrev_b64 v[0:1], v30, v[50:51]
	v_mov_b32_e32 v2, v1
	v_mov_b32_e32 v1, v0
	s_and_saveexec_b64 s[94:95], s[20:21]
; %bb.3922:                             ;   in Loop: Header=BB4_3836 Depth=2
	v_bfe_u32 v1, v0, 21, 1
	v_add_co_u32_e64 v1, s[20:21], v0, v1
	v_add_co_u32_e64 v1, s[20:21], -1, v1
; %bb.3923:                             ;   in Loop: Header=BB4_3836 Depth=2
	s_or_b64 exec, exec, s[94:95]
	v_add_u32_e32 v2, 0xffffff81, v29
	v_mov_b32_e32 v29, 0xffffff82
	v_cndmask_b32_e64 v2, v2, v29, s[18:19]
	v_lshrrev_b32_e32 v29, 23, v0
	v_add3_u32 v30, v30, v2, v29
	v_add_u32_e32 v29, 14, v30
	v_and_b32_e32 v1, 0x1fffff, v1
	v_add_u32_e32 v50, v1, v0
	v_cmp_ne_u32_e64 s[18:19], 0, v29
                                        ; implicit-def: $vgpr0_vgpr1
                                        ; implicit-def: $vgpr2
	s_and_saveexec_b64 s[20:21], s[18:19]
	s_xor_b64 s[20:21], exec, s[20:21]
; %bb.3924:                             ;   in Loop: Header=BB4_3836 Depth=2
	v_cmp_lt_u64_e64 s[18:19], s[62:63], v[50:51]
	v_add_u32_e32 v0, 15, v30
	v_cndmask_b32_e64 v2, v29, v0, s[18:19]
	v_cndmask_b32_e64 v0, 0, 1, s[18:19]
	v_lshrrev_b64 v[0:1], v0, v[50:51]
; %bb.3925:                             ;   in Loop: Header=BB4_3836 Depth=2
	s_andn2_saveexec_b64 s[18:19], s[20:21]
; %bb.3926:                             ;   in Loop: Header=BB4_3836 Depth=2
	v_mov_b32_e32 v0, v50
	v_bfe_u32 v2, v50, 23, 1
	v_mov_b32_e32 v1, v51
; %bb.3927:                             ;   in Loop: Header=BB4_3836 Depth=2
	s_or_b64 exec, exec, s[18:19]
	v_lshrrev_b64 v[0:1], 21, v[0:1]
	v_cmp_gt_i32_e64 s[18:19], 32, v2
	v_cndmask_b32_e64 v1, 0, v1, s[18:19]
	v_cndmask_b32_e64 v0, 3, v0, s[18:19]
	v_cmp_eq_u64_e64 s[20:21], 0, v[0:1]
	v_min_i32_e32 v1, 31, v2
	v_lshlrev_b32_e32 v1, 2, v1
	v_cmp_eq_u32_e64 s[18:19], 0, v2
	v_and_b32_e32 v1, 0xfc, v1
	v_and_or_b32 v0, v0, 3, v1
	s_and_b64 s[18:19], s[18:19], s[20:21]
	v_cndmask_b32_e64 v0, v0, 0, s[18:19]
	v_or_b32_e32 v29, v0, v3
.LBB4_3928:                             ;   in Loop: Header=BB4_3836 Depth=2
	s_or_b64 exec, exec, s[92:93]
                                        ; implicit-def: $vgpr3
.LBB4_3929:                             ;   in Loop: Header=BB4_3836 Depth=2
	s_andn2_saveexec_b64 s[18:19], s[90:91]
; %bb.3930:                             ;   in Loop: Header=BB4_3836 Depth=2
	v_or_b32_e32 v29, 0x7b, v3
; %bb.3931:                             ;   in Loop: Header=BB4_3836 Depth=2
	s_or_b64 exec, exec, s[18:19]
                                        ; implicit-def: $vgpr0
.LBB4_3932:                             ;   in Loop: Header=BB4_3836 Depth=2
	s_andn2_saveexec_b64 s[20:21], s[22:23]
	s_cbranch_execz .LBB4_3938
; %bb.3933:                             ;   in Loop: Header=BB4_3836 Depth=2
	v_cmp_ne_u64_e64 s[18:19], 0, v[50:51]
                                        ; implicit-def: $vgpr29
	s_and_saveexec_b64 s[22:23], s[18:19]
	s_xor_b64 s[18:19], exec, s[22:23]
; %bb.3934:                             ;   in Loop: Header=BB4_3836 Depth=2
	v_or_b32_sdwa v29, v0, s54 dst_sel:DWORD dst_unused:UNUSED_PAD src0_sel:BYTE_3 src1_sel:DWORD
                                        ; implicit-def: $vgpr0
; %bb.3935:                             ;   in Loop: Header=BB4_3836 Depth=2
	s_andn2_saveexec_b64 s[22:23], s[18:19]
; %bb.3936:                             ;   in Loop: Header=BB4_3836 Depth=2
	v_cmp_lt_i32_e64 s[18:19], -1, v0
	v_bfrev_b32_e32 v0, 0.5
	v_mov_b32_e32 v1, 0x7c
	v_cndmask_b32_e64 v29, v0, v1, s[18:19]
; %bb.3937:                             ;   in Loop: Header=BB4_3836 Depth=2
	s_or_b64 exec, exec, s[22:23]
.LBB4_3938:                             ;   in Loop: Header=BB4_3836 Depth=2
	s_or_b64 exec, exec, s[20:21]
	v_cmp_lt_u32_e64 s[18:19], s57, v14
	v_mov_b32_e32 v1, 0
	s_and_saveexec_b64 s[20:21], s[18:19]
	s_cbranch_execz .LBB4_3946
; %bb.3939:                             ;   in Loop: Header=BB4_3836 Depth=2
	v_lshrrev_b32_e32 v0, 24, v14
	v_cmp_ne_u32_e64 s[18:19], s52, v0
	v_bfrev_b32_e32 v1, 1
	s_and_saveexec_b64 s[22:23], s[18:19]
	s_cbranch_execz .LBB4_3945
; %bb.3940:                             ;   in Loop: Header=BB4_3836 Depth=2
	v_and_b32_e32 v1, 0x7c000000, v14
	v_bfe_u32 v2, v14, 24, 2
	v_cmp_ne_u32_e64 s[18:19], s64, v1
                                        ; implicit-def: $vgpr1
	s_and_saveexec_b64 s[90:91], s[18:19]
	s_xor_b64 s[90:91], exec, s[90:91]
	s_cbranch_execz .LBB4_3942
; %bb.3941:                             ;   in Loop: Header=BB4_3836 Depth=2
	v_ffbh_u32_e32 v1, v2
	v_min_u32_e32 v30, 32, v1
	v_subrev_u32_e32 v1, 29, v30
	v_lshlrev_b64 v[0:1], v1, v[0:1]
	v_bfe_u32 v3, v14, 26, 5
	v_sub_u32_e32 v1, 30, v30
	v_and_b32_e32 v0, 3, v0
	v_cmp_eq_u32_e64 s[18:19], 0, v3
	v_cndmask_b32_e64 v1, v3, v1, s[18:19]
	v_cndmask_b32_e64 v0, v2, v0, s[18:19]
	v_and_b32_e32 v2, 0x80000000, v14
	v_lshl_add_u32 v1, v1, 23, v2
	v_lshl_or_b32 v0, v0, 21, v1
	v_add_u32_e32 v1, 0x38000000, v0
                                        ; implicit-def: $vgpr2
.LBB4_3942:                             ;   in Loop: Header=BB4_3836 Depth=2
	s_andn2_saveexec_b64 s[90:91], s[90:91]
; %bb.3943:                             ;   in Loop: Header=BB4_3836 Depth=2
	v_cmp_lt_i32_e64 s[18:19], -1, v14
	v_cndmask_b32_e64 v0, v5, v36, s[18:19]
	v_cmp_eq_u32_e64 s[18:19], 0, v2
	v_cndmask_b32_e64 v1, v37, v0, s[18:19]
; %bb.3944:                             ;   in Loop: Header=BB4_3836 Depth=2
	s_or_b64 exec, exec, s[90:91]
.LBB4_3945:                             ;   in Loop: Header=BB4_3836 Depth=2
	s_or_b64 exec, exec, s[22:23]
.LBB4_3946:                             ;   in Loop: Header=BB4_3836 Depth=2
	s_or_b64 exec, exec, s[20:21]
	v_bfe_u32 v30, v10, 24, 2
	v_and_b32_e32 v2, 0x7c000000, v10
	v_cmp_eq_u32_e64 s[18:19], s64, v2
	v_ffbh_u32_e32 v2, v30
	v_min_u32_e32 v34, 32, v2
	v_lshrrev_b32_e32 v0, 24, v10
	v_subrev_u32_e32 v2, 29, v34
	v_bfe_u32 v31, v10, 26, 5
	v_lshlrev_b64 v[2:3], v2, v[0:1]
	v_cmp_eq_u32_e64 s[20:21], 0, v31
	v_sub_u32_e32 v3, 30, v34
	v_and_b32_e32 v2, 3, v2
	v_cndmask_b32_e64 v3, v31, v3, s[20:21]
	v_and_b32_e32 v31, 0x80000000, v10
	v_cndmask_b32_e64 v2, v30, v2, s[20:21]
	v_lshl_add_u32 v3, v3, 23, v31
	v_cmp_lt_i32_e64 s[22:23], -1, v10
	v_lshl_or_b32 v2, v2, 21, v3
	v_cmp_eq_u32_e64 s[20:21], 0, v30
	v_cndmask_b32_e64 v3, v5, v36, s[22:23]
	v_add_u32_e32 v2, 0x38000000, v2
	v_cndmask_b32_e64 v3, v37, v3, s[20:21]
	v_cndmask_b32_e64 v2, v2, v3, s[18:19]
	v_cmp_ne_u32_e64 s[18:19], s52, v0
	v_bfrev_b32_e32 v0, 1
	v_cndmask_b32_e64 v0, v0, v2, s[18:19]
	v_cmp_lt_u32_e64 s[18:19], s57, v10
	v_cndmask_b32_e64 v0, 0, v0, s[18:19]
	v_mul_f32_e32 v0, v0, v1
	v_and_b32_e32 v1, 0x7f800000, v0
	v_mov_b32_e32 v2, v51
	v_cmp_ne_u64_e64 s[18:19], s[58:59], v[1:2]
	v_and_b32_e32 v50, 0x7fffff, v0
                                        ; implicit-def: $vgpr30
	s_and_saveexec_b64 s[20:21], s[18:19]
	s_xor_b64 s[22:23], exec, s[20:21]
	s_cbranch_execz .LBB4_3960
; %bb.3947:                             ;   in Loop: Header=BB4_3836 Depth=2
	v_and_b32_e32 v1, 0x7fffffff, v0
	v_mov_b32_e32 v2, v51
	v_cmp_gt_u64_e64 s[18:19], s[60:61], v[1:2]
	v_and_b32_sdwa v3, v0, s52 dst_sel:DWORD dst_unused:UNUSED_PAD src0_sel:BYTE_3 src1_sel:DWORD
                                        ; implicit-def: $vgpr30
	s_and_saveexec_b64 s[20:21], s[18:19]
	s_xor_b64 s[90:91], exec, s[20:21]
	s_cbranch_execz .LBB4_3957
; %bb.3948:                             ;   in Loop: Header=BB4_3836 Depth=2
	v_mov_b32_e32 v30, 0
	v_cmp_ne_u32_e64 s[18:19], 0, v0
	s_and_saveexec_b64 s[92:93], s[18:19]
	s_cbranch_execz .LBB4_3956
; %bb.3949:                             ;   in Loop: Header=BB4_3836 Depth=2
	v_bfe_u32 v30, v0, 23, 8
	v_cmp_gt_u32_e64 s[20:21], s53, v30
	v_sub_u32_e32 v0, 0x71, v30
	v_cmp_eq_u32_e64 s[18:19], 0, v30
	v_cndmask_b32_e64 v0, 0, v0, s[20:21]
	v_mov_b32_e32 v2, 0x70
	v_cndmask_b32_e64 v31, v0, v2, s[18:19]
	v_or_b32_e32 v1, 0x800000, v50
	v_add_u32_e32 v0, 21, v31
	v_cndmask_b32_e64 v50, v1, v50, s[18:19]
	v_lshlrev_b64 v[0:1], v0, -1
	v_add_u32_e32 v2, 20, v31
	v_lshlrev_b64 v[34:35], v2, 1
	v_bfi_b32 v1, v1, 0, 0
	v_bfi_b32 v0, v0, 0, v50
	v_cmp_eq_u64_e64 s[20:21], v[0:1], v[34:35]
	v_lshrrev_b64 v[0:1], v31, v[50:51]
	v_mov_b32_e32 v2, v1
	v_mov_b32_e32 v1, v0
	s_and_saveexec_b64 s[94:95], s[20:21]
; %bb.3950:                             ;   in Loop: Header=BB4_3836 Depth=2
	v_bfe_u32 v1, v0, 21, 1
	v_add_co_u32_e64 v1, s[20:21], v0, v1
	v_add_co_u32_e64 v1, s[20:21], -1, v1
; %bb.3951:                             ;   in Loop: Header=BB4_3836 Depth=2
	s_or_b64 exec, exec, s[94:95]
	v_add_u32_e32 v2, 0xffffff81, v30
	v_mov_b32_e32 v30, 0xffffff82
	v_cndmask_b32_e64 v2, v2, v30, s[18:19]
	v_lshrrev_b32_e32 v30, 23, v0
	v_add3_u32 v31, v31, v2, v30
	v_add_u32_e32 v30, 14, v31
	v_and_b32_e32 v1, 0x1fffff, v1
	v_add_u32_e32 v50, v1, v0
	v_cmp_ne_u32_e64 s[18:19], 0, v30
                                        ; implicit-def: $vgpr0_vgpr1
                                        ; implicit-def: $vgpr2
	s_and_saveexec_b64 s[20:21], s[18:19]
	s_xor_b64 s[20:21], exec, s[20:21]
; %bb.3952:                             ;   in Loop: Header=BB4_3836 Depth=2
	v_cmp_lt_u64_e64 s[18:19], s[62:63], v[50:51]
	v_add_u32_e32 v0, 15, v31
	v_cndmask_b32_e64 v2, v30, v0, s[18:19]
	v_cndmask_b32_e64 v0, 0, 1, s[18:19]
	v_lshrrev_b64 v[0:1], v0, v[50:51]
; %bb.3953:                             ;   in Loop: Header=BB4_3836 Depth=2
	s_andn2_saveexec_b64 s[18:19], s[20:21]
; %bb.3954:                             ;   in Loop: Header=BB4_3836 Depth=2
	v_mov_b32_e32 v0, v50
	v_bfe_u32 v2, v50, 23, 1
	v_mov_b32_e32 v1, v51
; %bb.3955:                             ;   in Loop: Header=BB4_3836 Depth=2
	s_or_b64 exec, exec, s[18:19]
	v_lshrrev_b64 v[0:1], 21, v[0:1]
	v_cmp_gt_i32_e64 s[18:19], 32, v2
	v_cndmask_b32_e64 v1, 0, v1, s[18:19]
	v_cndmask_b32_e64 v0, 3, v0, s[18:19]
	v_cmp_eq_u64_e64 s[20:21], 0, v[0:1]
	v_min_i32_e32 v1, 31, v2
	v_lshlrev_b32_e32 v1, 2, v1
	v_cmp_eq_u32_e64 s[18:19], 0, v2
	v_and_b32_e32 v1, 0xfc, v1
	v_and_or_b32 v0, v0, 3, v1
	s_and_b64 s[18:19], s[18:19], s[20:21]
	v_cndmask_b32_e64 v0, v0, 0, s[18:19]
	v_or_b32_e32 v30, v0, v3
.LBB4_3956:                             ;   in Loop: Header=BB4_3836 Depth=2
	s_or_b64 exec, exec, s[92:93]
                                        ; implicit-def: $vgpr3
.LBB4_3957:                             ;   in Loop: Header=BB4_3836 Depth=2
	s_andn2_saveexec_b64 s[18:19], s[90:91]
; %bb.3958:                             ;   in Loop: Header=BB4_3836 Depth=2
	v_or_b32_e32 v30, 0x7b, v3
; %bb.3959:                             ;   in Loop: Header=BB4_3836 Depth=2
	s_or_b64 exec, exec, s[18:19]
                                        ; implicit-def: $vgpr0
.LBB4_3960:                             ;   in Loop: Header=BB4_3836 Depth=2
	s_andn2_saveexec_b64 s[20:21], s[22:23]
	s_cbranch_execz .LBB4_3966
; %bb.3961:                             ;   in Loop: Header=BB4_3836 Depth=2
	v_cmp_ne_u64_e64 s[18:19], 0, v[50:51]
                                        ; implicit-def: $vgpr30
	s_and_saveexec_b64 s[22:23], s[18:19]
	s_xor_b64 s[18:19], exec, s[22:23]
; %bb.3962:                             ;   in Loop: Header=BB4_3836 Depth=2
	v_or_b32_sdwa v30, v0, s54 dst_sel:DWORD dst_unused:UNUSED_PAD src0_sel:BYTE_3 src1_sel:DWORD
                                        ; implicit-def: $vgpr0
; %bb.3963:                             ;   in Loop: Header=BB4_3836 Depth=2
	s_andn2_saveexec_b64 s[22:23], s[18:19]
; %bb.3964:                             ;   in Loop: Header=BB4_3836 Depth=2
	v_cmp_lt_i32_e64 s[18:19], -1, v0
	v_bfrev_b32_e32 v0, 0.5
	v_mov_b32_e32 v1, 0x7c
	v_cndmask_b32_e64 v30, v0, v1, s[18:19]
; %bb.3965:                             ;   in Loop: Header=BB4_3836 Depth=2
	s_or_b64 exec, exec, s[22:23]
.LBB4_3966:                             ;   in Loop: Header=BB4_3836 Depth=2
	s_or_b64 exec, exec, s[20:21]
	v_mov_b32_e32 v50, v15
	v_cmp_ne_u16_sdwa s[18:19], v15, v51 src0_sel:BYTE_0 src1_sel:DWORD
	v_mov_b32_e32 v2, 0
	s_and_saveexec_b64 s[20:21], s[18:19]
	s_cbranch_execz .LBB4_3974
; %bb.3967:                             ;   in Loop: Header=BB4_3836 Depth=2
	v_cmp_ne_u16_sdwa s[18:19], v15, s52 src0_sel:BYTE_0 src1_sel:DWORD
	v_bfrev_b32_e32 v2, 1
	s_and_saveexec_b64 s[22:23], s[18:19]
	s_cbranch_execz .LBB4_3973
; %bb.3968:                             ;   in Loop: Header=BB4_3836 Depth=2
	v_and_b32_e32 v1, 0x7c, v15
	v_and_b32_e32 v0, 3, v15
	v_cmp_ne_u32_e64 s[18:19], s50, v1
                                        ; implicit-def: $vgpr2
	s_and_saveexec_b64 s[90:91], s[18:19]
	s_xor_b64 s[90:91], exec, s[90:91]
	s_cbranch_execz .LBB4_3970
; %bb.3969:                             ;   in Loop: Header=BB4_3836 Depth=2
	v_ffbh_u32_e32 v1, v0
	v_min_u32_e32 v31, 32, v1
	v_subrev_u32_e32 v1, 29, v31
	v_lshlrev_b64 v[1:2], v1, v[50:51]
	v_bfe_u32 v3, v15, 2, 5
	v_and_b32_e32 v1, 3, v1
	v_cmp_eq_u32_e64 s[18:19], 0, v3
	v_sub_u32_e32 v2, 30, v31
	v_cndmask_b32_e64 v0, v0, v1, s[18:19]
	v_lshlrev_b32_e32 v1, 24, v15
	v_cndmask_b32_e64 v2, v3, v2, s[18:19]
	v_and_b32_e32 v1, 0x80000000, v1
	v_lshl_add_u32 v1, v2, 23, v1
	v_lshl_or_b32 v0, v0, 21, v1
	v_add_u32_e32 v2, 0x38000000, v0
                                        ; implicit-def: $vgpr0
.LBB4_3970:                             ;   in Loop: Header=BB4_3836 Depth=2
	s_andn2_saveexec_b64 s[90:91], s[90:91]
; %bb.3971:                             ;   in Loop: Header=BB4_3836 Depth=2
	v_cmp_gt_i16_sdwa s[18:19], sext(v15), v43 src0_sel:BYTE_0 src1_sel:DWORD
	v_cndmask_b32_e64 v1, v5, v36, s[18:19]
	v_cmp_eq_u32_e64 s[18:19], 0, v0
	v_cndmask_b32_e64 v2, v37, v1, s[18:19]
; %bb.3972:                             ;   in Loop: Header=BB4_3836 Depth=2
	s_or_b64 exec, exec, s[90:91]
.LBB4_3973:                             ;   in Loop: Header=BB4_3836 Depth=2
	s_or_b64 exec, exec, s[22:23]
.LBB4_3974:                             ;   in Loop: Header=BB4_3836 Depth=2
	s_or_b64 exec, exec, s[20:21]
	v_cmp_gt_i16_sdwa s[20:21], v11, s54 src0_sel:BYTE_0 src1_sel:DWORD
	s_mov_b64 s[18:19], 0
	s_and_saveexec_b64 s[22:23], s[20:21]
	s_xor_b64 s[20:21], exec, s[22:23]
	s_cbranch_execz .LBB4_3978
; %bb.3975:                             ;   in Loop: Header=BB4_3836 Depth=2
	v_cmp_eq_u16_sdwa s[90:91], v11, s52 src0_sel:BYTE_0 src1_sel:DWORD
	s_mov_b64 s[18:19], -1
	s_and_saveexec_b64 s[22:23], s[90:91]
; %bb.3976:                             ;   in Loop: Header=BB4_3836 Depth=2
	s_xor_b64 s[18:19], exec, -1
; %bb.3977:                             ;   in Loop: Header=BB4_3836 Depth=2
	s_or_b64 exec, exec, s[22:23]
	s_and_b64 s[18:19], s[18:19], exec
.LBB4_3978:                             ;   in Loop: Header=BB4_3836 Depth=2
	s_or_saveexec_b64 s[20:21], s[20:21]
	v_bfrev_b32_e32 v3, 1
	s_xor_b64 exec, exec, s[20:21]
; %bb.3979:                             ;   in Loop: Header=BB4_3836 Depth=2
	v_cmp_ne_u16_sdwa s[22:23], v11, v51 src0_sel:BYTE_0 src1_sel:DWORD
	s_andn2_b64 s[18:19], s[18:19], exec
	s_and_b64 s[22:23], s[22:23], exec
	v_mov_b32_e32 v3, 0
	s_or_b64 s[18:19], s[18:19], s[22:23]
; %bb.3980:                             ;   in Loop: Header=BB4_3836 Depth=2
	s_or_b64 exec, exec, s[20:21]
	v_mov_b32_e32 v0, v11
	v_mov_b32_e32 v1, v51
	s_and_saveexec_b64 s[90:91], s[18:19]
	s_cbranch_execz .LBB4_3982
; %bb.3981:                             ;   in Loop: Header=BB4_3836 Depth=2
	v_and_b32_e32 v3, 3, v11
	v_and_b32_e32 v34, 0x7c, v11
	v_cmp_eq_u32_e64 s[18:19], s50, v34
	v_ffbh_u32_e32 v34, v3
	v_min_u32_e32 v48, 32, v34
	v_subrev_u32_e32 v34, 29, v48
	v_lshlrev_b64 v[34:35], v34, v[0:1]
	v_bfe_u32 v31, v11, 2, 5
	v_cmp_eq_u32_e64 s[20:21], 0, v31
	v_sub_u32_e32 v1, 30, v48
	v_and_b32_e32 v34, 3, v34
	v_cndmask_b32_e64 v1, v31, v1, s[20:21]
	v_cndmask_b32_e64 v31, v3, v34, s[20:21]
	v_lshlrev_b32_e32 v34, 24, v11
	v_and_b32_e32 v34, 0x80000000, v34
	v_lshl_add_u32 v1, v1, 23, v34
	v_cmp_gt_i16_sdwa s[22:23], sext(v11), v43 src0_sel:BYTE_0 src1_sel:DWORD
	v_lshl_or_b32 v1, v31, 21, v1
	v_cmp_eq_u32_e64 s[20:21], 0, v3
	v_cndmask_b32_e64 v3, v5, v36, s[22:23]
	v_add_u32_e32 v1, 0x38000000, v1
	v_cndmask_b32_e64 v3, v37, v3, s[20:21]
	v_cndmask_b32_e64 v3, v1, v3, s[18:19]
.LBB4_3982:                             ;   in Loop: Header=BB4_3836 Depth=2
	s_or_b64 exec, exec, s[90:91]
	v_mul_f32_e32 v3, v2, v3
	v_and_b32_e32 v34, 0x7f800000, v3
	v_mov_b32_e32 v35, v51
	v_cmp_ne_u64_e64 s[18:19], s[58:59], v[34:35]
	v_and_b32_e32 v1, 0x7fffff, v3
	v_mov_b32_e32 v2, v51
                                        ; implicit-def: $vgpr31
	s_and_saveexec_b64 s[20:21], s[18:19]
	s_xor_b64 s[22:23], exec, s[20:21]
	s_cbranch_execz .LBB4_3996
; %bb.3983:                             ;   in Loop: Header=BB4_3836 Depth=2
	v_and_b32_e32 v34, 0x7fffffff, v3
	v_mov_b32_e32 v35, v51
	v_cmp_gt_u64_e64 s[18:19], s[60:61], v[34:35]
	v_and_b32_sdwa v34, v3, s52 dst_sel:DWORD dst_unused:UNUSED_PAD src0_sel:BYTE_3 src1_sel:DWORD
                                        ; implicit-def: $vgpr31
	s_and_saveexec_b64 s[20:21], s[18:19]
	s_xor_b64 s[90:91], exec, s[20:21]
	s_cbranch_execz .LBB4_3993
; %bb.3984:                             ;   in Loop: Header=BB4_3836 Depth=2
	v_mov_b32_e32 v31, 0
	v_cmp_ne_u32_e64 s[18:19], 0, v3
	s_and_saveexec_b64 s[92:93], s[18:19]
	s_cbranch_execz .LBB4_3992
; %bb.3985:                             ;   in Loop: Header=BB4_3836 Depth=2
	v_bfe_u32 v31, v3, 23, 8
	v_cmp_gt_u32_e64 s[20:21], s53, v31
	v_sub_u32_e32 v3, 0x71, v31
	v_cmp_eq_u32_e64 s[18:19], 0, v31
	v_cndmask_b32_e64 v3, 0, v3, s[20:21]
	v_mov_b32_e32 v35, 0x70
	v_cndmask_b32_e64 v35, v3, v35, s[18:19]
	v_or_b32_e32 v48, 0x800000, v1
	v_add_u32_e32 v3, 21, v35
	v_cndmask_b32_e64 v1, v48, v1, s[18:19]
	v_lshlrev_b64 v[48:49], v3, -1
	v_add_u32_e32 v3, 20, v35
	v_bfi_b32 v48, v48, 0, v1
	v_lshlrev_b64 v[54:55], v3, 1
	v_lshrrev_b64 v[1:2], v35, v[1:2]
	v_bfi_b32 v49, v49, 0, 0
	v_cmp_eq_u64_e64 s[20:21], v[48:49], v[54:55]
	v_mov_b32_e32 v3, v2
	v_mov_b32_e32 v2, v1
	s_and_saveexec_b64 s[94:95], s[20:21]
; %bb.3986:                             ;   in Loop: Header=BB4_3836 Depth=2
	v_bfe_u32 v2, v1, 21, 1
	v_add_co_u32_e64 v2, s[20:21], v1, v2
	v_add_co_u32_e64 v2, s[20:21], -1, v2
; %bb.3987:                             ;   in Loop: Header=BB4_3836 Depth=2
	s_or_b64 exec, exec, s[94:95]
	v_add_u32_e32 v3, 0xffffff81, v31
	v_mov_b32_e32 v31, 0xffffff82
	v_cndmask_b32_e64 v3, v3, v31, s[18:19]
	v_lshrrev_b32_e32 v31, 23, v1
	v_add3_u32 v35, v35, v3, v31
	v_add_u32_e32 v31, 14, v35
	v_and_b32_e32 v2, 0x1fffff, v2
	v_add_u32_e32 v1, v2, v1
	v_mov_b32_e32 v2, v51
	v_cmp_ne_u32_e64 s[18:19], 0, v31
                                        ; implicit-def: $vgpr3
	s_and_saveexec_b64 s[20:21], s[18:19]
	s_xor_b64 s[20:21], exec, s[20:21]
; %bb.3988:                             ;   in Loop: Header=BB4_3836 Depth=2
	v_cmp_lt_u64_e64 s[18:19], s[62:63], v[1:2]
	v_add_u32_e32 v3, 15, v35
	v_cndmask_b32_e64 v3, v31, v3, s[18:19]
	v_cndmask_b32_e64 v31, 0, 1, s[18:19]
	v_lshrrev_b64 v[1:2], v31, v[1:2]
; %bb.3989:                             ;   in Loop: Header=BB4_3836 Depth=2
	s_andn2_saveexec_b64 s[18:19], s[20:21]
; %bb.3990:                             ;   in Loop: Header=BB4_3836 Depth=2
	v_bfe_u32 v3, v1, 23, 1
; %bb.3991:                             ;   in Loop: Header=BB4_3836 Depth=2
	s_or_b64 exec, exec, s[18:19]
	v_lshrrev_b64 v[1:2], 21, v[1:2]
	v_cmp_gt_i32_e64 s[18:19], 32, v3
	v_cndmask_b32_e64 v2, 0, v2, s[18:19]
	v_cndmask_b32_e64 v1, 3, v1, s[18:19]
	v_cmp_eq_u64_e64 s[20:21], 0, v[1:2]
	v_min_i32_e32 v2, 31, v3
	v_lshlrev_b32_e32 v2, 2, v2
	v_cmp_eq_u32_e64 s[18:19], 0, v3
	v_and_b32_e32 v2, 0xfc, v2
	v_and_or_b32 v1, v1, 3, v2
	s_and_b64 s[18:19], s[18:19], s[20:21]
	v_cndmask_b32_e64 v1, v1, 0, s[18:19]
	v_or_b32_e32 v31, v1, v34
.LBB4_3992:                             ;   in Loop: Header=BB4_3836 Depth=2
	s_or_b64 exec, exec, s[92:93]
                                        ; implicit-def: $vgpr34
.LBB4_3993:                             ;   in Loop: Header=BB4_3836 Depth=2
	s_andn2_saveexec_b64 s[18:19], s[90:91]
; %bb.3994:                             ;   in Loop: Header=BB4_3836 Depth=2
	v_or_b32_e32 v31, 0x7b, v34
; %bb.3995:                             ;   in Loop: Header=BB4_3836 Depth=2
	s_or_b64 exec, exec, s[18:19]
                                        ; implicit-def: $vgpr3
                                        ; implicit-def: $vgpr1_vgpr2
.LBB4_3996:                             ;   in Loop: Header=BB4_3836 Depth=2
	s_andn2_saveexec_b64 s[20:21], s[22:23]
	s_cbranch_execz .LBB4_4002
; %bb.3997:                             ;   in Loop: Header=BB4_3836 Depth=2
	v_cmp_ne_u64_e64 s[18:19], 0, v[1:2]
                                        ; implicit-def: $vgpr31
	s_and_saveexec_b64 s[22:23], s[18:19]
	s_xor_b64 s[18:19], exec, s[22:23]
; %bb.3998:                             ;   in Loop: Header=BB4_3836 Depth=2
	v_or_b32_sdwa v31, v3, s54 dst_sel:DWORD dst_unused:UNUSED_PAD src0_sel:BYTE_3 src1_sel:DWORD
                                        ; implicit-def: $vgpr3
; %bb.3999:                             ;   in Loop: Header=BB4_3836 Depth=2
	s_andn2_saveexec_b64 s[22:23], s[18:19]
; %bb.4000:                             ;   in Loop: Header=BB4_3836 Depth=2
	v_cmp_lt_i32_e64 s[18:19], -1, v3
	v_bfrev_b32_e32 v1, 0.5
	v_mov_b32_e32 v2, 0x7c
	v_cndmask_b32_e64 v31, v1, v2, s[18:19]
; %bb.4001:                             ;   in Loop: Header=BB4_3836 Depth=2
	s_or_b64 exec, exec, s[22:23]
.LBB4_4002:                             ;   in Loop: Header=BB4_3836 Depth=2
	s_or_b64 exec, exec, s[20:21]
	v_lshrrev_b16_e32 v1, 8, v50
	v_cmp_ne_u16_e64 s[18:19], 0, v1
	v_mov_b32_e32 v2, 0
	s_and_saveexec_b64 s[20:21], s[18:19]
	s_cbranch_execz .LBB4_4010
; %bb.4003:                             ;   in Loop: Header=BB4_3836 Depth=2
	v_cmp_ne_u16_e64 s[18:19], s52, v1
	v_bfrev_b32_e32 v2, 1
	s_and_saveexec_b64 s[22:23], s[18:19]
	s_cbranch_execz .LBB4_4009
; %bb.4004:                             ;   in Loop: Header=BB4_3836 Depth=2
	v_and_b32_e32 v2, 0x7c, v1
	v_and_b32_e32 v3, 3, v1
	v_cmp_ne_u32_e64 s[18:19], s50, v2
                                        ; implicit-def: $vgpr2
	s_and_saveexec_b64 s[90:91], s[18:19]
	s_xor_b64 s[90:91], exec, s[90:91]
	s_cbranch_execz .LBB4_4006
; %bb.4005:                             ;   in Loop: Header=BB4_3836 Depth=2
	v_ffbh_u32_e32 v35, v3
	v_min_u32_e32 v35, 32, v35
	v_mov_b32_e32 v2, v51
	v_subrev_u32_e32 v48, 29, v35
	v_bfe_u32 v34, v1, 2, 5
	v_lshlrev_b64 v[1:2], v48, v[1:2]
	v_cmp_eq_u32_e64 s[18:19], 0, v34
	v_and_b32_e32 v1, 3, v1
	v_sub_u32_e32 v2, 30, v35
	v_cndmask_b32_e64 v1, v3, v1, s[18:19]
	v_lshlrev_b32_e32 v3, 16, v50
	v_cndmask_b32_e64 v2, v34, v2, s[18:19]
	v_and_b32_e32 v3, 0x80000000, v3
	v_lshl_add_u32 v2, v2, 23, v3
	v_lshl_or_b32 v1, v1, 21, v2
	v_add_u32_e32 v2, 0x38000000, v1
                                        ; implicit-def: $vgpr3
.LBB4_4006:                             ;   in Loop: Header=BB4_3836 Depth=2
	s_andn2_saveexec_b64 s[90:91], s[90:91]
; %bb.4007:                             ;   in Loop: Header=BB4_3836 Depth=2
	v_cmp_lt_i16_e64 s[18:19], -1, v50
	v_cndmask_b32_e64 v1, v5, v36, s[18:19]
	v_cmp_eq_u32_e64 s[18:19], 0, v3
	v_cndmask_b32_e64 v2, v37, v1, s[18:19]
; %bb.4008:                             ;   in Loop: Header=BB4_3836 Depth=2
	s_or_b64 exec, exec, s[90:91]
.LBB4_4009:                             ;   in Loop: Header=BB4_3836 Depth=2
	s_or_b64 exec, exec, s[22:23]
.LBB4_4010:                             ;   in Loop: Header=BB4_3836 Depth=2
	s_or_b64 exec, exec, s[20:21]
	v_lshrrev_b16_e32 v50, 8, v0
	v_cmp_lt_i16_e64 s[18:19], s54, v50
	s_mov_b64 s[20:21], 0
	s_and_saveexec_b64 s[22:23], s[18:19]
	s_xor_b64 s[22:23], exec, s[22:23]
	s_cbranch_execz .LBB4_4365
; %bb.4011:                             ;   in Loop: Header=BB4_3836 Depth=2
	v_cmp_eq_u16_e64 s[18:19], s52, v50
	s_mov_b64 s[20:21], -1
	s_and_saveexec_b64 s[90:91], s[18:19]
; %bb.4012:                             ;   in Loop: Header=BB4_3836 Depth=2
	s_xor_b64 s[20:21], exec, -1
; %bb.4013:                             ;   in Loop: Header=BB4_3836 Depth=2
	s_or_b64 exec, exec, s[90:91]
	s_and_b64 s[20:21], s[20:21], exec
	s_or_saveexec_b64 s[22:23], s[22:23]
	v_bfrev_b32_e32 v1, 1
	s_xor_b64 exec, exec, s[22:23]
	s_cbranch_execnz .LBB4_4366
.LBB4_4014:                             ;   in Loop: Header=BB4_3836 Depth=2
	s_or_b64 exec, exec, s[22:23]
	s_and_saveexec_b64 s[90:91], s[20:21]
	s_cbranch_execz .LBB4_4016
.LBB4_4015:                             ;   in Loop: Header=BB4_3836 Depth=2
	v_and_b32_e32 v1, 3, v50
	v_and_b32_e32 v34, 0x7c, v50
	v_cmp_eq_u32_e64 s[18:19], s50, v34
	v_ffbh_u32_e32 v34, v1
	v_min_u32_e32 v48, 32, v34
	v_subrev_u32_e32 v34, 29, v48
	v_bfe_u32 v3, v50, 2, 5
	v_lshlrev_b64 v[34:35], v34, v[50:51]
	v_cmp_eq_u32_e64 s[20:21], 0, v3
	v_sub_u32_e32 v35, 30, v48
	v_cndmask_b32_e64 v3, v3, v35, s[20:21]
	v_lshlrev_b32_e32 v35, 24, v50
	v_and_b32_e32 v34, 3, v34
	v_and_b32_e32 v35, 0x80000000, v35
	v_cndmask_b32_e64 v34, v1, v34, s[20:21]
	v_lshl_add_u32 v3, v3, 23, v35
	v_cmp_lt_i16_e64 s[22:23], -1, v0
	v_lshl_or_b32 v3, v34, 21, v3
	v_cmp_eq_u32_e64 s[20:21], 0, v1
	v_cndmask_b32_e64 v0, v5, v36, s[22:23]
	v_add_u32_e32 v3, 0x38000000, v3
	v_cndmask_b32_e64 v0, v37, v0, s[20:21]
	v_cndmask_b32_e64 v1, v3, v0, s[18:19]
.LBB4_4016:                             ;   in Loop: Header=BB4_3836 Depth=2
	s_or_b64 exec, exec, s[90:91]
	v_mul_f32_e32 v0, v2, v1
	v_and_b32_e32 v1, 0x7f800000, v0
	v_mov_b32_e32 v2, v51
	v_cmp_ne_u64_e64 s[18:19], s[58:59], v[1:2]
	v_and_b32_e32 v50, 0x7fffff, v0
                                        ; implicit-def: $vgpr34
	s_and_saveexec_b64 s[20:21], s[18:19]
	s_xor_b64 s[22:23], exec, s[20:21]
	s_cbranch_execz .LBB4_4030
; %bb.4017:                             ;   in Loop: Header=BB4_3836 Depth=2
	v_and_b32_e32 v1, 0x7fffffff, v0
	v_mov_b32_e32 v2, v51
	v_cmp_gt_u64_e64 s[18:19], s[60:61], v[1:2]
	v_and_b32_sdwa v3, v0, s52 dst_sel:DWORD dst_unused:UNUSED_PAD src0_sel:BYTE_3 src1_sel:DWORD
                                        ; implicit-def: $vgpr34
	s_and_saveexec_b64 s[20:21], s[18:19]
	s_xor_b64 s[90:91], exec, s[20:21]
	s_cbranch_execz .LBB4_4027
; %bb.4018:                             ;   in Loop: Header=BB4_3836 Depth=2
	v_mov_b32_e32 v34, 0
	v_cmp_ne_u32_e64 s[18:19], 0, v0
	s_and_saveexec_b64 s[92:93], s[18:19]
	s_cbranch_execz .LBB4_4026
; %bb.4019:                             ;   in Loop: Header=BB4_3836 Depth=2
	v_bfe_u32 v34, v0, 23, 8
	v_cmp_gt_u32_e64 s[20:21], s53, v34
	v_sub_u32_e32 v0, 0x71, v34
	v_cmp_eq_u32_e64 s[18:19], 0, v34
	v_cndmask_b32_e64 v0, 0, v0, s[20:21]
	v_mov_b32_e32 v2, 0x70
	v_cndmask_b32_e64 v35, v0, v2, s[18:19]
	v_or_b32_e32 v1, 0x800000, v50
	v_add_u32_e32 v0, 21, v35
	v_cndmask_b32_e64 v50, v1, v50, s[18:19]
	v_lshlrev_b64 v[0:1], v0, -1
	v_add_u32_e32 v2, 20, v35
	v_lshlrev_b64 v[48:49], v2, 1
	v_bfi_b32 v1, v1, 0, 0
	v_bfi_b32 v0, v0, 0, v50
	v_cmp_eq_u64_e64 s[20:21], v[0:1], v[48:49]
	v_lshrrev_b64 v[0:1], v35, v[50:51]
	v_mov_b32_e32 v2, v1
	v_mov_b32_e32 v1, v0
	s_and_saveexec_b64 s[94:95], s[20:21]
; %bb.4020:                             ;   in Loop: Header=BB4_3836 Depth=2
	v_bfe_u32 v1, v0, 21, 1
	v_add_co_u32_e64 v1, s[20:21], v0, v1
	v_add_co_u32_e64 v1, s[20:21], -1, v1
; %bb.4021:                             ;   in Loop: Header=BB4_3836 Depth=2
	s_or_b64 exec, exec, s[94:95]
	v_add_u32_e32 v2, 0xffffff81, v34
	v_mov_b32_e32 v34, 0xffffff82
	v_cndmask_b32_e64 v2, v2, v34, s[18:19]
	v_lshrrev_b32_e32 v34, 23, v0
	v_add3_u32 v35, v35, v2, v34
	v_add_u32_e32 v34, 14, v35
	v_and_b32_e32 v1, 0x1fffff, v1
	v_add_u32_e32 v50, v1, v0
	v_cmp_ne_u32_e64 s[18:19], 0, v34
                                        ; implicit-def: $vgpr0_vgpr1
                                        ; implicit-def: $vgpr2
	s_and_saveexec_b64 s[20:21], s[18:19]
	s_xor_b64 s[20:21], exec, s[20:21]
; %bb.4022:                             ;   in Loop: Header=BB4_3836 Depth=2
	v_cmp_lt_u64_e64 s[18:19], s[62:63], v[50:51]
	v_add_u32_e32 v0, 15, v35
	v_cndmask_b32_e64 v2, v34, v0, s[18:19]
	v_cndmask_b32_e64 v0, 0, 1, s[18:19]
	v_lshrrev_b64 v[0:1], v0, v[50:51]
; %bb.4023:                             ;   in Loop: Header=BB4_3836 Depth=2
	s_andn2_saveexec_b64 s[18:19], s[20:21]
; %bb.4024:                             ;   in Loop: Header=BB4_3836 Depth=2
	v_mov_b32_e32 v0, v50
	v_bfe_u32 v2, v50, 23, 1
	v_mov_b32_e32 v1, v51
; %bb.4025:                             ;   in Loop: Header=BB4_3836 Depth=2
	s_or_b64 exec, exec, s[18:19]
	v_lshrrev_b64 v[0:1], 21, v[0:1]
	v_cmp_gt_i32_e64 s[18:19], 32, v2
	v_cndmask_b32_e64 v1, 0, v1, s[18:19]
	v_cndmask_b32_e64 v0, 3, v0, s[18:19]
	v_cmp_eq_u64_e64 s[20:21], 0, v[0:1]
	v_min_i32_e32 v1, 31, v2
	v_lshlrev_b32_e32 v1, 2, v1
	v_cmp_eq_u32_e64 s[18:19], 0, v2
	v_and_b32_e32 v1, 0xfc, v1
	v_and_or_b32 v0, v0, 3, v1
	s_and_b64 s[18:19], s[18:19], s[20:21]
	v_cndmask_b32_e64 v0, v0, 0, s[18:19]
	v_or_b32_e32 v34, v0, v3
.LBB4_4026:                             ;   in Loop: Header=BB4_3836 Depth=2
	s_or_b64 exec, exec, s[92:93]
                                        ; implicit-def: $vgpr3
.LBB4_4027:                             ;   in Loop: Header=BB4_3836 Depth=2
	s_andn2_saveexec_b64 s[18:19], s[90:91]
; %bb.4028:                             ;   in Loop: Header=BB4_3836 Depth=2
	v_or_b32_e32 v34, 0x7b, v3
; %bb.4029:                             ;   in Loop: Header=BB4_3836 Depth=2
	s_or_b64 exec, exec, s[18:19]
                                        ; implicit-def: $vgpr0
.LBB4_4030:                             ;   in Loop: Header=BB4_3836 Depth=2
	s_andn2_saveexec_b64 s[20:21], s[22:23]
	s_cbranch_execz .LBB4_4036
; %bb.4031:                             ;   in Loop: Header=BB4_3836 Depth=2
	v_cmp_ne_u64_e64 s[18:19], 0, v[50:51]
                                        ; implicit-def: $vgpr34
	s_and_saveexec_b64 s[22:23], s[18:19]
	s_xor_b64 s[18:19], exec, s[22:23]
; %bb.4032:                             ;   in Loop: Header=BB4_3836 Depth=2
	v_or_b32_sdwa v34, v0, s54 dst_sel:DWORD dst_unused:UNUSED_PAD src0_sel:BYTE_3 src1_sel:DWORD
                                        ; implicit-def: $vgpr0
; %bb.4033:                             ;   in Loop: Header=BB4_3836 Depth=2
	s_andn2_saveexec_b64 s[22:23], s[18:19]
; %bb.4034:                             ;   in Loop: Header=BB4_3836 Depth=2
	v_cmp_lt_i32_e64 s[18:19], -1, v0
	v_bfrev_b32_e32 v0, 0.5
	v_mov_b32_e32 v1, 0x7c
	v_cndmask_b32_e64 v34, v0, v1, s[18:19]
; %bb.4035:                             ;   in Loop: Header=BB4_3836 Depth=2
	s_or_b64 exec, exec, s[22:23]
.LBB4_4036:                             ;   in Loop: Header=BB4_3836 Depth=2
	s_or_b64 exec, exec, s[20:21]
	v_lshrrev_b32_e32 v0, 16, v15
	v_cmp_ne_u16_sdwa s[18:19], v0, v51 src0_sel:BYTE_0 src1_sel:DWORD
	v_mov_b32_e32 v1, 0
	s_and_saveexec_b64 s[20:21], s[18:19]
	s_cbranch_execz .LBB4_4044
; %bb.4037:                             ;   in Loop: Header=BB4_3836 Depth=2
	v_cmp_ne_u16_sdwa s[18:19], v0, s52 src0_sel:BYTE_0 src1_sel:DWORD
	v_bfrev_b32_e32 v1, 1
	s_and_saveexec_b64 s[22:23], s[18:19]
	s_cbranch_execz .LBB4_4043
; %bb.4038:                             ;   in Loop: Header=BB4_3836 Depth=2
	v_and_b32_e32 v1, 0x7c0000, v15
	v_bfe_u32 v2, v15, 16, 2
	v_cmp_ne_u32_e64 s[18:19], s55, v1
                                        ; implicit-def: $vgpr1
	s_and_saveexec_b64 s[90:91], s[18:19]
	s_xor_b64 s[90:91], exec, s[90:91]
	s_cbranch_execz .LBB4_4040
; %bb.4039:                             ;   in Loop: Header=BB4_3836 Depth=2
	v_ffbh_u32_e32 v1, v2
	v_min_u32_e32 v35, 32, v1
	v_subrev_u32_e32 v1, 29, v35
	v_lshlrev_b64 v[0:1], v1, v[0:1]
	v_bfe_u32 v3, v15, 18, 5
	v_and_b32_e32 v0, 3, v0
	v_cmp_eq_u32_e64 s[18:19], 0, v3
	v_sub_u32_e32 v1, 30, v35
	v_cndmask_b32_e64 v0, v2, v0, s[18:19]
	v_lshlrev_b32_e32 v2, 8, v15
	v_cndmask_b32_e64 v1, v3, v1, s[18:19]
	v_and_b32_e32 v2, 0x80000000, v2
	v_lshl_add_u32 v1, v1, 23, v2
	v_lshl_or_b32 v0, v0, 21, v1
	v_add_u32_e32 v1, 0x38000000, v0
                                        ; implicit-def: $vgpr2
                                        ; implicit-def: $vgpr0
.LBB4_4040:                             ;   in Loop: Header=BB4_3836 Depth=2
	s_andn2_saveexec_b64 s[90:91], s[90:91]
; %bb.4041:                             ;   in Loop: Header=BB4_3836 Depth=2
	v_cmp_gt_i16_sdwa s[18:19], sext(v0), v43 src0_sel:BYTE_0 src1_sel:DWORD
	v_cndmask_b32_e64 v0, v5, v36, s[18:19]
	v_cmp_eq_u32_e64 s[18:19], 0, v2
	v_cndmask_b32_e64 v1, v37, v0, s[18:19]
; %bb.4042:                             ;   in Loop: Header=BB4_3836 Depth=2
	s_or_b64 exec, exec, s[90:91]
.LBB4_4043:                             ;   in Loop: Header=BB4_3836 Depth=2
	s_or_b64 exec, exec, s[22:23]
.LBB4_4044:                             ;   in Loop: Header=BB4_3836 Depth=2
	s_or_b64 exec, exec, s[20:21]
	v_lshrrev_b32_e32 v0, 16, v11
	v_cmp_gt_i16_sdwa s[20:21], v0, s54 src0_sel:BYTE_0 src1_sel:DWORD
	s_mov_b64 s[18:19], 0
	s_and_saveexec_b64 s[22:23], s[20:21]
	s_xor_b64 s[20:21], exec, s[22:23]
	s_cbranch_execz .LBB4_4367
; %bb.4045:                             ;   in Loop: Header=BB4_3836 Depth=2
	v_cmp_eq_u16_sdwa s[90:91], v0, s52 src0_sel:BYTE_0 src1_sel:DWORD
	s_mov_b64 s[18:19], -1
	s_and_saveexec_b64 s[22:23], s[90:91]
; %bb.4046:                             ;   in Loop: Header=BB4_3836 Depth=2
	s_xor_b64 s[18:19], exec, -1
; %bb.4047:                             ;   in Loop: Header=BB4_3836 Depth=2
	s_or_b64 exec, exec, s[22:23]
	s_and_b64 s[18:19], s[18:19], exec
	s_or_saveexec_b64 s[20:21], s[20:21]
	v_bfrev_b32_e32 v2, 1
	s_xor_b64 exec, exec, s[20:21]
	s_cbranch_execnz .LBB4_4368
.LBB4_4048:                             ;   in Loop: Header=BB4_3836 Depth=2
	s_or_b64 exec, exec, s[20:21]
	s_and_saveexec_b64 s[90:91], s[18:19]
	s_cbranch_execz .LBB4_4050
.LBB4_4049:                             ;   in Loop: Header=BB4_3836 Depth=2
	v_and_b32_e32 v35, 3, v0
	v_and_b32_e32 v2, 0x7c0000, v11
	v_cmp_eq_u32_e64 s[18:19], s55, v2
	v_ffbh_u32_e32 v2, v35
	v_min_u32_e32 v49, 32, v2
	v_subrev_u32_e32 v2, 29, v49
	v_bfe_u32 v48, v11, 18, 5
	v_lshlrev_b64 v[2:3], v2, v[0:1]
	v_cmp_eq_u32_e64 s[20:21], 0, v48
	v_sub_u32_e32 v3, 30, v49
	v_cndmask_b32_e64 v3, v48, v3, s[20:21]
	v_lshlrev_b32_e32 v48, 24, v0
	v_and_b32_e32 v2, 3, v2
	v_and_b32_e32 v48, 0x80000000, v48
	v_cndmask_b32_e64 v2, v35, v2, s[20:21]
	v_lshl_add_u32 v3, v3, 23, v48
	v_cmp_gt_i16_sdwa s[22:23], sext(v0), v43 src0_sel:BYTE_0 src1_sel:DWORD
	v_lshl_or_b32 v2, v2, 21, v3
	v_cmp_eq_u32_e64 s[20:21], 0, v35
	v_cndmask_b32_e64 v0, v5, v36, s[22:23]
	v_add_u32_e32 v2, 0x38000000, v2
	v_cndmask_b32_e64 v0, v37, v0, s[20:21]
	v_cndmask_b32_e64 v2, v2, v0, s[18:19]
.LBB4_4050:                             ;   in Loop: Header=BB4_3836 Depth=2
	s_or_b64 exec, exec, s[90:91]
	v_mul_f32_e32 v0, v1, v2
	v_and_b32_e32 v1, 0x7f800000, v0
	v_mov_b32_e32 v2, v51
	v_cmp_ne_u64_e64 s[18:19], s[58:59], v[1:2]
	v_and_b32_e32 v50, 0x7fffff, v0
                                        ; implicit-def: $vgpr35
	s_and_saveexec_b64 s[20:21], s[18:19]
	s_xor_b64 s[22:23], exec, s[20:21]
	s_cbranch_execz .LBB4_4064
; %bb.4051:                             ;   in Loop: Header=BB4_3836 Depth=2
	v_and_b32_e32 v1, 0x7fffffff, v0
	v_mov_b32_e32 v2, v51
	v_cmp_gt_u64_e64 s[18:19], s[60:61], v[1:2]
	v_and_b32_sdwa v3, v0, s52 dst_sel:DWORD dst_unused:UNUSED_PAD src0_sel:BYTE_3 src1_sel:DWORD
                                        ; implicit-def: $vgpr35
	s_and_saveexec_b64 s[20:21], s[18:19]
	s_xor_b64 s[90:91], exec, s[20:21]
	s_cbranch_execz .LBB4_4061
; %bb.4052:                             ;   in Loop: Header=BB4_3836 Depth=2
	v_mov_b32_e32 v35, 0
	v_cmp_ne_u32_e64 s[18:19], 0, v0
	s_and_saveexec_b64 s[92:93], s[18:19]
	s_cbranch_execz .LBB4_4060
; %bb.4053:                             ;   in Loop: Header=BB4_3836 Depth=2
	v_bfe_u32 v35, v0, 23, 8
	v_cmp_gt_u32_e64 s[20:21], s53, v35
	v_sub_u32_e32 v0, 0x71, v35
	v_cmp_eq_u32_e64 s[18:19], 0, v35
	v_cndmask_b32_e64 v0, 0, v0, s[20:21]
	v_mov_b32_e32 v2, 0x70
	v_cndmask_b32_e64 v48, v0, v2, s[18:19]
	v_or_b32_e32 v1, 0x800000, v50
	v_add_u32_e32 v0, 21, v48
	v_cndmask_b32_e64 v50, v1, v50, s[18:19]
	v_lshlrev_b64 v[0:1], v0, -1
	v_add_u32_e32 v2, 20, v48
	v_lshlrev_b64 v[54:55], v2, 1
	v_bfi_b32 v1, v1, 0, 0
	v_bfi_b32 v0, v0, 0, v50
	v_cmp_eq_u64_e64 s[20:21], v[0:1], v[54:55]
	v_lshrrev_b64 v[0:1], v48, v[50:51]
	v_mov_b32_e32 v2, v1
	v_mov_b32_e32 v1, v0
	s_and_saveexec_b64 s[94:95], s[20:21]
; %bb.4054:                             ;   in Loop: Header=BB4_3836 Depth=2
	v_bfe_u32 v1, v0, 21, 1
	v_add_co_u32_e64 v1, s[20:21], v0, v1
	v_add_co_u32_e64 v1, s[20:21], -1, v1
; %bb.4055:                             ;   in Loop: Header=BB4_3836 Depth=2
	s_or_b64 exec, exec, s[94:95]
	v_add_u32_e32 v2, 0xffffff81, v35
	v_mov_b32_e32 v35, 0xffffff82
	v_cndmask_b32_e64 v2, v2, v35, s[18:19]
	v_lshrrev_b32_e32 v35, 23, v0
	v_add3_u32 v48, v48, v2, v35
	v_add_u32_e32 v35, 14, v48
	v_and_b32_e32 v1, 0x1fffff, v1
	v_add_u32_e32 v50, v1, v0
	v_cmp_ne_u32_e64 s[18:19], 0, v35
                                        ; implicit-def: $vgpr0_vgpr1
                                        ; implicit-def: $vgpr2
	s_and_saveexec_b64 s[20:21], s[18:19]
	s_xor_b64 s[20:21], exec, s[20:21]
; %bb.4056:                             ;   in Loop: Header=BB4_3836 Depth=2
	v_cmp_lt_u64_e64 s[18:19], s[62:63], v[50:51]
	v_add_u32_e32 v0, 15, v48
	v_cndmask_b32_e64 v2, v35, v0, s[18:19]
	v_cndmask_b32_e64 v0, 0, 1, s[18:19]
	v_lshrrev_b64 v[0:1], v0, v[50:51]
; %bb.4057:                             ;   in Loop: Header=BB4_3836 Depth=2
	s_andn2_saveexec_b64 s[18:19], s[20:21]
; %bb.4058:                             ;   in Loop: Header=BB4_3836 Depth=2
	v_mov_b32_e32 v0, v50
	v_bfe_u32 v2, v50, 23, 1
	v_mov_b32_e32 v1, v51
; %bb.4059:                             ;   in Loop: Header=BB4_3836 Depth=2
	s_or_b64 exec, exec, s[18:19]
	v_lshrrev_b64 v[0:1], 21, v[0:1]
	v_cmp_gt_i32_e64 s[18:19], 32, v2
	v_cndmask_b32_e64 v1, 0, v1, s[18:19]
	v_cndmask_b32_e64 v0, 3, v0, s[18:19]
	v_cmp_eq_u64_e64 s[20:21], 0, v[0:1]
	v_min_i32_e32 v1, 31, v2
	v_lshlrev_b32_e32 v1, 2, v1
	v_cmp_eq_u32_e64 s[18:19], 0, v2
	v_and_b32_e32 v1, 0xfc, v1
	v_and_or_b32 v0, v0, 3, v1
	s_and_b64 s[18:19], s[18:19], s[20:21]
	v_cndmask_b32_e64 v0, v0, 0, s[18:19]
	v_or_b32_e32 v35, v0, v3
.LBB4_4060:                             ;   in Loop: Header=BB4_3836 Depth=2
	s_or_b64 exec, exec, s[92:93]
                                        ; implicit-def: $vgpr3
.LBB4_4061:                             ;   in Loop: Header=BB4_3836 Depth=2
	s_andn2_saveexec_b64 s[18:19], s[90:91]
; %bb.4062:                             ;   in Loop: Header=BB4_3836 Depth=2
	v_or_b32_e32 v35, 0x7b, v3
; %bb.4063:                             ;   in Loop: Header=BB4_3836 Depth=2
	s_or_b64 exec, exec, s[18:19]
                                        ; implicit-def: $vgpr0
.LBB4_4064:                             ;   in Loop: Header=BB4_3836 Depth=2
	s_andn2_saveexec_b64 s[20:21], s[22:23]
	s_cbranch_execz .LBB4_4070
; %bb.4065:                             ;   in Loop: Header=BB4_3836 Depth=2
	v_cmp_ne_u64_e64 s[18:19], 0, v[50:51]
                                        ; implicit-def: $vgpr35
	s_and_saveexec_b64 s[22:23], s[18:19]
	s_xor_b64 s[18:19], exec, s[22:23]
; %bb.4066:                             ;   in Loop: Header=BB4_3836 Depth=2
	v_or_b32_sdwa v35, v0, s54 dst_sel:DWORD dst_unused:UNUSED_PAD src0_sel:BYTE_3 src1_sel:DWORD
                                        ; implicit-def: $vgpr0
; %bb.4067:                             ;   in Loop: Header=BB4_3836 Depth=2
	s_andn2_saveexec_b64 s[22:23], s[18:19]
; %bb.4068:                             ;   in Loop: Header=BB4_3836 Depth=2
	v_cmp_lt_i32_e64 s[18:19], -1, v0
	v_bfrev_b32_e32 v0, 0.5
	v_mov_b32_e32 v1, 0x7c
	v_cndmask_b32_e64 v35, v0, v1, s[18:19]
; %bb.4069:                             ;   in Loop: Header=BB4_3836 Depth=2
	s_or_b64 exec, exec, s[22:23]
.LBB4_4070:                             ;   in Loop: Header=BB4_3836 Depth=2
	s_or_b64 exec, exec, s[20:21]
	v_cmp_lt_u64_e64 s[18:19], s[56:57], v[14:15]
	v_mov_b32_e32 v1, 0
	s_and_saveexec_b64 s[20:21], s[18:19]
	s_cbranch_execz .LBB4_4078
; %bb.4071:                             ;   in Loop: Header=BB4_3836 Depth=2
	v_lshrrev_b32_e32 v0, 24, v15
	v_cmp_ne_u32_e64 s[18:19], s52, v0
	v_bfrev_b32_e32 v1, 1
	s_and_saveexec_b64 s[22:23], s[18:19]
	s_cbranch_execz .LBB4_4077
; %bb.4072:                             ;   in Loop: Header=BB4_3836 Depth=2
	v_and_b32_e32 v1, 0x7c000000, v15
	v_bfe_u32 v2, v15, 24, 2
	v_cmp_ne_u32_e64 s[18:19], s64, v1
                                        ; implicit-def: $vgpr1
	s_and_saveexec_b64 s[90:91], s[18:19]
	s_xor_b64 s[90:91], exec, s[90:91]
	s_cbranch_execz .LBB4_4074
; %bb.4073:                             ;   in Loop: Header=BB4_3836 Depth=2
	v_ffbh_u32_e32 v1, v2
	v_min_u32_e32 v48, 32, v1
	v_subrev_u32_e32 v1, 29, v48
	v_lshlrev_b64 v[0:1], v1, v[0:1]
	v_bfe_u32 v3, v15, 26, 5
	v_sub_u32_e32 v1, 30, v48
	v_and_b32_e32 v0, 3, v0
	v_cmp_eq_u32_e64 s[18:19], 0, v3
	v_cndmask_b32_e64 v1, v3, v1, s[18:19]
	v_cndmask_b32_e64 v0, v2, v0, s[18:19]
	v_and_b32_e32 v2, 0x80000000, v15
	v_lshl_add_u32 v1, v1, 23, v2
	v_lshl_or_b32 v0, v0, 21, v1
	v_add_u32_e32 v1, 0x38000000, v0
                                        ; implicit-def: $vgpr2
.LBB4_4074:                             ;   in Loop: Header=BB4_3836 Depth=2
	s_andn2_saveexec_b64 s[90:91], s[90:91]
; %bb.4075:                             ;   in Loop: Header=BB4_3836 Depth=2
	v_cmp_lt_i64_e64 s[18:19], -1, v[14:15]
	v_cndmask_b32_e64 v0, v5, v36, s[18:19]
	v_cmp_eq_u32_e64 s[18:19], 0, v2
	v_cndmask_b32_e64 v1, v37, v0, s[18:19]
; %bb.4076:                             ;   in Loop: Header=BB4_3836 Depth=2
	s_or_b64 exec, exec, s[90:91]
.LBB4_4077:                             ;   in Loop: Header=BB4_3836 Depth=2
	s_or_b64 exec, exec, s[22:23]
.LBB4_4078:                             ;   in Loop: Header=BB4_3836 Depth=2
	s_or_b64 exec, exec, s[20:21]
	v_bfe_u32 v14, v11, 24, 2
	v_and_b32_e32 v2, 0x7c000000, v11
	v_cmp_eq_u32_e64 s[18:19], s64, v2
	v_ffbh_u32_e32 v2, v14
	v_min_u32_e32 v48, 32, v2
	v_lshrrev_b32_e32 v0, 24, v11
	v_subrev_u32_e32 v2, 29, v48
	v_bfe_u32 v15, v11, 26, 5
	v_lshlrev_b64 v[2:3], v2, v[0:1]
	v_cmp_eq_u32_e64 s[20:21], 0, v15
	v_sub_u32_e32 v3, 30, v48
	v_and_b32_e32 v2, 3, v2
	v_cndmask_b32_e64 v3, v15, v3, s[20:21]
	v_and_b32_e32 v15, 0x80000000, v11
	v_cmp_lt_i64_e64 s[22:23], -1, v[10:11]
	v_cndmask_b32_e64 v2, v14, v2, s[20:21]
	v_lshl_add_u32 v3, v3, 23, v15
	v_lshl_or_b32 v2, v2, 21, v3
	v_cmp_eq_u32_e64 s[20:21], 0, v14
	v_cndmask_b32_e64 v3, v5, v36, s[22:23]
	v_add_u32_e32 v2, 0x38000000, v2
	v_cndmask_b32_e64 v3, v37, v3, s[20:21]
	v_cndmask_b32_e64 v2, v2, v3, s[18:19]
	v_cmp_ne_u32_e64 s[18:19], s52, v0
	v_bfrev_b32_e32 v0, 1
	v_cndmask_b32_e64 v0, v0, v2, s[18:19]
	v_cmp_lt_u64_e64 s[18:19], s[56:57], v[10:11]
	v_mov_b32_e32 v2, v51
	v_cndmask_b32_e64 v0, 0, v0, s[18:19]
	v_mul_f32_e32 v0, v0, v1
	v_and_b32_e32 v1, 0x7f800000, v0
	v_cmp_ne_u64_e64 s[18:19], s[58:59], v[1:2]
	v_and_b32_e32 v50, 0x7fffff, v0
                                        ; implicit-def: $vgpr10
	s_and_saveexec_b64 s[20:21], s[18:19]
	s_xor_b64 s[22:23], exec, s[20:21]
	s_cbranch_execz .LBB4_4092
; %bb.4079:                             ;   in Loop: Header=BB4_3836 Depth=2
	v_and_b32_e32 v1, 0x7fffffff, v0
	v_mov_b32_e32 v2, v51
	v_cmp_gt_u64_e64 s[18:19], s[60:61], v[1:2]
	v_and_b32_sdwa v3, v0, s52 dst_sel:DWORD dst_unused:UNUSED_PAD src0_sel:BYTE_3 src1_sel:DWORD
                                        ; implicit-def: $vgpr10
	s_and_saveexec_b64 s[20:21], s[18:19]
	s_xor_b64 s[90:91], exec, s[20:21]
	s_cbranch_execz .LBB4_4089
; %bb.4080:                             ;   in Loop: Header=BB4_3836 Depth=2
	v_mov_b32_e32 v10, 0
	v_cmp_ne_u32_e64 s[18:19], 0, v0
	s_and_saveexec_b64 s[92:93], s[18:19]
	s_cbranch_execz .LBB4_4088
; %bb.4081:                             ;   in Loop: Header=BB4_3836 Depth=2
	v_bfe_u32 v10, v0, 23, 8
	v_cmp_gt_u32_e64 s[20:21], s53, v10
	v_sub_u32_e32 v0, 0x71, v10
	v_cmp_eq_u32_e64 s[18:19], 0, v10
	v_cndmask_b32_e64 v0, 0, v0, s[20:21]
	v_mov_b32_e32 v2, 0x70
	v_cndmask_b32_e64 v11, v0, v2, s[18:19]
	v_or_b32_e32 v1, 0x800000, v50
	v_add_u32_e32 v0, 21, v11
	v_cndmask_b32_e64 v50, v1, v50, s[18:19]
	v_lshlrev_b64 v[0:1], v0, -1
	v_add_u32_e32 v2, 20, v11
	v_lshlrev_b64 v[14:15], v2, 1
	v_bfi_b32 v1, v1, 0, 0
	v_bfi_b32 v0, v0, 0, v50
	v_cmp_eq_u64_e64 s[20:21], v[0:1], v[14:15]
	v_lshrrev_b64 v[0:1], v11, v[50:51]
	v_mov_b32_e32 v2, v1
	v_mov_b32_e32 v1, v0
	s_and_saveexec_b64 s[94:95], s[20:21]
; %bb.4082:                             ;   in Loop: Header=BB4_3836 Depth=2
	v_bfe_u32 v1, v0, 21, 1
	v_add_co_u32_e64 v1, s[20:21], v0, v1
	v_add_co_u32_e64 v1, s[20:21], -1, v1
; %bb.4083:                             ;   in Loop: Header=BB4_3836 Depth=2
	s_or_b64 exec, exec, s[94:95]
	v_add_u32_e32 v2, 0xffffff81, v10
	v_mov_b32_e32 v10, 0xffffff82
	v_cndmask_b32_e64 v2, v2, v10, s[18:19]
	v_lshrrev_b32_e32 v10, 23, v0
	v_add3_u32 v11, v11, v2, v10
	v_add_u32_e32 v10, 14, v11
	v_and_b32_e32 v1, 0x1fffff, v1
	v_add_u32_e32 v50, v1, v0
	v_cmp_ne_u32_e64 s[18:19], 0, v10
                                        ; implicit-def: $vgpr0_vgpr1
                                        ; implicit-def: $vgpr2
	s_and_saveexec_b64 s[20:21], s[18:19]
	s_xor_b64 s[20:21], exec, s[20:21]
; %bb.4084:                             ;   in Loop: Header=BB4_3836 Depth=2
	v_cmp_lt_u64_e64 s[18:19], s[62:63], v[50:51]
	v_add_u32_e32 v0, 15, v11
	v_cndmask_b32_e64 v2, v10, v0, s[18:19]
	v_cndmask_b32_e64 v0, 0, 1, s[18:19]
	v_lshrrev_b64 v[0:1], v0, v[50:51]
; %bb.4085:                             ;   in Loop: Header=BB4_3836 Depth=2
	s_andn2_saveexec_b64 s[18:19], s[20:21]
; %bb.4086:                             ;   in Loop: Header=BB4_3836 Depth=2
	v_mov_b32_e32 v0, v50
	v_bfe_u32 v2, v50, 23, 1
	v_mov_b32_e32 v1, v51
; %bb.4087:                             ;   in Loop: Header=BB4_3836 Depth=2
	s_or_b64 exec, exec, s[18:19]
	v_lshrrev_b64 v[0:1], 21, v[0:1]
	v_cmp_gt_i32_e64 s[18:19], 32, v2
	v_cndmask_b32_e64 v1, 0, v1, s[18:19]
	v_cndmask_b32_e64 v0, 3, v0, s[18:19]
	v_cmp_eq_u64_e64 s[20:21], 0, v[0:1]
	v_min_i32_e32 v1, 31, v2
	v_lshlrev_b32_e32 v1, 2, v1
	v_cmp_eq_u32_e64 s[18:19], 0, v2
	v_and_b32_e32 v1, 0xfc, v1
	v_and_or_b32 v0, v0, 3, v1
	s_and_b64 s[18:19], s[18:19], s[20:21]
	v_cndmask_b32_e64 v0, v0, 0, s[18:19]
	v_or_b32_e32 v10, v0, v3
.LBB4_4088:                             ;   in Loop: Header=BB4_3836 Depth=2
	s_or_b64 exec, exec, s[92:93]
                                        ; implicit-def: $vgpr3
.LBB4_4089:                             ;   in Loop: Header=BB4_3836 Depth=2
	s_andn2_saveexec_b64 s[18:19], s[90:91]
; %bb.4090:                             ;   in Loop: Header=BB4_3836 Depth=2
	v_or_b32_e32 v10, 0x7b, v3
; %bb.4091:                             ;   in Loop: Header=BB4_3836 Depth=2
	s_or_b64 exec, exec, s[18:19]
                                        ; implicit-def: $vgpr0
.LBB4_4092:                             ;   in Loop: Header=BB4_3836 Depth=2
	s_andn2_saveexec_b64 s[20:21], s[22:23]
	s_cbranch_execz .LBB4_4098
; %bb.4093:                             ;   in Loop: Header=BB4_3836 Depth=2
	v_cmp_ne_u64_e64 s[18:19], 0, v[50:51]
                                        ; implicit-def: $vgpr10
	s_and_saveexec_b64 s[22:23], s[18:19]
	s_xor_b64 s[18:19], exec, s[22:23]
; %bb.4094:                             ;   in Loop: Header=BB4_3836 Depth=2
	v_or_b32_sdwa v10, v0, s54 dst_sel:DWORD dst_unused:UNUSED_PAD src0_sel:BYTE_3 src1_sel:DWORD
                                        ; implicit-def: $vgpr0
; %bb.4095:                             ;   in Loop: Header=BB4_3836 Depth=2
	s_andn2_saveexec_b64 s[22:23], s[18:19]
; %bb.4096:                             ;   in Loop: Header=BB4_3836 Depth=2
	v_cmp_lt_i32_e64 s[18:19], -1, v0
	v_bfrev_b32_e32 v0, 0.5
	v_mov_b32_e32 v1, 0x7c
	v_cndmask_b32_e64 v10, v0, v1, s[18:19]
; %bb.4097:                             ;   in Loop: Header=BB4_3836 Depth=2
	s_or_b64 exec, exec, s[22:23]
.LBB4_4098:                             ;   in Loop: Header=BB4_3836 Depth=2
	s_or_b64 exec, exec, s[20:21]
	v_cmp_ne_u16_sdwa s[18:19], v16, v51 src0_sel:BYTE_0 src1_sel:DWORD
	v_mov_b32_e32 v0, 0
	s_and_saveexec_b64 s[20:21], s[18:19]
	s_cbranch_execz .LBB4_4106
; %bb.4099:                             ;   in Loop: Header=BB4_3836 Depth=2
	v_cmp_ne_u16_sdwa s[18:19], sext(v16), s49 src0_sel:BYTE_0 src1_sel:DWORD
	v_bfrev_b32_e32 v0, 1
	s_and_saveexec_b64 s[22:23], s[18:19]
	s_cbranch_execz .LBB4_4105
; %bb.4100:                             ;   in Loop: Header=BB4_3836 Depth=2
	v_and_b32_e32 v0, 0x7c, v16
	v_and_b32_e32 v1, 3, v16
	v_cmp_ne_u32_e64 s[18:19], s50, v0
                                        ; implicit-def: $vgpr0
	s_and_saveexec_b64 s[90:91], s[18:19]
	s_xor_b64 s[90:91], exec, s[90:91]
	s_cbranch_execz .LBB4_4102
; %bb.4101:                             ;   in Loop: Header=BB4_3836 Depth=2
	v_ffbh_u32_e32 v2, v1
	v_min_u32_e32 v11, 32, v2
	v_subrev_u32_e32 v2, 29, v11
	v_lshlrev_b64 v[2:3], v2, v[16:17]
	v_bfe_u32 v0, v16, 2, 5
	v_and_b32_e32 v2, 3, v2
	v_cmp_eq_u32_e64 s[18:19], 0, v0
	v_sub_u32_e32 v3, 30, v11
	v_cndmask_b32_e64 v1, v1, v2, s[18:19]
	v_lshlrev_b32_e32 v2, 24, v16
	v_cndmask_b32_e64 v0, v0, v3, s[18:19]
	v_and_b32_e32 v2, 0x80000000, v2
	v_lshl_add_u32 v0, v0, 23, v2
	v_lshl_or_b32 v0, v1, 21, v0
	v_add_u32_e32 v0, 0x38000000, v0
                                        ; implicit-def: $vgpr1
.LBB4_4102:                             ;   in Loop: Header=BB4_3836 Depth=2
	s_andn2_saveexec_b64 s[90:91], s[90:91]
; %bb.4103:                             ;   in Loop: Header=BB4_3836 Depth=2
	v_cmp_gt_i16_sdwa s[18:19], sext(v16), v43 src0_sel:BYTE_0 src1_sel:DWORD
	v_cndmask_b32_e64 v0, v5, v36, s[18:19]
	v_cmp_eq_u32_e64 s[18:19], 0, v1
	v_cndmask_b32_e64 v0, v37, v0, s[18:19]
; %bb.4104:                             ;   in Loop: Header=BB4_3836 Depth=2
	s_or_b64 exec, exec, s[90:91]
.LBB4_4105:                             ;   in Loop: Header=BB4_3836 Depth=2
	s_or_b64 exec, exec, s[22:23]
.LBB4_4106:                             ;   in Loop: Header=BB4_3836 Depth=2
	s_or_b64 exec, exec, s[20:21]
	v_cmp_gt_i16_sdwa s[20:21], v12, s54 src0_sel:BYTE_0 src1_sel:DWORD
	s_mov_b64 s[18:19], 0
	s_and_saveexec_b64 s[22:23], s[20:21]
	s_xor_b64 s[20:21], exec, s[22:23]
	s_cbranch_execz .LBB4_4369
; %bb.4107:                             ;   in Loop: Header=BB4_3836 Depth=2
	v_cmp_eq_u16_sdwa s[90:91], v12, s52 src0_sel:BYTE_0 src1_sel:DWORD
	s_mov_b64 s[18:19], -1
	s_and_saveexec_b64 s[22:23], s[90:91]
; %bb.4108:                             ;   in Loop: Header=BB4_3836 Depth=2
	s_xor_b64 s[18:19], exec, -1
; %bb.4109:                             ;   in Loop: Header=BB4_3836 Depth=2
	s_or_b64 exec, exec, s[22:23]
	s_and_b64 s[18:19], s[18:19], exec
	s_or_saveexec_b64 s[20:21], s[20:21]
	v_bfrev_b32_e32 v1, 1
	s_xor_b64 exec, exec, s[20:21]
	s_cbranch_execnz .LBB4_4370
.LBB4_4110:                             ;   in Loop: Header=BB4_3836 Depth=2
	s_or_b64 exec, exec, s[20:21]
	s_and_saveexec_b64 s[90:91], s[18:19]
	s_cbranch_execz .LBB4_4112
.LBB4_4111:                             ;   in Loop: Header=BB4_3836 Depth=2
	v_and_b32_e32 v3, 3, v12
	v_and_b32_e32 v1, 0x7c, v12
	v_cmp_eq_u32_e64 s[18:19], s50, v1
	v_ffbh_u32_e32 v1, v3
	v_min_u32_e32 v14, 32, v1
	v_subrev_u32_e32 v1, 29, v14
	v_bfe_u32 v11, v12, 2, 5
	v_lshlrev_b64 v[1:2], v1, v[12:13]
	v_cmp_eq_u32_e64 s[20:21], 0, v11
	v_sub_u32_e32 v2, 30, v14
	v_cndmask_b32_e64 v2, v11, v2, s[20:21]
	v_lshlrev_b32_e32 v11, 24, v12
	v_and_b32_e32 v1, 3, v1
	v_and_b32_e32 v11, 0x80000000, v11
	v_cndmask_b32_e64 v1, v3, v1, s[20:21]
	v_lshl_add_u32 v2, v2, 23, v11
	v_cmp_gt_i16_sdwa s[22:23], sext(v12), v43 src0_sel:BYTE_0 src1_sel:DWORD
	v_lshl_or_b32 v1, v1, 21, v2
	v_cmp_eq_u32_e64 s[20:21], 0, v3
	v_cndmask_b32_e64 v2, v5, v36, s[22:23]
	v_add_u32_e32 v1, 0x38000000, v1
	v_cndmask_b32_e64 v2, v37, v2, s[20:21]
	v_cndmask_b32_e64 v1, v1, v2, s[18:19]
.LBB4_4112:                             ;   in Loop: Header=BB4_3836 Depth=2
	s_or_b64 exec, exec, s[90:91]
	v_mul_f32_e32 v0, v0, v1
	v_and_b32_e32 v1, 0x7f800000, v0
	v_mov_b32_e32 v2, v51
	v_cmp_ne_u64_e64 s[18:19], s[58:59], v[1:2]
	v_and_b32_e32 v50, 0x7fffff, v0
                                        ; implicit-def: $vgpr11
	s_and_saveexec_b64 s[20:21], s[18:19]
	s_xor_b64 s[22:23], exec, s[20:21]
	s_cbranch_execz .LBB4_4126
; %bb.4113:                             ;   in Loop: Header=BB4_3836 Depth=2
	v_and_b32_e32 v1, 0x7fffffff, v0
	v_mov_b32_e32 v2, v51
	v_cmp_gt_u64_e64 s[18:19], s[60:61], v[1:2]
	v_and_b32_sdwa v3, v0, s52 dst_sel:DWORD dst_unused:UNUSED_PAD src0_sel:BYTE_3 src1_sel:DWORD
                                        ; implicit-def: $vgpr11
	s_and_saveexec_b64 s[20:21], s[18:19]
	s_xor_b64 s[90:91], exec, s[20:21]
	s_cbranch_execz .LBB4_4123
; %bb.4114:                             ;   in Loop: Header=BB4_3836 Depth=2
	v_mov_b32_e32 v11, 0
	v_cmp_ne_u32_e64 s[18:19], 0, v0
	s_and_saveexec_b64 s[92:93], s[18:19]
	s_cbranch_execz .LBB4_4122
; %bb.4115:                             ;   in Loop: Header=BB4_3836 Depth=2
	v_bfe_u32 v11, v0, 23, 8
	v_cmp_gt_u32_e64 s[20:21], s53, v11
	v_sub_u32_e32 v0, 0x71, v11
	v_cmp_eq_u32_e64 s[18:19], 0, v11
	v_cndmask_b32_e64 v0, 0, v0, s[20:21]
	v_mov_b32_e32 v2, 0x70
	v_cndmask_b32_e64 v14, v0, v2, s[18:19]
	v_or_b32_e32 v1, 0x800000, v50
	v_add_u32_e32 v0, 21, v14
	v_cndmask_b32_e64 v50, v1, v50, s[18:19]
	v_lshlrev_b64 v[0:1], v0, -1
	v_add_u32_e32 v2, 20, v14
	v_lshlrev_b64 v[48:49], v2, 1
	v_bfi_b32 v1, v1, 0, 0
	v_bfi_b32 v0, v0, 0, v50
	v_cmp_eq_u64_e64 s[20:21], v[0:1], v[48:49]
	v_lshrrev_b64 v[0:1], v14, v[50:51]
	v_mov_b32_e32 v2, v1
	v_mov_b32_e32 v1, v0
	s_and_saveexec_b64 s[94:95], s[20:21]
; %bb.4116:                             ;   in Loop: Header=BB4_3836 Depth=2
	v_bfe_u32 v1, v0, 21, 1
	v_add_co_u32_e64 v1, s[20:21], v0, v1
	v_add_co_u32_e64 v1, s[20:21], -1, v1
; %bb.4117:                             ;   in Loop: Header=BB4_3836 Depth=2
	s_or_b64 exec, exec, s[94:95]
	v_add_u32_e32 v2, 0xffffff81, v11
	v_mov_b32_e32 v11, 0xffffff82
	v_cndmask_b32_e64 v2, v2, v11, s[18:19]
	v_lshrrev_b32_e32 v11, 23, v0
	v_add3_u32 v14, v14, v2, v11
	v_add_u32_e32 v11, 14, v14
	v_and_b32_e32 v1, 0x1fffff, v1
	v_add_u32_e32 v50, v1, v0
	v_cmp_ne_u32_e64 s[18:19], 0, v11
                                        ; implicit-def: $vgpr0_vgpr1
                                        ; implicit-def: $vgpr2
	s_and_saveexec_b64 s[20:21], s[18:19]
	s_xor_b64 s[20:21], exec, s[20:21]
; %bb.4118:                             ;   in Loop: Header=BB4_3836 Depth=2
	v_cmp_lt_u64_e64 s[18:19], s[62:63], v[50:51]
	v_add_u32_e32 v0, 15, v14
	v_cndmask_b32_e64 v2, v11, v0, s[18:19]
	v_cndmask_b32_e64 v0, 0, 1, s[18:19]
	v_lshrrev_b64 v[0:1], v0, v[50:51]
; %bb.4119:                             ;   in Loop: Header=BB4_3836 Depth=2
	s_andn2_saveexec_b64 s[18:19], s[20:21]
; %bb.4120:                             ;   in Loop: Header=BB4_3836 Depth=2
	v_mov_b32_e32 v0, v50
	v_bfe_u32 v2, v50, 23, 1
	v_mov_b32_e32 v1, v51
; %bb.4121:                             ;   in Loop: Header=BB4_3836 Depth=2
	s_or_b64 exec, exec, s[18:19]
	v_lshrrev_b64 v[0:1], 21, v[0:1]
	v_cmp_gt_i32_e64 s[18:19], 32, v2
	v_cndmask_b32_e64 v1, 0, v1, s[18:19]
	v_cndmask_b32_e64 v0, 3, v0, s[18:19]
	v_cmp_eq_u64_e64 s[20:21], 0, v[0:1]
	v_min_i32_e32 v1, 31, v2
	v_lshlrev_b32_e32 v1, 2, v1
	v_cmp_eq_u32_e64 s[18:19], 0, v2
	v_and_b32_e32 v1, 0xfc, v1
	v_and_or_b32 v0, v0, 3, v1
	s_and_b64 s[18:19], s[18:19], s[20:21]
	v_cndmask_b32_e64 v0, v0, 0, s[18:19]
	v_or_b32_e32 v11, v0, v3
.LBB4_4122:                             ;   in Loop: Header=BB4_3836 Depth=2
	s_or_b64 exec, exec, s[92:93]
                                        ; implicit-def: $vgpr3
.LBB4_4123:                             ;   in Loop: Header=BB4_3836 Depth=2
	s_andn2_saveexec_b64 s[18:19], s[90:91]
; %bb.4124:                             ;   in Loop: Header=BB4_3836 Depth=2
	v_or_b32_e32 v11, 0x7b, v3
; %bb.4125:                             ;   in Loop: Header=BB4_3836 Depth=2
	s_or_b64 exec, exec, s[18:19]
                                        ; implicit-def: $vgpr0
.LBB4_4126:                             ;   in Loop: Header=BB4_3836 Depth=2
	s_andn2_saveexec_b64 s[20:21], s[22:23]
	s_cbranch_execz .LBB4_4132
; %bb.4127:                             ;   in Loop: Header=BB4_3836 Depth=2
	v_cmp_ne_u64_e64 s[18:19], 0, v[50:51]
                                        ; implicit-def: $vgpr11
	s_and_saveexec_b64 s[22:23], s[18:19]
	s_xor_b64 s[18:19], exec, s[22:23]
; %bb.4128:                             ;   in Loop: Header=BB4_3836 Depth=2
	v_or_b32_sdwa v11, v0, s54 dst_sel:DWORD dst_unused:UNUSED_PAD src0_sel:BYTE_3 src1_sel:DWORD
                                        ; implicit-def: $vgpr0
; %bb.4129:                             ;   in Loop: Header=BB4_3836 Depth=2
	s_andn2_saveexec_b64 s[22:23], s[18:19]
; %bb.4130:                             ;   in Loop: Header=BB4_3836 Depth=2
	v_cmp_lt_i32_e64 s[18:19], -1, v0
	v_bfrev_b32_e32 v0, 0.5
	v_mov_b32_e32 v1, 0x7c
	v_cndmask_b32_e64 v11, v0, v1, s[18:19]
; %bb.4131:                             ;   in Loop: Header=BB4_3836 Depth=2
	s_or_b64 exec, exec, s[22:23]
.LBB4_4132:                             ;   in Loop: Header=BB4_3836 Depth=2
	s_or_b64 exec, exec, s[20:21]
	v_lshrrev_b16_e32 v50, 8, v16
	v_cmp_ne_u16_e64 s[18:19], 0, v50
	v_mov_b32_e32 v0, 0
	s_and_saveexec_b64 s[20:21], s[18:19]
	s_cbranch_execz .LBB4_4140
; %bb.4133:                             ;   in Loop: Header=BB4_3836 Depth=2
	v_cmp_ne_u16_e64 s[18:19], s52, v50
	v_bfrev_b32_e32 v0, 1
	s_and_saveexec_b64 s[22:23], s[18:19]
	s_cbranch_execz .LBB4_4139
; %bb.4134:                             ;   in Loop: Header=BB4_3836 Depth=2
	v_and_b32_e32 v0, 0x7c, v50
	v_and_b32_e32 v1, 3, v50
	v_cmp_ne_u32_e64 s[18:19], s50, v0
                                        ; implicit-def: $vgpr0
	s_and_saveexec_b64 s[90:91], s[18:19]
	s_xor_b64 s[90:91], exec, s[90:91]
	s_cbranch_execz .LBB4_4136
; %bb.4135:                             ;   in Loop: Header=BB4_3836 Depth=2
	v_ffbh_u32_e32 v2, v1
	v_min_u32_e32 v14, 32, v2
	v_subrev_u32_e32 v2, 29, v14
	v_lshlrev_b64 v[2:3], v2, v[50:51]
	v_bfe_u32 v0, v50, 2, 5
	v_and_b32_e32 v2, 3, v2
	v_cmp_eq_u32_e64 s[18:19], 0, v0
	v_sub_u32_e32 v3, 30, v14
	v_cndmask_b32_e64 v1, v1, v2, s[18:19]
	v_lshlrev_b32_e32 v2, 16, v16
	v_cndmask_b32_e64 v0, v0, v3, s[18:19]
	v_and_b32_e32 v2, 0x80000000, v2
	v_lshl_add_u32 v0, v0, 23, v2
	v_lshl_or_b32 v0, v1, 21, v0
	v_add_u32_e32 v0, 0x38000000, v0
                                        ; implicit-def: $vgpr1
.LBB4_4136:                             ;   in Loop: Header=BB4_3836 Depth=2
	s_andn2_saveexec_b64 s[90:91], s[90:91]
; %bb.4137:                             ;   in Loop: Header=BB4_3836 Depth=2
	v_cmp_lt_i16_e64 s[18:19], -1, v16
	v_cndmask_b32_e64 v0, v5, v36, s[18:19]
	v_cmp_eq_u32_e64 s[18:19], 0, v1
	v_cndmask_b32_e64 v0, v37, v0, s[18:19]
; %bb.4138:                             ;   in Loop: Header=BB4_3836 Depth=2
	s_or_b64 exec, exec, s[90:91]
.LBB4_4139:                             ;   in Loop: Header=BB4_3836 Depth=2
	s_or_b64 exec, exec, s[22:23]
.LBB4_4140:                             ;   in Loop: Header=BB4_3836 Depth=2
	s_or_b64 exec, exec, s[20:21]
	v_lshrrev_b16_e32 v50, 8, v12
	v_cmp_lt_i16_e64 s[18:19], s54, v50
	s_mov_b64 s[20:21], 0
	s_and_saveexec_b64 s[22:23], s[18:19]
	s_xor_b64 s[22:23], exec, s[22:23]
	s_cbranch_execz .LBB4_4371
; %bb.4141:                             ;   in Loop: Header=BB4_3836 Depth=2
	v_cmp_eq_u16_e64 s[18:19], s52, v50
	s_mov_b64 s[20:21], -1
	s_and_saveexec_b64 s[90:91], s[18:19]
; %bb.4142:                             ;   in Loop: Header=BB4_3836 Depth=2
	s_xor_b64 s[20:21], exec, -1
; %bb.4143:                             ;   in Loop: Header=BB4_3836 Depth=2
	s_or_b64 exec, exec, s[90:91]
	s_and_b64 s[20:21], s[20:21], exec
	s_or_saveexec_b64 s[22:23], s[22:23]
	v_bfrev_b32_e32 v1, 1
	s_xor_b64 exec, exec, s[22:23]
	s_cbranch_execnz .LBB4_4372
.LBB4_4144:                             ;   in Loop: Header=BB4_3836 Depth=2
	s_or_b64 exec, exec, s[22:23]
	s_and_saveexec_b64 s[90:91], s[20:21]
	s_cbranch_execz .LBB4_4146
.LBB4_4145:                             ;   in Loop: Header=BB4_3836 Depth=2
	v_and_b32_e32 v3, 3, v50
	v_and_b32_e32 v1, 0x7c, v50
	v_cmp_eq_u32_e64 s[18:19], s50, v1
	v_ffbh_u32_e32 v1, v3
	v_min_u32_e32 v15, 32, v1
	v_subrev_u32_e32 v1, 29, v15
	v_bfe_u32 v14, v50, 2, 5
	v_lshlrev_b64 v[1:2], v1, v[50:51]
	v_cmp_eq_u32_e64 s[20:21], 0, v14
	v_sub_u32_e32 v2, 30, v15
	v_cndmask_b32_e64 v2, v14, v2, s[20:21]
	v_lshlrev_b32_e32 v14, 24, v50
	v_and_b32_e32 v1, 3, v1
	v_and_b32_e32 v14, 0x80000000, v14
	v_cndmask_b32_e64 v1, v3, v1, s[20:21]
	v_lshl_add_u32 v2, v2, 23, v14
	v_cmp_lt_i16_e64 s[22:23], -1, v12
	v_lshl_or_b32 v1, v1, 21, v2
	v_cmp_eq_u32_e64 s[20:21], 0, v3
	v_cndmask_b32_e64 v2, v5, v36, s[22:23]
	v_add_u32_e32 v1, 0x38000000, v1
	v_cndmask_b32_e64 v2, v37, v2, s[20:21]
	v_cndmask_b32_e64 v1, v1, v2, s[18:19]
.LBB4_4146:                             ;   in Loop: Header=BB4_3836 Depth=2
	s_or_b64 exec, exec, s[90:91]
	v_mul_f32_e32 v0, v0, v1
	v_and_b32_e32 v1, 0x7f800000, v0
	v_mov_b32_e32 v2, v51
	v_cmp_ne_u64_e64 s[18:19], s[58:59], v[1:2]
	v_and_b32_e32 v50, 0x7fffff, v0
                                        ; implicit-def: $vgpr14
	s_and_saveexec_b64 s[20:21], s[18:19]
	s_xor_b64 s[22:23], exec, s[20:21]
	s_cbranch_execz .LBB4_4160
; %bb.4147:                             ;   in Loop: Header=BB4_3836 Depth=2
	v_and_b32_e32 v1, 0x7fffffff, v0
	v_mov_b32_e32 v2, v51
	v_cmp_gt_u64_e64 s[18:19], s[60:61], v[1:2]
	v_and_b32_sdwa v3, v0, s52 dst_sel:DWORD dst_unused:UNUSED_PAD src0_sel:BYTE_3 src1_sel:DWORD
                                        ; implicit-def: $vgpr14
	s_and_saveexec_b64 s[20:21], s[18:19]
	s_xor_b64 s[90:91], exec, s[20:21]
	s_cbranch_execz .LBB4_4157
; %bb.4148:                             ;   in Loop: Header=BB4_3836 Depth=2
	v_mov_b32_e32 v14, 0
	v_cmp_ne_u32_e64 s[18:19], 0, v0
	s_and_saveexec_b64 s[92:93], s[18:19]
	s_cbranch_execz .LBB4_4156
; %bb.4149:                             ;   in Loop: Header=BB4_3836 Depth=2
	v_bfe_u32 v14, v0, 23, 8
	v_cmp_gt_u32_e64 s[20:21], s53, v14
	v_sub_u32_e32 v0, 0x71, v14
	v_cmp_eq_u32_e64 s[18:19], 0, v14
	v_cndmask_b32_e64 v0, 0, v0, s[20:21]
	v_mov_b32_e32 v2, 0x70
	v_cndmask_b32_e64 v15, v0, v2, s[18:19]
	v_or_b32_e32 v1, 0x800000, v50
	v_add_u32_e32 v0, 21, v15
	v_cndmask_b32_e64 v50, v1, v50, s[18:19]
	v_lshlrev_b64 v[0:1], v0, -1
	v_add_u32_e32 v2, 20, v15
	v_lshlrev_b64 v[48:49], v2, 1
	v_bfi_b32 v1, v1, 0, 0
	v_bfi_b32 v0, v0, 0, v50
	v_cmp_eq_u64_e64 s[20:21], v[0:1], v[48:49]
	v_lshrrev_b64 v[0:1], v15, v[50:51]
	v_mov_b32_e32 v2, v1
	v_mov_b32_e32 v1, v0
	s_and_saveexec_b64 s[94:95], s[20:21]
; %bb.4150:                             ;   in Loop: Header=BB4_3836 Depth=2
	v_bfe_u32 v1, v0, 21, 1
	v_add_co_u32_e64 v1, s[20:21], v0, v1
	v_add_co_u32_e64 v1, s[20:21], -1, v1
; %bb.4151:                             ;   in Loop: Header=BB4_3836 Depth=2
	s_or_b64 exec, exec, s[94:95]
	v_add_u32_e32 v2, 0xffffff81, v14
	v_mov_b32_e32 v14, 0xffffff82
	v_cndmask_b32_e64 v2, v2, v14, s[18:19]
	v_lshrrev_b32_e32 v14, 23, v0
	v_add3_u32 v15, v15, v2, v14
	v_add_u32_e32 v14, 14, v15
	v_and_b32_e32 v1, 0x1fffff, v1
	v_add_u32_e32 v50, v1, v0
	v_cmp_ne_u32_e64 s[18:19], 0, v14
                                        ; implicit-def: $vgpr0_vgpr1
                                        ; implicit-def: $vgpr2
	s_and_saveexec_b64 s[20:21], s[18:19]
	s_xor_b64 s[20:21], exec, s[20:21]
; %bb.4152:                             ;   in Loop: Header=BB4_3836 Depth=2
	v_cmp_lt_u64_e64 s[18:19], s[62:63], v[50:51]
	v_add_u32_e32 v0, 15, v15
	v_cndmask_b32_e64 v2, v14, v0, s[18:19]
	v_cndmask_b32_e64 v0, 0, 1, s[18:19]
	v_lshrrev_b64 v[0:1], v0, v[50:51]
; %bb.4153:                             ;   in Loop: Header=BB4_3836 Depth=2
	s_andn2_saveexec_b64 s[18:19], s[20:21]
; %bb.4154:                             ;   in Loop: Header=BB4_3836 Depth=2
	v_mov_b32_e32 v0, v50
	v_bfe_u32 v2, v50, 23, 1
	v_mov_b32_e32 v1, v51
; %bb.4155:                             ;   in Loop: Header=BB4_3836 Depth=2
	s_or_b64 exec, exec, s[18:19]
	v_lshrrev_b64 v[0:1], 21, v[0:1]
	v_cmp_gt_i32_e64 s[18:19], 32, v2
	v_cndmask_b32_e64 v1, 0, v1, s[18:19]
	v_cndmask_b32_e64 v0, 3, v0, s[18:19]
	v_cmp_eq_u64_e64 s[20:21], 0, v[0:1]
	v_min_i32_e32 v1, 31, v2
	v_lshlrev_b32_e32 v1, 2, v1
	v_cmp_eq_u32_e64 s[18:19], 0, v2
	v_and_b32_e32 v1, 0xfc, v1
	v_and_or_b32 v0, v0, 3, v1
	s_and_b64 s[18:19], s[18:19], s[20:21]
	v_cndmask_b32_e64 v0, v0, 0, s[18:19]
	v_or_b32_e32 v14, v0, v3
.LBB4_4156:                             ;   in Loop: Header=BB4_3836 Depth=2
	s_or_b64 exec, exec, s[92:93]
                                        ; implicit-def: $vgpr3
.LBB4_4157:                             ;   in Loop: Header=BB4_3836 Depth=2
	s_andn2_saveexec_b64 s[18:19], s[90:91]
; %bb.4158:                             ;   in Loop: Header=BB4_3836 Depth=2
	v_or_b32_e32 v14, 0x7b, v3
; %bb.4159:                             ;   in Loop: Header=BB4_3836 Depth=2
	s_or_b64 exec, exec, s[18:19]
                                        ; implicit-def: $vgpr0
.LBB4_4160:                             ;   in Loop: Header=BB4_3836 Depth=2
	s_andn2_saveexec_b64 s[20:21], s[22:23]
	s_cbranch_execz .LBB4_4166
; %bb.4161:                             ;   in Loop: Header=BB4_3836 Depth=2
	v_cmp_ne_u64_e64 s[18:19], 0, v[50:51]
                                        ; implicit-def: $vgpr14
	s_and_saveexec_b64 s[22:23], s[18:19]
	s_xor_b64 s[18:19], exec, s[22:23]
; %bb.4162:                             ;   in Loop: Header=BB4_3836 Depth=2
	v_or_b32_sdwa v14, v0, s54 dst_sel:DWORD dst_unused:UNUSED_PAD src0_sel:BYTE_3 src1_sel:DWORD
                                        ; implicit-def: $vgpr0
; %bb.4163:                             ;   in Loop: Header=BB4_3836 Depth=2
	s_andn2_saveexec_b64 s[22:23], s[18:19]
; %bb.4164:                             ;   in Loop: Header=BB4_3836 Depth=2
	v_cmp_lt_i32_e64 s[18:19], -1, v0
	v_bfrev_b32_e32 v0, 0.5
	v_mov_b32_e32 v1, 0x7c
	v_cndmask_b32_e64 v14, v0, v1, s[18:19]
; %bb.4165:                             ;   in Loop: Header=BB4_3836 Depth=2
	s_or_b64 exec, exec, s[22:23]
.LBB4_4166:                             ;   in Loop: Header=BB4_3836 Depth=2
	s_or_b64 exec, exec, s[20:21]
	v_lshrrev_b32_e32 v0, 16, v16
	v_cmp_ne_u16_sdwa s[18:19], v0, v51 src0_sel:BYTE_0 src1_sel:DWORD
	v_mov_b32_e32 v1, 0
	s_and_saveexec_b64 s[20:21], s[18:19]
	s_cbranch_execz .LBB4_4174
; %bb.4167:                             ;   in Loop: Header=BB4_3836 Depth=2
	v_cmp_ne_u16_sdwa s[18:19], v0, s52 src0_sel:BYTE_0 src1_sel:DWORD
	v_bfrev_b32_e32 v1, 1
	s_and_saveexec_b64 s[22:23], s[18:19]
	s_cbranch_execz .LBB4_4173
; %bb.4168:                             ;   in Loop: Header=BB4_3836 Depth=2
	v_and_b32_e32 v1, 0x7c0000, v16
	v_bfe_u32 v2, v16, 16, 2
	v_cmp_ne_u32_e64 s[18:19], s55, v1
                                        ; implicit-def: $vgpr1
	s_and_saveexec_b64 s[90:91], s[18:19]
	s_xor_b64 s[90:91], exec, s[90:91]
	s_cbranch_execz .LBB4_4170
; %bb.4169:                             ;   in Loop: Header=BB4_3836 Depth=2
	v_ffbh_u32_e32 v1, v2
	v_min_u32_e32 v15, 32, v1
	v_subrev_u32_e32 v1, 29, v15
	v_lshlrev_b64 v[0:1], v1, v[0:1]
	v_bfe_u32 v3, v16, 18, 5
	v_and_b32_e32 v0, 3, v0
	v_cmp_eq_u32_e64 s[18:19], 0, v3
	v_sub_u32_e32 v1, 30, v15
	v_cndmask_b32_e64 v0, v2, v0, s[18:19]
	v_lshlrev_b32_e32 v2, 8, v16
	v_cndmask_b32_e64 v1, v3, v1, s[18:19]
	v_and_b32_e32 v2, 0x80000000, v2
	v_lshl_add_u32 v1, v1, 23, v2
	v_lshl_or_b32 v0, v0, 21, v1
	v_add_u32_e32 v1, 0x38000000, v0
                                        ; implicit-def: $vgpr2
                                        ; implicit-def: $vgpr0
.LBB4_4170:                             ;   in Loop: Header=BB4_3836 Depth=2
	s_andn2_saveexec_b64 s[90:91], s[90:91]
; %bb.4171:                             ;   in Loop: Header=BB4_3836 Depth=2
	v_cmp_gt_i16_sdwa s[18:19], sext(v0), v43 src0_sel:BYTE_0 src1_sel:DWORD
	v_cndmask_b32_e64 v0, v5, v36, s[18:19]
	v_cmp_eq_u32_e64 s[18:19], 0, v2
	v_cndmask_b32_e64 v1, v37, v0, s[18:19]
; %bb.4172:                             ;   in Loop: Header=BB4_3836 Depth=2
	s_or_b64 exec, exec, s[90:91]
.LBB4_4173:                             ;   in Loop: Header=BB4_3836 Depth=2
	s_or_b64 exec, exec, s[22:23]
.LBB4_4174:                             ;   in Loop: Header=BB4_3836 Depth=2
	s_or_b64 exec, exec, s[20:21]
	v_lshrrev_b32_e32 v0, 16, v12
	v_cmp_gt_i16_sdwa s[20:21], v0, s54 src0_sel:BYTE_0 src1_sel:DWORD
	s_mov_b64 s[18:19], 0
	s_and_saveexec_b64 s[22:23], s[20:21]
	s_xor_b64 s[20:21], exec, s[22:23]
	s_cbranch_execz .LBB4_4373
; %bb.4175:                             ;   in Loop: Header=BB4_3836 Depth=2
	v_cmp_eq_u16_sdwa s[90:91], v0, s52 src0_sel:BYTE_0 src1_sel:DWORD
	s_mov_b64 s[18:19], -1
	s_and_saveexec_b64 s[22:23], s[90:91]
; %bb.4176:                             ;   in Loop: Header=BB4_3836 Depth=2
	s_xor_b64 s[18:19], exec, -1
; %bb.4177:                             ;   in Loop: Header=BB4_3836 Depth=2
	s_or_b64 exec, exec, s[22:23]
	s_and_b64 s[18:19], s[18:19], exec
	s_or_saveexec_b64 s[20:21], s[20:21]
	v_bfrev_b32_e32 v2, 1
	s_xor_b64 exec, exec, s[20:21]
	s_cbranch_execnz .LBB4_4374
.LBB4_4178:                             ;   in Loop: Header=BB4_3836 Depth=2
	s_or_b64 exec, exec, s[20:21]
	s_and_saveexec_b64 s[90:91], s[18:19]
	s_cbranch_execz .LBB4_4180
.LBB4_4179:                             ;   in Loop: Header=BB4_3836 Depth=2
	v_and_b32_e32 v15, 3, v0
	v_and_b32_e32 v2, 0x7c0000, v12
	v_cmp_eq_u32_e64 s[18:19], s55, v2
	v_ffbh_u32_e32 v2, v15
	v_min_u32_e32 v49, 32, v2
	v_subrev_u32_e32 v2, 29, v49
	v_bfe_u32 v48, v12, 18, 5
	v_lshlrev_b64 v[2:3], v2, v[0:1]
	v_cmp_eq_u32_e64 s[20:21], 0, v48
	v_sub_u32_e32 v3, 30, v49
	v_cndmask_b32_e64 v3, v48, v3, s[20:21]
	v_lshlrev_b32_e32 v48, 24, v0
	v_and_b32_e32 v2, 3, v2
	v_and_b32_e32 v48, 0x80000000, v48
	v_cndmask_b32_e64 v2, v15, v2, s[20:21]
	v_lshl_add_u32 v3, v3, 23, v48
	v_cmp_gt_i16_sdwa s[22:23], sext(v0), v43 src0_sel:BYTE_0 src1_sel:DWORD
	v_lshl_or_b32 v2, v2, 21, v3
	v_cmp_eq_u32_e64 s[20:21], 0, v15
	v_cndmask_b32_e64 v0, v5, v36, s[22:23]
	v_add_u32_e32 v2, 0x38000000, v2
	v_cndmask_b32_e64 v0, v37, v0, s[20:21]
	v_cndmask_b32_e64 v2, v2, v0, s[18:19]
.LBB4_4180:                             ;   in Loop: Header=BB4_3836 Depth=2
	s_or_b64 exec, exec, s[90:91]
	v_mul_f32_e32 v0, v1, v2
	v_and_b32_e32 v1, 0x7f800000, v0
	v_mov_b32_e32 v2, v51
	v_cmp_ne_u64_e64 s[18:19], s[58:59], v[1:2]
	v_and_b32_e32 v50, 0x7fffff, v0
                                        ; implicit-def: $vgpr15
	s_and_saveexec_b64 s[20:21], s[18:19]
	s_xor_b64 s[22:23], exec, s[20:21]
	s_cbranch_execz .LBB4_4194
; %bb.4181:                             ;   in Loop: Header=BB4_3836 Depth=2
	v_and_b32_e32 v1, 0x7fffffff, v0
	v_mov_b32_e32 v2, v51
	v_cmp_gt_u64_e64 s[18:19], s[60:61], v[1:2]
	v_and_b32_sdwa v3, v0, s52 dst_sel:DWORD dst_unused:UNUSED_PAD src0_sel:BYTE_3 src1_sel:DWORD
                                        ; implicit-def: $vgpr15
	s_and_saveexec_b64 s[20:21], s[18:19]
	s_xor_b64 s[90:91], exec, s[20:21]
	s_cbranch_execz .LBB4_4191
; %bb.4182:                             ;   in Loop: Header=BB4_3836 Depth=2
	v_mov_b32_e32 v15, 0
	v_cmp_ne_u32_e64 s[18:19], 0, v0
	s_and_saveexec_b64 s[92:93], s[18:19]
	s_cbranch_execz .LBB4_4190
; %bb.4183:                             ;   in Loop: Header=BB4_3836 Depth=2
	v_bfe_u32 v15, v0, 23, 8
	v_cmp_gt_u32_e64 s[20:21], s53, v15
	v_sub_u32_e32 v0, 0x71, v15
	v_cmp_eq_u32_e64 s[18:19], 0, v15
	v_cndmask_b32_e64 v0, 0, v0, s[20:21]
	v_mov_b32_e32 v2, 0x70
	v_cndmask_b32_e64 v48, v0, v2, s[18:19]
	v_or_b32_e32 v1, 0x800000, v50
	v_add_u32_e32 v0, 21, v48
	v_cndmask_b32_e64 v50, v1, v50, s[18:19]
	v_lshlrev_b64 v[0:1], v0, -1
	v_add_u32_e32 v2, 20, v48
	v_lshlrev_b64 v[54:55], v2, 1
	v_bfi_b32 v1, v1, 0, 0
	v_bfi_b32 v0, v0, 0, v50
	v_cmp_eq_u64_e64 s[20:21], v[0:1], v[54:55]
	v_lshrrev_b64 v[0:1], v48, v[50:51]
	v_mov_b32_e32 v2, v1
	v_mov_b32_e32 v1, v0
	s_and_saveexec_b64 s[94:95], s[20:21]
; %bb.4184:                             ;   in Loop: Header=BB4_3836 Depth=2
	v_bfe_u32 v1, v0, 21, 1
	v_add_co_u32_e64 v1, s[20:21], v0, v1
	v_add_co_u32_e64 v1, s[20:21], -1, v1
; %bb.4185:                             ;   in Loop: Header=BB4_3836 Depth=2
	s_or_b64 exec, exec, s[94:95]
	v_add_u32_e32 v2, 0xffffff81, v15
	v_mov_b32_e32 v15, 0xffffff82
	v_cndmask_b32_e64 v2, v2, v15, s[18:19]
	v_lshrrev_b32_e32 v15, 23, v0
	v_add3_u32 v48, v48, v2, v15
	v_add_u32_e32 v15, 14, v48
	v_and_b32_e32 v1, 0x1fffff, v1
	v_add_u32_e32 v50, v1, v0
	v_cmp_ne_u32_e64 s[18:19], 0, v15
                                        ; implicit-def: $vgpr0_vgpr1
                                        ; implicit-def: $vgpr2
	s_and_saveexec_b64 s[20:21], s[18:19]
	s_xor_b64 s[20:21], exec, s[20:21]
; %bb.4186:                             ;   in Loop: Header=BB4_3836 Depth=2
	v_cmp_lt_u64_e64 s[18:19], s[62:63], v[50:51]
	v_add_u32_e32 v0, 15, v48
	v_cndmask_b32_e64 v2, v15, v0, s[18:19]
	v_cndmask_b32_e64 v0, 0, 1, s[18:19]
	v_lshrrev_b64 v[0:1], v0, v[50:51]
; %bb.4187:                             ;   in Loop: Header=BB4_3836 Depth=2
	s_andn2_saveexec_b64 s[18:19], s[20:21]
; %bb.4188:                             ;   in Loop: Header=BB4_3836 Depth=2
	v_mov_b32_e32 v0, v50
	v_bfe_u32 v2, v50, 23, 1
	v_mov_b32_e32 v1, v51
; %bb.4189:                             ;   in Loop: Header=BB4_3836 Depth=2
	s_or_b64 exec, exec, s[18:19]
	v_lshrrev_b64 v[0:1], 21, v[0:1]
	v_cmp_gt_i32_e64 s[18:19], 32, v2
	v_cndmask_b32_e64 v1, 0, v1, s[18:19]
	v_cndmask_b32_e64 v0, 3, v0, s[18:19]
	v_cmp_eq_u64_e64 s[20:21], 0, v[0:1]
	v_min_i32_e32 v1, 31, v2
	v_lshlrev_b32_e32 v1, 2, v1
	v_cmp_eq_u32_e64 s[18:19], 0, v2
	v_and_b32_e32 v1, 0xfc, v1
	v_and_or_b32 v0, v0, 3, v1
	s_and_b64 s[18:19], s[18:19], s[20:21]
	v_cndmask_b32_e64 v0, v0, 0, s[18:19]
	v_or_b32_e32 v15, v0, v3
.LBB4_4190:                             ;   in Loop: Header=BB4_3836 Depth=2
	s_or_b64 exec, exec, s[92:93]
                                        ; implicit-def: $vgpr3
.LBB4_4191:                             ;   in Loop: Header=BB4_3836 Depth=2
	s_andn2_saveexec_b64 s[18:19], s[90:91]
; %bb.4192:                             ;   in Loop: Header=BB4_3836 Depth=2
	v_or_b32_e32 v15, 0x7b, v3
; %bb.4193:                             ;   in Loop: Header=BB4_3836 Depth=2
	s_or_b64 exec, exec, s[18:19]
                                        ; implicit-def: $vgpr0
.LBB4_4194:                             ;   in Loop: Header=BB4_3836 Depth=2
	s_andn2_saveexec_b64 s[20:21], s[22:23]
	s_cbranch_execz .LBB4_4200
; %bb.4195:                             ;   in Loop: Header=BB4_3836 Depth=2
	v_cmp_ne_u64_e64 s[18:19], 0, v[50:51]
                                        ; implicit-def: $vgpr15
	s_and_saveexec_b64 s[22:23], s[18:19]
	s_xor_b64 s[18:19], exec, s[22:23]
; %bb.4196:                             ;   in Loop: Header=BB4_3836 Depth=2
	v_or_b32_sdwa v15, v0, s54 dst_sel:DWORD dst_unused:UNUSED_PAD src0_sel:BYTE_3 src1_sel:DWORD
                                        ; implicit-def: $vgpr0
; %bb.4197:                             ;   in Loop: Header=BB4_3836 Depth=2
	s_andn2_saveexec_b64 s[22:23], s[18:19]
; %bb.4198:                             ;   in Loop: Header=BB4_3836 Depth=2
	v_cmp_lt_i32_e64 s[18:19], -1, v0
	v_bfrev_b32_e32 v0, 0.5
	v_mov_b32_e32 v1, 0x7c
	v_cndmask_b32_e64 v15, v0, v1, s[18:19]
; %bb.4199:                             ;   in Loop: Header=BB4_3836 Depth=2
	s_or_b64 exec, exec, s[22:23]
.LBB4_4200:                             ;   in Loop: Header=BB4_3836 Depth=2
	s_or_b64 exec, exec, s[20:21]
	v_cmp_lt_u32_e64 s[18:19], s57, v16
	v_mov_b32_e32 v1, 0
	s_and_saveexec_b64 s[20:21], s[18:19]
	s_cbranch_execz .LBB4_4208
; %bb.4201:                             ;   in Loop: Header=BB4_3836 Depth=2
	v_lshrrev_b32_e32 v0, 24, v16
	v_cmp_ne_u32_e64 s[18:19], s52, v0
	v_bfrev_b32_e32 v1, 1
	s_and_saveexec_b64 s[22:23], s[18:19]
	s_cbranch_execz .LBB4_4207
; %bb.4202:                             ;   in Loop: Header=BB4_3836 Depth=2
	v_and_b32_e32 v1, 0x7c000000, v16
	v_bfe_u32 v2, v16, 24, 2
	v_cmp_ne_u32_e64 s[18:19], s64, v1
                                        ; implicit-def: $vgpr1
	s_and_saveexec_b64 s[90:91], s[18:19]
	s_xor_b64 s[90:91], exec, s[90:91]
	s_cbranch_execz .LBB4_4204
; %bb.4203:                             ;   in Loop: Header=BB4_3836 Depth=2
	v_ffbh_u32_e32 v1, v2
	v_min_u32_e32 v48, 32, v1
	v_subrev_u32_e32 v1, 29, v48
	v_lshlrev_b64 v[0:1], v1, v[0:1]
	v_bfe_u32 v3, v16, 26, 5
	v_sub_u32_e32 v1, 30, v48
	v_and_b32_e32 v0, 3, v0
	v_cmp_eq_u32_e64 s[18:19], 0, v3
	v_cndmask_b32_e64 v1, v3, v1, s[18:19]
	v_cndmask_b32_e64 v0, v2, v0, s[18:19]
	v_and_b32_e32 v2, 0x80000000, v16
	v_lshl_add_u32 v1, v1, 23, v2
	v_lshl_or_b32 v0, v0, 21, v1
	v_add_u32_e32 v1, 0x38000000, v0
                                        ; implicit-def: $vgpr2
.LBB4_4204:                             ;   in Loop: Header=BB4_3836 Depth=2
	s_andn2_saveexec_b64 s[90:91], s[90:91]
; %bb.4205:                             ;   in Loop: Header=BB4_3836 Depth=2
	v_cmp_lt_i32_e64 s[18:19], -1, v16
	v_cndmask_b32_e64 v0, v5, v36, s[18:19]
	v_cmp_eq_u32_e64 s[18:19], 0, v2
	v_cndmask_b32_e64 v1, v37, v0, s[18:19]
; %bb.4206:                             ;   in Loop: Header=BB4_3836 Depth=2
	s_or_b64 exec, exec, s[90:91]
.LBB4_4207:                             ;   in Loop: Header=BB4_3836 Depth=2
	s_or_b64 exec, exec, s[22:23]
.LBB4_4208:                             ;   in Loop: Header=BB4_3836 Depth=2
	s_or_b64 exec, exec, s[20:21]
	v_bfe_u32 v48, v12, 24, 2
	v_and_b32_e32 v2, 0x7c000000, v12
	v_cmp_eq_u32_e64 s[18:19], s64, v2
	v_ffbh_u32_e32 v2, v48
	v_min_u32_e32 v50, 32, v2
	v_lshrrev_b32_e32 v0, 24, v12
	v_subrev_u32_e32 v2, 29, v50
	v_bfe_u32 v49, v12, 26, 5
	v_lshlrev_b64 v[2:3], v2, v[0:1]
	v_cmp_eq_u32_e64 s[20:21], 0, v49
	v_sub_u32_e32 v3, 30, v50
	v_and_b32_e32 v2, 3, v2
	v_cndmask_b32_e64 v3, v49, v3, s[20:21]
	v_and_b32_e32 v49, 0x80000000, v12
	v_cndmask_b32_e64 v2, v48, v2, s[20:21]
	v_lshl_add_u32 v3, v3, 23, v49
	v_cmp_lt_i32_e64 s[22:23], -1, v12
	v_lshl_or_b32 v2, v2, 21, v3
	v_cmp_eq_u32_e64 s[20:21], 0, v48
	v_cndmask_b32_e64 v3, v5, v36, s[22:23]
	v_add_u32_e32 v2, 0x38000000, v2
	v_cndmask_b32_e64 v3, v37, v3, s[20:21]
	v_cndmask_b32_e64 v2, v2, v3, s[18:19]
	v_cmp_ne_u32_e64 s[18:19], s52, v0
	v_bfrev_b32_e32 v0, 1
	v_cndmask_b32_e64 v0, v0, v2, s[18:19]
	v_cmp_lt_u32_e64 s[18:19], s57, v12
	v_cndmask_b32_e64 v0, 0, v0, s[18:19]
	v_mul_f32_e32 v0, v0, v1
	v_and_b32_e32 v1, 0x7f800000, v0
	v_mov_b32_e32 v2, v51
	v_cmp_ne_u64_e64 s[18:19], s[58:59], v[1:2]
	v_and_b32_e32 v50, 0x7fffff, v0
                                        ; implicit-def: $vgpr48
	s_and_saveexec_b64 s[20:21], s[18:19]
	s_xor_b64 s[22:23], exec, s[20:21]
	s_cbranch_execz .LBB4_4222
; %bb.4209:                             ;   in Loop: Header=BB4_3836 Depth=2
	v_and_b32_e32 v1, 0x7fffffff, v0
	v_mov_b32_e32 v2, v51
	v_cmp_gt_u64_e64 s[18:19], s[60:61], v[1:2]
	v_and_b32_sdwa v3, v0, s52 dst_sel:DWORD dst_unused:UNUSED_PAD src0_sel:BYTE_3 src1_sel:DWORD
                                        ; implicit-def: $vgpr48
	s_and_saveexec_b64 s[20:21], s[18:19]
	s_xor_b64 s[90:91], exec, s[20:21]
	s_cbranch_execz .LBB4_4219
; %bb.4210:                             ;   in Loop: Header=BB4_3836 Depth=2
	v_mov_b32_e32 v48, 0
	v_cmp_ne_u32_e64 s[18:19], 0, v0
	s_and_saveexec_b64 s[92:93], s[18:19]
	s_cbranch_execz .LBB4_4218
; %bb.4211:                             ;   in Loop: Header=BB4_3836 Depth=2
	v_bfe_u32 v48, v0, 23, 8
	v_cmp_gt_u32_e64 s[20:21], s53, v48
	v_sub_u32_e32 v0, 0x71, v48
	v_cmp_eq_u32_e64 s[18:19], 0, v48
	v_cndmask_b32_e64 v0, 0, v0, s[20:21]
	v_mov_b32_e32 v2, 0x70
	v_cndmask_b32_e64 v49, v0, v2, s[18:19]
	v_or_b32_e32 v1, 0x800000, v50
	v_add_u32_e32 v0, 21, v49
	v_cndmask_b32_e64 v50, v1, v50, s[18:19]
	v_lshlrev_b64 v[0:1], v0, -1
	v_add_u32_e32 v2, 20, v49
	v_lshlrev_b64 v[54:55], v2, 1
	v_bfi_b32 v1, v1, 0, 0
	v_bfi_b32 v0, v0, 0, v50
	v_cmp_eq_u64_e64 s[20:21], v[0:1], v[54:55]
	v_lshrrev_b64 v[0:1], v49, v[50:51]
	v_mov_b32_e32 v2, v1
	v_mov_b32_e32 v1, v0
	s_and_saveexec_b64 s[94:95], s[20:21]
; %bb.4212:                             ;   in Loop: Header=BB4_3836 Depth=2
	v_bfe_u32 v1, v0, 21, 1
	v_add_co_u32_e64 v1, s[20:21], v0, v1
	v_add_co_u32_e64 v1, s[20:21], -1, v1
; %bb.4213:                             ;   in Loop: Header=BB4_3836 Depth=2
	s_or_b64 exec, exec, s[94:95]
	v_add_u32_e32 v2, 0xffffff81, v48
	v_mov_b32_e32 v48, 0xffffff82
	v_cndmask_b32_e64 v2, v2, v48, s[18:19]
	v_lshrrev_b32_e32 v48, 23, v0
	v_add3_u32 v49, v49, v2, v48
	v_add_u32_e32 v48, 14, v49
	v_and_b32_e32 v1, 0x1fffff, v1
	v_add_u32_e32 v50, v1, v0
	v_cmp_ne_u32_e64 s[18:19], 0, v48
                                        ; implicit-def: $vgpr0_vgpr1
                                        ; implicit-def: $vgpr2
	s_and_saveexec_b64 s[20:21], s[18:19]
	s_xor_b64 s[20:21], exec, s[20:21]
; %bb.4214:                             ;   in Loop: Header=BB4_3836 Depth=2
	v_cmp_lt_u64_e64 s[18:19], s[62:63], v[50:51]
	v_add_u32_e32 v0, 15, v49
	v_cndmask_b32_e64 v2, v48, v0, s[18:19]
	v_cndmask_b32_e64 v0, 0, 1, s[18:19]
	v_lshrrev_b64 v[0:1], v0, v[50:51]
; %bb.4215:                             ;   in Loop: Header=BB4_3836 Depth=2
	s_andn2_saveexec_b64 s[18:19], s[20:21]
; %bb.4216:                             ;   in Loop: Header=BB4_3836 Depth=2
	v_mov_b32_e32 v0, v50
	v_bfe_u32 v2, v50, 23, 1
	v_mov_b32_e32 v1, v51
; %bb.4217:                             ;   in Loop: Header=BB4_3836 Depth=2
	s_or_b64 exec, exec, s[18:19]
	v_lshrrev_b64 v[0:1], 21, v[0:1]
	v_cmp_gt_i32_e64 s[18:19], 32, v2
	v_cndmask_b32_e64 v1, 0, v1, s[18:19]
	v_cndmask_b32_e64 v0, 3, v0, s[18:19]
	v_cmp_eq_u64_e64 s[20:21], 0, v[0:1]
	v_min_i32_e32 v1, 31, v2
	v_lshlrev_b32_e32 v1, 2, v1
	v_cmp_eq_u32_e64 s[18:19], 0, v2
	v_and_b32_e32 v1, 0xfc, v1
	v_and_or_b32 v0, v0, 3, v1
	s_and_b64 s[18:19], s[18:19], s[20:21]
	v_cndmask_b32_e64 v0, v0, 0, s[18:19]
	v_or_b32_e32 v48, v0, v3
.LBB4_4218:                             ;   in Loop: Header=BB4_3836 Depth=2
	s_or_b64 exec, exec, s[92:93]
                                        ; implicit-def: $vgpr3
.LBB4_4219:                             ;   in Loop: Header=BB4_3836 Depth=2
	s_andn2_saveexec_b64 s[18:19], s[90:91]
; %bb.4220:                             ;   in Loop: Header=BB4_3836 Depth=2
	v_or_b32_e32 v48, 0x7b, v3
; %bb.4221:                             ;   in Loop: Header=BB4_3836 Depth=2
	s_or_b64 exec, exec, s[18:19]
                                        ; implicit-def: $vgpr0
.LBB4_4222:                             ;   in Loop: Header=BB4_3836 Depth=2
	s_andn2_saveexec_b64 s[20:21], s[22:23]
	s_cbranch_execz .LBB4_4228
; %bb.4223:                             ;   in Loop: Header=BB4_3836 Depth=2
	v_cmp_ne_u64_e64 s[18:19], 0, v[50:51]
                                        ; implicit-def: $vgpr48
	s_and_saveexec_b64 s[22:23], s[18:19]
	s_xor_b64 s[18:19], exec, s[22:23]
; %bb.4224:                             ;   in Loop: Header=BB4_3836 Depth=2
	v_or_b32_sdwa v48, v0, s54 dst_sel:DWORD dst_unused:UNUSED_PAD src0_sel:BYTE_3 src1_sel:DWORD
                                        ; implicit-def: $vgpr0
; %bb.4225:                             ;   in Loop: Header=BB4_3836 Depth=2
	s_andn2_saveexec_b64 s[22:23], s[18:19]
; %bb.4226:                             ;   in Loop: Header=BB4_3836 Depth=2
	v_cmp_lt_i32_e64 s[18:19], -1, v0
	v_bfrev_b32_e32 v0, 0.5
	v_mov_b32_e32 v1, 0x7c
	v_cndmask_b32_e64 v48, v0, v1, s[18:19]
; %bb.4227:                             ;   in Loop: Header=BB4_3836 Depth=2
	s_or_b64 exec, exec, s[22:23]
.LBB4_4228:                             ;   in Loop: Header=BB4_3836 Depth=2
	s_or_b64 exec, exec, s[20:21]
	v_mov_b32_e32 v50, v17
	v_cmp_ne_u16_sdwa s[18:19], v17, v51 src0_sel:BYTE_0 src1_sel:DWORD
	v_mov_b32_e32 v2, 0
	s_and_saveexec_b64 s[20:21], s[18:19]
	s_cbranch_execz .LBB4_4236
; %bb.4229:                             ;   in Loop: Header=BB4_3836 Depth=2
	v_cmp_ne_u16_sdwa s[18:19], v17, s52 src0_sel:BYTE_0 src1_sel:DWORD
	v_bfrev_b32_e32 v2, 1
	s_and_saveexec_b64 s[22:23], s[18:19]
	s_cbranch_execz .LBB4_4235
; %bb.4230:                             ;   in Loop: Header=BB4_3836 Depth=2
	v_and_b32_e32 v1, 0x7c, v17
	v_and_b32_e32 v0, 3, v17
	v_cmp_ne_u32_e64 s[18:19], s50, v1
                                        ; implicit-def: $vgpr2
	s_and_saveexec_b64 s[90:91], s[18:19]
	s_xor_b64 s[90:91], exec, s[90:91]
	s_cbranch_execz .LBB4_4232
; %bb.4231:                             ;   in Loop: Header=BB4_3836 Depth=2
	v_ffbh_u32_e32 v1, v0
	v_min_u32_e32 v49, 32, v1
	v_subrev_u32_e32 v1, 29, v49
	v_lshlrev_b64 v[1:2], v1, v[50:51]
	v_bfe_u32 v3, v17, 2, 5
	v_and_b32_e32 v1, 3, v1
	v_cmp_eq_u32_e64 s[18:19], 0, v3
	v_sub_u32_e32 v2, 30, v49
	v_cndmask_b32_e64 v0, v0, v1, s[18:19]
	v_lshlrev_b32_e32 v1, 24, v17
	v_cndmask_b32_e64 v2, v3, v2, s[18:19]
	v_and_b32_e32 v1, 0x80000000, v1
	v_lshl_add_u32 v1, v2, 23, v1
	v_lshl_or_b32 v0, v0, 21, v1
	v_add_u32_e32 v2, 0x38000000, v0
                                        ; implicit-def: $vgpr0
.LBB4_4232:                             ;   in Loop: Header=BB4_3836 Depth=2
	s_andn2_saveexec_b64 s[90:91], s[90:91]
; %bb.4233:                             ;   in Loop: Header=BB4_3836 Depth=2
	v_cmp_gt_i16_sdwa s[18:19], sext(v17), v43 src0_sel:BYTE_0 src1_sel:DWORD
	v_cndmask_b32_e64 v1, v5, v36, s[18:19]
	v_cmp_eq_u32_e64 s[18:19], 0, v0
	v_cndmask_b32_e64 v2, v37, v1, s[18:19]
; %bb.4234:                             ;   in Loop: Header=BB4_3836 Depth=2
	s_or_b64 exec, exec, s[90:91]
.LBB4_4235:                             ;   in Loop: Header=BB4_3836 Depth=2
	s_or_b64 exec, exec, s[22:23]
.LBB4_4236:                             ;   in Loop: Header=BB4_3836 Depth=2
	s_or_b64 exec, exec, s[20:21]
	v_cmp_gt_i16_sdwa s[20:21], v13, s54 src0_sel:BYTE_0 src1_sel:DWORD
	s_mov_b64 s[18:19], 0
	s_and_saveexec_b64 s[22:23], s[20:21]
	s_xor_b64 s[20:21], exec, s[22:23]
	s_cbranch_execz .LBB4_4240
; %bb.4237:                             ;   in Loop: Header=BB4_3836 Depth=2
	v_cmp_eq_u16_sdwa s[90:91], v13, s52 src0_sel:BYTE_0 src1_sel:DWORD
	s_mov_b64 s[18:19], -1
	s_and_saveexec_b64 s[22:23], s[90:91]
; %bb.4238:                             ;   in Loop: Header=BB4_3836 Depth=2
	s_xor_b64 s[18:19], exec, -1
; %bb.4239:                             ;   in Loop: Header=BB4_3836 Depth=2
	s_or_b64 exec, exec, s[22:23]
	s_and_b64 s[18:19], s[18:19], exec
.LBB4_4240:                             ;   in Loop: Header=BB4_3836 Depth=2
	s_or_saveexec_b64 s[20:21], s[20:21]
	v_bfrev_b32_e32 v3, 1
	s_xor_b64 exec, exec, s[20:21]
; %bb.4241:                             ;   in Loop: Header=BB4_3836 Depth=2
	v_cmp_ne_u16_sdwa s[22:23], v13, v51 src0_sel:BYTE_0 src1_sel:DWORD
	s_andn2_b64 s[18:19], s[18:19], exec
	s_and_b64 s[22:23], s[22:23], exec
	v_mov_b32_e32 v3, 0
	s_or_b64 s[18:19], s[18:19], s[22:23]
; %bb.4242:                             ;   in Loop: Header=BB4_3836 Depth=2
	s_or_b64 exec, exec, s[20:21]
	v_mov_b32_e32 v0, v13
	v_mov_b32_e32 v1, v51
	s_and_saveexec_b64 s[90:91], s[18:19]
	s_cbranch_execz .LBB4_4244
; %bb.4243:                             ;   in Loop: Header=BB4_3836 Depth=2
	v_and_b32_e32 v3, 3, v13
	v_and_b32_e32 v54, 0x7c, v13
	v_cmp_eq_u32_e64 s[18:19], s50, v54
	v_ffbh_u32_e32 v54, v3
	v_min_u32_e32 v40, 32, v54
	v_subrev_u32_e32 v54, 29, v40
	v_lshlrev_b64 v[54:55], v54, v[0:1]
	v_bfe_u32 v49, v13, 2, 5
	v_cmp_eq_u32_e64 s[20:21], 0, v49
	v_sub_u32_e32 v1, 30, v40
	v_and_b32_e32 v54, 3, v54
	v_cndmask_b32_e64 v1, v49, v1, s[20:21]
	v_cndmask_b32_e64 v49, v3, v54, s[20:21]
	v_lshlrev_b32_e32 v54, 24, v13
	v_and_b32_e32 v54, 0x80000000, v54
	v_lshl_add_u32 v1, v1, 23, v54
	v_cmp_gt_i16_sdwa s[22:23], sext(v13), v43 src0_sel:BYTE_0 src1_sel:DWORD
	v_lshl_or_b32 v1, v49, 21, v1
	v_cmp_eq_u32_e64 s[20:21], 0, v3
	v_cndmask_b32_e64 v3, v5, v36, s[22:23]
	v_add_u32_e32 v1, 0x38000000, v1
	v_cndmask_b32_e64 v3, v37, v3, s[20:21]
	v_cndmask_b32_e64 v3, v1, v3, s[18:19]
.LBB4_4244:                             ;   in Loop: Header=BB4_3836 Depth=2
	s_or_b64 exec, exec, s[90:91]
	v_mul_f32_e32 v54, v2, v3
	v_and_b32_e32 v2, 0x7f800000, v54
	v_mov_b32_e32 v3, v51
	v_cmp_ne_u64_e64 s[18:19], s[58:59], v[2:3]
	v_and_b32_e32 v1, 0x7fffff, v54
	v_mov_b32_e32 v2, v51
                                        ; implicit-def: $vgpr3
	s_and_saveexec_b64 s[20:21], s[18:19]
	s_xor_b64 s[22:23], exec, s[20:21]
	s_cbranch_execz .LBB4_4258
; %bb.4245:                             ;   in Loop: Header=BB4_3836 Depth=2
	v_and_b32_e32 v40, 0x7fffffff, v54
	v_mov_b32_e32 v41, v51
	v_cmp_gt_u64_e64 s[18:19], s[60:61], v[40:41]
	v_and_b32_sdwa v49, v54, s52 dst_sel:DWORD dst_unused:UNUSED_PAD src0_sel:BYTE_3 src1_sel:DWORD
                                        ; implicit-def: $vgpr3
	s_and_saveexec_b64 s[20:21], s[18:19]
	s_xor_b64 s[90:91], exec, s[20:21]
	s_cbranch_execz .LBB4_4255
; %bb.4246:                             ;   in Loop: Header=BB4_3836 Depth=2
	v_mov_b32_e32 v3, 0
	v_cmp_ne_u32_e64 s[18:19], 0, v54
	s_and_saveexec_b64 s[92:93], s[18:19]
	s_cbranch_execz .LBB4_4254
; %bb.4247:                             ;   in Loop: Header=BB4_3836 Depth=2
	v_bfe_u32 v54, v54, 23, 8
	v_cmp_gt_u32_e64 s[20:21], s53, v54
	v_sub_u32_e32 v3, 0x71, v54
	v_cmp_eq_u32_e64 s[18:19], 0, v54
	v_cndmask_b32_e64 v3, 0, v3, s[20:21]
	v_mov_b32_e32 v55, 0x70
	v_cndmask_b32_e64 v55, v3, v55, s[18:19]
	v_or_b32_e32 v40, 0x800000, v1
	v_add_u32_e32 v3, 21, v55
	v_cndmask_b32_e64 v1, v40, v1, s[18:19]
	v_lshlrev_b64 v[40:41], v3, -1
	v_add_u32_e32 v3, 20, v55
	v_bfi_b32 v40, v40, 0, v1
	v_lshlrev_b64 v[42:43], v3, 1
	v_lshrrev_b64 v[1:2], v55, v[1:2]
	v_bfi_b32 v41, v41, 0, 0
	v_cmp_eq_u64_e64 s[20:21], v[40:41], v[42:43]
	v_mov_b32_e32 v3, v2
	v_mov_b32_e32 v2, v1
	s_and_saveexec_b64 s[94:95], s[20:21]
; %bb.4248:                             ;   in Loop: Header=BB4_3836 Depth=2
	v_bfe_u32 v2, v1, 21, 1
	v_add_co_u32_e64 v2, s[20:21], v1, v2
	v_add_co_u32_e64 v2, s[20:21], -1, v2
; %bb.4249:                             ;   in Loop: Header=BB4_3836 Depth=2
	s_or_b64 exec, exec, s[94:95]
	v_add_u32_e32 v3, 0xffffff81, v54
	v_mov_b32_e32 v54, 0xffffff82
	v_cndmask_b32_e64 v3, v3, v54, s[18:19]
	v_lshrrev_b32_e32 v54, 23, v1
	v_add3_u32 v55, v55, v3, v54
	v_add_u32_e32 v54, 14, v55
	v_and_b32_e32 v2, 0x1fffff, v2
	v_add_u32_e32 v1, v2, v1
	v_mov_b32_e32 v2, v51
	v_cmp_ne_u32_e64 s[18:19], 0, v54
                                        ; implicit-def: $vgpr3
	s_and_saveexec_b64 s[20:21], s[18:19]
	s_xor_b64 s[20:21], exec, s[20:21]
; %bb.4250:                             ;   in Loop: Header=BB4_3836 Depth=2
	v_cmp_lt_u64_e64 s[18:19], s[62:63], v[1:2]
	v_add_u32_e32 v3, 15, v55
	v_cndmask_b32_e64 v3, v54, v3, s[18:19]
	v_cndmask_b32_e64 v54, 0, 1, s[18:19]
	v_lshrrev_b64 v[1:2], v54, v[1:2]
; %bb.4251:                             ;   in Loop: Header=BB4_3836 Depth=2
	s_or_saveexec_b64 s[18:19], s[20:21]
	v_mov_b32_e32 v43, -1
	s_xor_b64 exec, exec, s[18:19]
; %bb.4252:                             ;   in Loop: Header=BB4_3836 Depth=2
	v_bfe_u32 v3, v1, 23, 1
; %bb.4253:                             ;   in Loop: Header=BB4_3836 Depth=2
	s_or_b64 exec, exec, s[18:19]
	v_lshrrev_b64 v[1:2], 21, v[1:2]
	v_cmp_gt_i32_e64 s[18:19], 32, v3
	v_cndmask_b32_e64 v2, 0, v2, s[18:19]
	v_cndmask_b32_e64 v1, 3, v1, s[18:19]
	v_cmp_eq_u64_e64 s[20:21], 0, v[1:2]
	v_min_i32_e32 v2, 31, v3
	v_lshlrev_b32_e32 v2, 2, v2
	v_cmp_eq_u32_e64 s[18:19], 0, v3
	v_and_b32_e32 v2, 0xfc, v2
	v_and_or_b32 v1, v1, 3, v2
	s_and_b64 s[18:19], s[18:19], s[20:21]
	v_cndmask_b32_e64 v1, v1, 0, s[18:19]
	v_or_b32_e32 v3, v1, v49
.LBB4_4254:                             ;   in Loop: Header=BB4_3836 Depth=2
	s_or_b64 exec, exec, s[92:93]
                                        ; implicit-def: $vgpr49
.LBB4_4255:                             ;   in Loop: Header=BB4_3836 Depth=2
	s_andn2_saveexec_b64 s[18:19], s[90:91]
; %bb.4256:                             ;   in Loop: Header=BB4_3836 Depth=2
	v_or_b32_e32 v3, 0x7b, v49
; %bb.4257:                             ;   in Loop: Header=BB4_3836 Depth=2
	s_or_b64 exec, exec, s[18:19]
                                        ; implicit-def: $vgpr54
                                        ; implicit-def: $vgpr1_vgpr2
.LBB4_4258:                             ;   in Loop: Header=BB4_3836 Depth=2
	s_andn2_saveexec_b64 s[20:21], s[22:23]
	s_cbranch_execz .LBB4_4264
; %bb.4259:                             ;   in Loop: Header=BB4_3836 Depth=2
	v_cmp_ne_u64_e64 s[18:19], 0, v[1:2]
                                        ; implicit-def: $vgpr3
	s_and_saveexec_b64 s[22:23], s[18:19]
	s_xor_b64 s[18:19], exec, s[22:23]
; %bb.4260:                             ;   in Loop: Header=BB4_3836 Depth=2
	v_or_b32_sdwa v3, v54, s54 dst_sel:DWORD dst_unused:UNUSED_PAD src0_sel:BYTE_3 src1_sel:DWORD
                                        ; implicit-def: $vgpr54
; %bb.4261:                             ;   in Loop: Header=BB4_3836 Depth=2
	s_andn2_saveexec_b64 s[22:23], s[18:19]
; %bb.4262:                             ;   in Loop: Header=BB4_3836 Depth=2
	v_cmp_lt_i32_e64 s[18:19], -1, v54
	v_bfrev_b32_e32 v1, 0.5
	v_mov_b32_e32 v2, 0x7c
	v_cndmask_b32_e64 v3, v1, v2, s[18:19]
; %bb.4263:                             ;   in Loop: Header=BB4_3836 Depth=2
	s_or_b64 exec, exec, s[22:23]
.LBB4_4264:                             ;   in Loop: Header=BB4_3836 Depth=2
	s_or_b64 exec, exec, s[20:21]
	v_lshrrev_b16_e32 v1, 8, v50
	v_cmp_ne_u16_e64 s[18:19], 0, v1
	v_mov_b32_e32 v2, 0
	s_and_saveexec_b64 s[20:21], s[18:19]
	s_cbranch_execz .LBB4_4272
; %bb.4265:                             ;   in Loop: Header=BB4_3836 Depth=2
	v_cmp_ne_u16_e64 s[18:19], s52, v1
	v_bfrev_b32_e32 v2, 1
	s_and_saveexec_b64 s[22:23], s[18:19]
	s_cbranch_execz .LBB4_4271
; %bb.4266:                             ;   in Loop: Header=BB4_3836 Depth=2
	v_and_b32_e32 v2, 0x7c, v1
	v_and_b32_e32 v49, 3, v1
	v_cmp_ne_u32_e64 s[18:19], s50, v2
                                        ; implicit-def: $vgpr2
	s_and_saveexec_b64 s[90:91], s[18:19]
	s_xor_b64 s[90:91], exec, s[90:91]
	s_cbranch_execz .LBB4_4268
; %bb.4267:                             ;   in Loop: Header=BB4_3836 Depth=2
	v_ffbh_u32_e32 v55, v49
	v_min_u32_e32 v55, 32, v55
	v_mov_b32_e32 v2, v51
	v_subrev_u32_e32 v40, 29, v55
	v_bfe_u32 v54, v1, 2, 5
	v_lshlrev_b64 v[1:2], v40, v[1:2]
	v_cmp_eq_u32_e64 s[18:19], 0, v54
	v_and_b32_e32 v1, 3, v1
	v_sub_u32_e32 v2, 30, v55
	v_cndmask_b32_e64 v1, v49, v1, s[18:19]
	v_lshlrev_b32_e32 v49, 16, v50
	v_cndmask_b32_e64 v2, v54, v2, s[18:19]
	v_and_b32_e32 v49, 0x80000000, v49
	v_lshl_add_u32 v2, v2, 23, v49
	v_lshl_or_b32 v1, v1, 21, v2
	v_add_u32_e32 v2, 0x38000000, v1
                                        ; implicit-def: $vgpr49
.LBB4_4268:                             ;   in Loop: Header=BB4_3836 Depth=2
	s_andn2_saveexec_b64 s[90:91], s[90:91]
; %bb.4269:                             ;   in Loop: Header=BB4_3836 Depth=2
	v_cmp_lt_i16_e64 s[18:19], -1, v50
	v_cndmask_b32_e64 v1, v5, v36, s[18:19]
	v_cmp_eq_u32_e64 s[18:19], 0, v49
	v_cndmask_b32_e64 v2, v37, v1, s[18:19]
; %bb.4270:                             ;   in Loop: Header=BB4_3836 Depth=2
	s_or_b64 exec, exec, s[90:91]
.LBB4_4271:                             ;   in Loop: Header=BB4_3836 Depth=2
	s_or_b64 exec, exec, s[22:23]
.LBB4_4272:                             ;   in Loop: Header=BB4_3836 Depth=2
	s_or_b64 exec, exec, s[20:21]
	v_lshrrev_b16_e32 v50, 8, v0
	v_cmp_lt_i16_e64 s[18:19], s54, v50
	s_mov_b64 s[20:21], 0
	s_and_saveexec_b64 s[22:23], s[18:19]
	s_xor_b64 s[22:23], exec, s[22:23]
	s_cbranch_execz .LBB4_4375
; %bb.4273:                             ;   in Loop: Header=BB4_3836 Depth=2
	v_cmp_eq_u16_e64 s[18:19], s52, v50
	s_mov_b64 s[20:21], -1
	s_and_saveexec_b64 s[90:91], s[18:19]
; %bb.4274:                             ;   in Loop: Header=BB4_3836 Depth=2
	s_xor_b64 s[20:21], exec, -1
; %bb.4275:                             ;   in Loop: Header=BB4_3836 Depth=2
	s_or_b64 exec, exec, s[90:91]
	s_and_b64 s[20:21], s[20:21], exec
	s_or_saveexec_b64 s[22:23], s[22:23]
	v_bfrev_b32_e32 v1, 1
	s_xor_b64 exec, exec, s[22:23]
	s_cbranch_execnz .LBB4_4376
.LBB4_4276:                             ;   in Loop: Header=BB4_3836 Depth=2
	s_or_b64 exec, exec, s[22:23]
	s_and_saveexec_b64 s[90:91], s[20:21]
	s_cbranch_execz .LBB4_4278
.LBB4_4277:                             ;   in Loop: Header=BB4_3836 Depth=2
	v_and_b32_e32 v1, 3, v50
	v_and_b32_e32 v54, 0x7c, v50
	v_cmp_eq_u32_e64 s[18:19], s50, v54
	v_ffbh_u32_e32 v54, v1
	v_min_u32_e32 v40, 32, v54
	v_subrev_u32_e32 v54, 29, v40
	v_bfe_u32 v49, v50, 2, 5
	v_lshlrev_b64 v[54:55], v54, v[50:51]
	v_cmp_eq_u32_e64 s[20:21], 0, v49
	v_sub_u32_e32 v55, 30, v40
	v_lshlrev_b32_e32 v50, 24, v50
	v_and_b32_e32 v54, 3, v54
	v_cndmask_b32_e64 v49, v49, v55, s[20:21]
	v_and_b32_e32 v50, 0x80000000, v50
	v_cndmask_b32_e64 v54, v1, v54, s[20:21]
	v_lshl_add_u32 v49, v49, 23, v50
	v_cmp_lt_i16_e64 s[22:23], -1, v0
	v_lshl_or_b32 v49, v54, 21, v49
	v_cmp_eq_u32_e64 s[20:21], 0, v1
	v_cndmask_b32_e64 v0, v5, v36, s[22:23]
	v_add_u32_e32 v49, 0x38000000, v49
	v_cndmask_b32_e64 v0, v37, v0, s[20:21]
	v_cndmask_b32_e64 v1, v49, v0, s[18:19]
.LBB4_4278:                             ;   in Loop: Header=BB4_3836 Depth=2
	s_or_b64 exec, exec, s[90:91]
	v_mul_f32_e32 v0, v2, v1
	v_and_b32_e32 v1, 0x7f800000, v0
	v_mov_b32_e32 v2, v51
	v_cmp_ne_u64_e64 s[18:19], s[58:59], v[1:2]
	v_and_b32_e32 v50, 0x7fffff, v0
                                        ; implicit-def: $vgpr49
	s_and_saveexec_b64 s[20:21], s[18:19]
	s_xor_b64 s[22:23], exec, s[20:21]
	s_cbranch_execz .LBB4_4292
; %bb.4279:                             ;   in Loop: Header=BB4_3836 Depth=2
	v_and_b32_e32 v1, 0x7fffffff, v0
	v_mov_b32_e32 v2, v51
	v_cmp_gt_u64_e64 s[18:19], s[60:61], v[1:2]
	v_and_b32_sdwa v54, v0, s52 dst_sel:DWORD dst_unused:UNUSED_PAD src0_sel:BYTE_3 src1_sel:DWORD
                                        ; implicit-def: $vgpr49
	s_and_saveexec_b64 s[20:21], s[18:19]
	s_xor_b64 s[90:91], exec, s[20:21]
	s_cbranch_execz .LBB4_4289
; %bb.4280:                             ;   in Loop: Header=BB4_3836 Depth=2
	v_mov_b32_e32 v49, 0
	v_cmp_ne_u32_e64 s[18:19], 0, v0
	s_and_saveexec_b64 s[92:93], s[18:19]
	s_cbranch_execz .LBB4_4288
; %bb.4281:                             ;   in Loop: Header=BB4_3836 Depth=2
	v_bfe_u32 v49, v0, 23, 8
	v_cmp_gt_u32_e64 s[20:21], s53, v49
	v_sub_u32_e32 v0, 0x71, v49
	v_cmp_eq_u32_e64 s[18:19], 0, v49
	v_cndmask_b32_e64 v0, 0, v0, s[20:21]
	v_mov_b32_e32 v2, 0x70
	v_cndmask_b32_e64 v55, v0, v2, s[18:19]
	v_or_b32_e32 v1, 0x800000, v50
	v_add_u32_e32 v0, 21, v55
	v_cndmask_b32_e64 v50, v1, v50, s[18:19]
	v_lshlrev_b64 v[0:1], v0, -1
	v_add_u32_e32 v2, 20, v55
	v_lshlrev_b64 v[40:41], v2, 1
	v_bfi_b32 v1, v1, 0, 0
	v_bfi_b32 v0, v0, 0, v50
	v_cmp_eq_u64_e64 s[20:21], v[0:1], v[40:41]
	v_lshrrev_b64 v[0:1], v55, v[50:51]
	v_mov_b32_e32 v2, v1
	v_mov_b32_e32 v1, v0
	s_and_saveexec_b64 s[94:95], s[20:21]
; %bb.4282:                             ;   in Loop: Header=BB4_3836 Depth=2
	v_bfe_u32 v1, v0, 21, 1
	v_add_co_u32_e64 v1, s[20:21], v0, v1
	v_add_co_u32_e64 v1, s[20:21], -1, v1
; %bb.4283:                             ;   in Loop: Header=BB4_3836 Depth=2
	s_or_b64 exec, exec, s[94:95]
	v_add_u32_e32 v2, 0xffffff81, v49
	v_mov_b32_e32 v49, 0xffffff82
	v_cndmask_b32_e64 v2, v2, v49, s[18:19]
	v_lshrrev_b32_e32 v49, 23, v0
	v_add3_u32 v55, v55, v2, v49
	v_add_u32_e32 v49, 14, v55
	v_and_b32_e32 v1, 0x1fffff, v1
	v_add_u32_e32 v50, v1, v0
	v_cmp_ne_u32_e64 s[18:19], 0, v49
                                        ; implicit-def: $vgpr0_vgpr1
                                        ; implicit-def: $vgpr2
	s_and_saveexec_b64 s[20:21], s[18:19]
	s_xor_b64 s[20:21], exec, s[20:21]
; %bb.4284:                             ;   in Loop: Header=BB4_3836 Depth=2
	v_cmp_lt_u64_e64 s[18:19], s[62:63], v[50:51]
	v_add_u32_e32 v0, 15, v55
	v_cndmask_b32_e64 v2, v49, v0, s[18:19]
	v_cndmask_b32_e64 v0, 0, 1, s[18:19]
	v_lshrrev_b64 v[0:1], v0, v[50:51]
; %bb.4285:                             ;   in Loop: Header=BB4_3836 Depth=2
	s_andn2_saveexec_b64 s[18:19], s[20:21]
; %bb.4286:                             ;   in Loop: Header=BB4_3836 Depth=2
	v_mov_b32_e32 v0, v50
	v_bfe_u32 v2, v50, 23, 1
	v_mov_b32_e32 v1, v51
; %bb.4287:                             ;   in Loop: Header=BB4_3836 Depth=2
	s_or_b64 exec, exec, s[18:19]
	v_lshrrev_b64 v[0:1], 21, v[0:1]
	v_cmp_gt_i32_e64 s[18:19], 32, v2
	v_cndmask_b32_e64 v1, 0, v1, s[18:19]
	v_cndmask_b32_e64 v0, 3, v0, s[18:19]
	v_cmp_eq_u64_e64 s[20:21], 0, v[0:1]
	v_min_i32_e32 v1, 31, v2
	v_lshlrev_b32_e32 v1, 2, v1
	v_cmp_eq_u32_e64 s[18:19], 0, v2
	v_and_b32_e32 v1, 0xfc, v1
	v_and_or_b32 v0, v0, 3, v1
	s_and_b64 s[18:19], s[18:19], s[20:21]
	v_cndmask_b32_e64 v0, v0, 0, s[18:19]
	v_or_b32_e32 v49, v0, v54
.LBB4_4288:                             ;   in Loop: Header=BB4_3836 Depth=2
	s_or_b64 exec, exec, s[92:93]
                                        ; implicit-def: $vgpr54
.LBB4_4289:                             ;   in Loop: Header=BB4_3836 Depth=2
	s_andn2_saveexec_b64 s[18:19], s[90:91]
; %bb.4290:                             ;   in Loop: Header=BB4_3836 Depth=2
	v_or_b32_e32 v49, 0x7b, v54
; %bb.4291:                             ;   in Loop: Header=BB4_3836 Depth=2
	s_or_b64 exec, exec, s[18:19]
                                        ; implicit-def: $vgpr0
.LBB4_4292:                             ;   in Loop: Header=BB4_3836 Depth=2
	s_andn2_saveexec_b64 s[20:21], s[22:23]
	s_cbranch_execz .LBB4_4298
; %bb.4293:                             ;   in Loop: Header=BB4_3836 Depth=2
	v_cmp_ne_u64_e64 s[18:19], 0, v[50:51]
                                        ; implicit-def: $vgpr49
	s_and_saveexec_b64 s[22:23], s[18:19]
	s_xor_b64 s[18:19], exec, s[22:23]
; %bb.4294:                             ;   in Loop: Header=BB4_3836 Depth=2
	v_or_b32_sdwa v49, v0, s54 dst_sel:DWORD dst_unused:UNUSED_PAD src0_sel:BYTE_3 src1_sel:DWORD
                                        ; implicit-def: $vgpr0
; %bb.4295:                             ;   in Loop: Header=BB4_3836 Depth=2
	s_andn2_saveexec_b64 s[22:23], s[18:19]
; %bb.4296:                             ;   in Loop: Header=BB4_3836 Depth=2
	v_cmp_lt_i32_e64 s[18:19], -1, v0
	v_bfrev_b32_e32 v0, 0.5
	v_mov_b32_e32 v1, 0x7c
	v_cndmask_b32_e64 v49, v0, v1, s[18:19]
; %bb.4297:                             ;   in Loop: Header=BB4_3836 Depth=2
	s_or_b64 exec, exec, s[22:23]
.LBB4_4298:                             ;   in Loop: Header=BB4_3836 Depth=2
	s_or_b64 exec, exec, s[20:21]
	v_lshrrev_b32_e32 v0, 16, v17
	v_cmp_ne_u16_sdwa s[18:19], v0, v51 src0_sel:BYTE_0 src1_sel:DWORD
	v_mov_b32_e32 v1, 0
	s_and_saveexec_b64 s[20:21], s[18:19]
	s_cbranch_execz .LBB4_4306
; %bb.4299:                             ;   in Loop: Header=BB4_3836 Depth=2
	v_cmp_ne_u16_sdwa s[18:19], v0, s52 src0_sel:BYTE_0 src1_sel:DWORD
	v_bfrev_b32_e32 v1, 1
	s_and_saveexec_b64 s[22:23], s[18:19]
	s_cbranch_execz .LBB4_4305
; %bb.4300:                             ;   in Loop: Header=BB4_3836 Depth=2
	v_and_b32_e32 v1, 0x7c0000, v17
	v_bfe_u32 v2, v17, 16, 2
	v_cmp_ne_u32_e64 s[18:19], s55, v1
                                        ; implicit-def: $vgpr1
	s_and_saveexec_b64 s[90:91], s[18:19]
	s_xor_b64 s[90:91], exec, s[90:91]
	s_cbranch_execz .LBB4_4302
; %bb.4301:                             ;   in Loop: Header=BB4_3836 Depth=2
	v_ffbh_u32_e32 v1, v2
	v_min_u32_e32 v54, 32, v1
	v_subrev_u32_e32 v1, 29, v54
	v_lshlrev_b64 v[0:1], v1, v[0:1]
	v_bfe_u32 v50, v17, 18, 5
	v_and_b32_e32 v0, 3, v0
	v_cmp_eq_u32_e64 s[18:19], 0, v50
	v_sub_u32_e32 v1, 30, v54
	v_cndmask_b32_e64 v0, v2, v0, s[18:19]
	v_lshlrev_b32_e32 v2, 8, v17
	v_cndmask_b32_e64 v1, v50, v1, s[18:19]
	v_and_b32_e32 v2, 0x80000000, v2
	v_lshl_add_u32 v1, v1, 23, v2
	v_lshl_or_b32 v0, v0, 21, v1
	v_add_u32_e32 v1, 0x38000000, v0
                                        ; implicit-def: $vgpr2
                                        ; implicit-def: $vgpr0
.LBB4_4302:                             ;   in Loop: Header=BB4_3836 Depth=2
	s_andn2_saveexec_b64 s[90:91], s[90:91]
; %bb.4303:                             ;   in Loop: Header=BB4_3836 Depth=2
	v_cmp_gt_i16_sdwa s[18:19], sext(v0), v43 src0_sel:BYTE_0 src1_sel:DWORD
	v_cndmask_b32_e64 v0, v5, v36, s[18:19]
	v_cmp_eq_u32_e64 s[18:19], 0, v2
	v_cndmask_b32_e64 v1, v37, v0, s[18:19]
; %bb.4304:                             ;   in Loop: Header=BB4_3836 Depth=2
	s_or_b64 exec, exec, s[90:91]
.LBB4_4305:                             ;   in Loop: Header=BB4_3836 Depth=2
	s_or_b64 exec, exec, s[22:23]
.LBB4_4306:                             ;   in Loop: Header=BB4_3836 Depth=2
	s_or_b64 exec, exec, s[20:21]
	v_lshrrev_b32_e32 v0, 16, v13
	v_cmp_gt_i16_sdwa s[20:21], v0, s54 src0_sel:BYTE_0 src1_sel:DWORD
	s_mov_b64 s[18:19], 0
	s_and_saveexec_b64 s[22:23], s[20:21]
	s_xor_b64 s[20:21], exec, s[22:23]
	s_cbranch_execz .LBB4_4377
; %bb.4307:                             ;   in Loop: Header=BB4_3836 Depth=2
	v_cmp_eq_u16_sdwa s[90:91], v0, s52 src0_sel:BYTE_0 src1_sel:DWORD
	s_mov_b64 s[18:19], -1
	s_and_saveexec_b64 s[22:23], s[90:91]
; %bb.4308:                             ;   in Loop: Header=BB4_3836 Depth=2
	s_xor_b64 s[18:19], exec, -1
; %bb.4309:                             ;   in Loop: Header=BB4_3836 Depth=2
	s_or_b64 exec, exec, s[22:23]
	s_and_b64 s[18:19], s[18:19], exec
	s_or_saveexec_b64 s[20:21], s[20:21]
	v_bfrev_b32_e32 v2, 1
	s_xor_b64 exec, exec, s[20:21]
	s_cbranch_execnz .LBB4_4378
.LBB4_4310:                             ;   in Loop: Header=BB4_3836 Depth=2
	s_or_b64 exec, exec, s[20:21]
	s_and_saveexec_b64 s[90:91], s[18:19]
	s_cbranch_execz .LBB4_4312
.LBB4_4311:                             ;   in Loop: Header=BB4_3836 Depth=2
	v_and_b32_e32 v2, 3, v0
	v_and_b32_e32 v54, 0x7c0000, v13
	v_cmp_eq_u32_e64 s[18:19], s55, v54
	v_ffbh_u32_e32 v54, v2
	v_min_u32_e32 v40, 32, v54
	v_subrev_u32_e32 v54, 29, v40
	v_bfe_u32 v50, v13, 18, 5
	v_lshlrev_b64 v[54:55], v54, v[0:1]
	v_cmp_eq_u32_e64 s[20:21], 0, v50
	v_sub_u32_e32 v55, 30, v40
	v_cndmask_b32_e64 v50, v50, v55, s[20:21]
	v_lshlrev_b32_e32 v55, 24, v0
	v_and_b32_e32 v54, 3, v54
	v_and_b32_e32 v55, 0x80000000, v55
	v_cndmask_b32_e64 v54, v2, v54, s[20:21]
	v_lshl_add_u32 v50, v50, 23, v55
	v_cmp_gt_i16_sdwa s[22:23], sext(v0), v43 src0_sel:BYTE_0 src1_sel:DWORD
	v_lshl_or_b32 v50, v54, 21, v50
	v_cmp_eq_u32_e64 s[20:21], 0, v2
	v_cndmask_b32_e64 v0, v5, v36, s[22:23]
	v_add_u32_e32 v50, 0x38000000, v50
	v_cndmask_b32_e64 v0, v37, v0, s[20:21]
	v_cndmask_b32_e64 v2, v50, v0, s[18:19]
.LBB4_4312:                             ;   in Loop: Header=BB4_3836 Depth=2
	s_or_b64 exec, exec, s[90:91]
	v_mul_f32_e32 v0, v1, v2
	v_and_b32_e32 v1, 0x7f800000, v0
	v_mov_b32_e32 v2, v51
	v_cmp_ne_u64_e64 s[18:19], s[58:59], v[1:2]
	v_and_b32_e32 v50, 0x7fffff, v0
                                        ; implicit-def: $vgpr54
	s_and_saveexec_b64 s[20:21], s[18:19]
	s_xor_b64 s[22:23], exec, s[20:21]
	s_cbranch_execz .LBB4_4326
; %bb.4313:                             ;   in Loop: Header=BB4_3836 Depth=2
	v_and_b32_e32 v1, 0x7fffffff, v0
	v_mov_b32_e32 v2, v51
	v_cmp_gt_u64_e64 s[18:19], s[60:61], v[1:2]
	v_and_b32_sdwa v55, v0, s52 dst_sel:DWORD dst_unused:UNUSED_PAD src0_sel:BYTE_3 src1_sel:DWORD
                                        ; implicit-def: $vgpr54
	s_and_saveexec_b64 s[20:21], s[18:19]
	s_xor_b64 s[90:91], exec, s[20:21]
	s_cbranch_execz .LBB4_4323
; %bb.4314:                             ;   in Loop: Header=BB4_3836 Depth=2
	v_mov_b32_e32 v54, 0
	v_cmp_ne_u32_e64 s[18:19], 0, v0
	s_and_saveexec_b64 s[92:93], s[18:19]
	s_cbranch_execz .LBB4_4322
; %bb.4315:                             ;   in Loop: Header=BB4_3836 Depth=2
	v_bfe_u32 v54, v0, 23, 8
	v_cmp_gt_u32_e64 s[20:21], s53, v54
	v_sub_u32_e32 v0, 0x71, v54
	v_cmp_eq_u32_e64 s[18:19], 0, v54
	v_cndmask_b32_e64 v0, 0, v0, s[20:21]
	v_mov_b32_e32 v2, 0x70
	v_cndmask_b32_e64 v40, v0, v2, s[18:19]
	v_or_b32_e32 v1, 0x800000, v50
	v_add_u32_e32 v0, 21, v40
	v_cndmask_b32_e64 v50, v1, v50, s[18:19]
	v_lshlrev_b64 v[0:1], v0, -1
	v_add_u32_e32 v2, 20, v40
	v_lshlrev_b64 v[41:42], v2, 1
	v_bfi_b32 v1, v1, 0, 0
	v_bfi_b32 v0, v0, 0, v50
	v_cmp_eq_u64_e64 s[20:21], v[0:1], v[41:42]
	v_lshrrev_b64 v[0:1], v40, v[50:51]
	v_mov_b32_e32 v2, v1
	v_mov_b32_e32 v1, v0
	s_and_saveexec_b64 s[94:95], s[20:21]
; %bb.4316:                             ;   in Loop: Header=BB4_3836 Depth=2
	v_bfe_u32 v1, v0, 21, 1
	v_add_co_u32_e64 v1, s[20:21], v0, v1
	v_add_co_u32_e64 v1, s[20:21], -1, v1
; %bb.4317:                             ;   in Loop: Header=BB4_3836 Depth=2
	s_or_b64 exec, exec, s[94:95]
	v_add_u32_e32 v2, 0xffffff81, v54
	v_mov_b32_e32 v50, 0xffffff82
	v_cndmask_b32_e64 v2, v2, v50, s[18:19]
	v_lshrrev_b32_e32 v50, 23, v0
	v_add3_u32 v40, v40, v2, v50
	v_add_u32_e32 v54, 14, v40
	v_and_b32_e32 v1, 0x1fffff, v1
	v_add_u32_e32 v50, v1, v0
	v_cmp_ne_u32_e64 s[18:19], 0, v54
                                        ; implicit-def: $vgpr0_vgpr1
                                        ; implicit-def: $vgpr2
	s_and_saveexec_b64 s[20:21], s[18:19]
	s_xor_b64 s[20:21], exec, s[20:21]
; %bb.4318:                             ;   in Loop: Header=BB4_3836 Depth=2
	v_cmp_lt_u64_e64 s[18:19], s[62:63], v[50:51]
	v_add_u32_e32 v0, 15, v40
	v_cndmask_b32_e64 v2, v54, v0, s[18:19]
	v_cndmask_b32_e64 v0, 0, 1, s[18:19]
	v_lshrrev_b64 v[0:1], v0, v[50:51]
; %bb.4319:                             ;   in Loop: Header=BB4_3836 Depth=2
	s_andn2_saveexec_b64 s[18:19], s[20:21]
; %bb.4320:                             ;   in Loop: Header=BB4_3836 Depth=2
	v_mov_b32_e32 v0, v50
	v_bfe_u32 v2, v50, 23, 1
	v_mov_b32_e32 v1, v51
; %bb.4321:                             ;   in Loop: Header=BB4_3836 Depth=2
	s_or_b64 exec, exec, s[18:19]
	v_lshrrev_b64 v[0:1], 21, v[0:1]
	v_cmp_gt_i32_e64 s[18:19], 32, v2
	v_cndmask_b32_e64 v1, 0, v1, s[18:19]
	v_cndmask_b32_e64 v0, 3, v0, s[18:19]
	v_cmp_eq_u64_e64 s[20:21], 0, v[0:1]
	v_min_i32_e32 v1, 31, v2
	v_lshlrev_b32_e32 v1, 2, v1
	v_cmp_eq_u32_e64 s[18:19], 0, v2
	v_and_b32_e32 v1, 0xfc, v1
	v_and_or_b32 v0, v0, 3, v1
	s_and_b64 s[18:19], s[18:19], s[20:21]
	v_cndmask_b32_e64 v0, v0, 0, s[18:19]
	v_or_b32_e32 v54, v0, v55
.LBB4_4322:                             ;   in Loop: Header=BB4_3836 Depth=2
	s_or_b64 exec, exec, s[92:93]
                                        ; implicit-def: $vgpr55
.LBB4_4323:                             ;   in Loop: Header=BB4_3836 Depth=2
	s_andn2_saveexec_b64 s[18:19], s[90:91]
; %bb.4324:                             ;   in Loop: Header=BB4_3836 Depth=2
	v_or_b32_e32 v54, 0x7b, v55
; %bb.4325:                             ;   in Loop: Header=BB4_3836 Depth=2
	s_or_b64 exec, exec, s[18:19]
                                        ; implicit-def: $vgpr0
.LBB4_4326:                             ;   in Loop: Header=BB4_3836 Depth=2
	s_andn2_saveexec_b64 s[20:21], s[22:23]
	s_cbranch_execz .LBB4_4332
; %bb.4327:                             ;   in Loop: Header=BB4_3836 Depth=2
	v_cmp_ne_u64_e64 s[18:19], 0, v[50:51]
                                        ; implicit-def: $vgpr54
	s_and_saveexec_b64 s[22:23], s[18:19]
	s_xor_b64 s[18:19], exec, s[22:23]
; %bb.4328:                             ;   in Loop: Header=BB4_3836 Depth=2
	v_or_b32_sdwa v54, v0, s54 dst_sel:DWORD dst_unused:UNUSED_PAD src0_sel:BYTE_3 src1_sel:DWORD
                                        ; implicit-def: $vgpr0
; %bb.4329:                             ;   in Loop: Header=BB4_3836 Depth=2
	s_andn2_saveexec_b64 s[22:23], s[18:19]
; %bb.4330:                             ;   in Loop: Header=BB4_3836 Depth=2
	v_cmp_lt_i32_e64 s[18:19], -1, v0
	v_bfrev_b32_e32 v0, 0.5
	v_mov_b32_e32 v1, 0x7c
	v_cndmask_b32_e64 v54, v0, v1, s[18:19]
; %bb.4331:                             ;   in Loop: Header=BB4_3836 Depth=2
	s_or_b64 exec, exec, s[22:23]
.LBB4_4332:                             ;   in Loop: Header=BB4_3836 Depth=2
	s_or_b64 exec, exec, s[20:21]
	v_cmp_lt_u64_e64 s[18:19], s[56:57], v[16:17]
	v_mov_b32_e32 v1, 0
	s_and_saveexec_b64 s[20:21], s[18:19]
	s_cbranch_execz .LBB4_4340
; %bb.4333:                             ;   in Loop: Header=BB4_3836 Depth=2
	v_lshrrev_b32_e32 v0, 24, v17
	v_cmp_ne_u32_e64 s[18:19], s52, v0
	v_bfrev_b32_e32 v1, 1
	s_and_saveexec_b64 s[22:23], s[18:19]
	s_cbranch_execz .LBB4_4339
; %bb.4334:                             ;   in Loop: Header=BB4_3836 Depth=2
	v_and_b32_e32 v1, 0x7c000000, v17
	v_bfe_u32 v2, v17, 24, 2
	v_cmp_ne_u32_e64 s[18:19], s64, v1
                                        ; implicit-def: $vgpr1
	s_and_saveexec_b64 s[90:91], s[18:19]
	s_xor_b64 s[90:91], exec, s[90:91]
	s_cbranch_execz .LBB4_4336
; %bb.4335:                             ;   in Loop: Header=BB4_3836 Depth=2
	v_ffbh_u32_e32 v1, v2
	v_min_u32_e32 v50, 32, v1
	v_subrev_u32_e32 v1, 29, v50
	v_lshlrev_b64 v[0:1], v1, v[0:1]
	v_bfe_u32 v16, v17, 26, 5
	v_sub_u32_e32 v1, 30, v50
	v_and_b32_e32 v0, 3, v0
	v_cmp_eq_u32_e64 s[18:19], 0, v16
	v_cndmask_b32_e64 v1, v16, v1, s[18:19]
	v_cndmask_b32_e64 v0, v2, v0, s[18:19]
	v_and_b32_e32 v2, 0x80000000, v17
	v_lshl_add_u32 v1, v1, 23, v2
	v_lshl_or_b32 v0, v0, 21, v1
	v_add_u32_e32 v1, 0x38000000, v0
                                        ; implicit-def: $vgpr2
                                        ; implicit-def: $vgpr16_vgpr17
.LBB4_4336:                             ;   in Loop: Header=BB4_3836 Depth=2
	s_andn2_saveexec_b64 s[90:91], s[90:91]
; %bb.4337:                             ;   in Loop: Header=BB4_3836 Depth=2
	v_cmp_lt_i64_e64 s[18:19], -1, v[16:17]
	v_cndmask_b32_e64 v0, v5, v36, s[18:19]
	v_cmp_eq_u32_e64 s[18:19], 0, v2
	v_cndmask_b32_e64 v1, v37, v0, s[18:19]
; %bb.4338:                             ;   in Loop: Header=BB4_3836 Depth=2
	s_or_b64 exec, exec, s[90:91]
.LBB4_4339:                             ;   in Loop: Header=BB4_3836 Depth=2
	s_or_b64 exec, exec, s[22:23]
.LBB4_4340:                             ;   in Loop: Header=BB4_3836 Depth=2
	s_or_b64 exec, exec, s[20:21]
	v_bfe_u32 v2, v13, 24, 2
	v_and_b32_e32 v16, 0x7c000000, v13
	v_cmp_eq_u32_e64 s[18:19], s64, v16
	v_ffbh_u32_e32 v16, v2
	v_min_u32_e32 v55, 32, v16
	v_lshrrev_b32_e32 v0, 24, v13
	v_subrev_u32_e32 v16, 29, v55
	v_bfe_u32 v50, v13, 26, 5
	v_lshlrev_b64 v[16:17], v16, v[0:1]
	v_cmp_eq_u32_e64 s[20:21], 0, v50
	v_sub_u32_e32 v17, 30, v55
	v_and_b32_e32 v16, 3, v16
	v_cndmask_b32_e64 v17, v50, v17, s[20:21]
	v_and_b32_e32 v50, 0x80000000, v13
	v_cmp_lt_i64_e64 s[22:23], -1, v[12:13]
	v_cndmask_b32_e64 v16, v2, v16, s[20:21]
	v_lshl_add_u32 v17, v17, 23, v50
	v_lshl_or_b32 v16, v16, 21, v17
	v_cmp_eq_u32_e64 s[20:21], 0, v2
	v_cndmask_b32_e64 v2, v5, v36, s[22:23]
	v_add_u32_e32 v16, 0x38000000, v16
	v_cndmask_b32_e64 v2, v37, v2, s[20:21]
	v_cndmask_b32_e64 v2, v16, v2, s[18:19]
	v_cmp_ne_u32_e64 s[18:19], s52, v0
	v_bfrev_b32_e32 v0, 1
	v_cndmask_b32_e64 v0, v0, v2, s[18:19]
	v_cmp_lt_u64_e64 s[18:19], s[56:57], v[12:13]
	v_mov_b32_e32 v13, v51
	v_cndmask_b32_e64 v0, 0, v0, s[18:19]
	v_mul_f32_e32 v1, v0, v1
	v_and_b32_e32 v12, 0x7f800000, v1
	v_cmp_ne_u64_e64 s[18:19], s[58:59], v[12:13]
	v_and_b32_e32 v50, 0x7fffff, v1
                                        ; implicit-def: $vgpr0
	s_and_saveexec_b64 s[20:21], s[18:19]
	s_xor_b64 s[22:23], exec, s[20:21]
	s_cbranch_execz .LBB4_4354
; %bb.4341:                             ;   in Loop: Header=BB4_3836 Depth=2
	v_and_b32_e32 v12, 0x7fffffff, v1
	v_mov_b32_e32 v13, v51
	v_cmp_gt_u64_e64 s[18:19], s[60:61], v[12:13]
	v_and_b32_sdwa v12, v1, s52 dst_sel:DWORD dst_unused:UNUSED_PAD src0_sel:BYTE_3 src1_sel:DWORD
                                        ; implicit-def: $vgpr0
	s_and_saveexec_b64 s[20:21], s[18:19]
	s_xor_b64 s[90:91], exec, s[20:21]
	s_cbranch_execz .LBB4_4351
; %bb.4342:                             ;   in Loop: Header=BB4_3836 Depth=2
	v_mov_b32_e32 v0, 0
	v_cmp_ne_u32_e64 s[18:19], 0, v1
	s_and_saveexec_b64 s[92:93], s[18:19]
	s_cbranch_execz .LBB4_4350
; %bb.4343:                             ;   in Loop: Header=BB4_3836 Depth=2
	v_bfe_u32 v13, v1, 23, 8
	v_cmp_gt_u32_e64 s[20:21], s53, v13
	v_sub_u32_e32 v0, 0x71, v13
	v_cmp_eq_u32_e64 s[18:19], 0, v13
	v_cndmask_b32_e64 v0, 0, v0, s[20:21]
	v_mov_b32_e32 v2, 0x70
	v_cndmask_b32_e64 v16, v0, v2, s[18:19]
	v_or_b32_e32 v1, 0x800000, v50
	v_add_u32_e32 v0, 21, v16
	v_cndmask_b32_e64 v50, v1, v50, s[18:19]
	v_lshlrev_b64 v[0:1], v0, -1
	v_add_u32_e32 v2, 20, v16
	v_lshlrev_b64 v[40:41], v2, 1
	v_bfi_b32 v1, v1, 0, 0
	v_bfi_b32 v0, v0, 0, v50
	v_cmp_eq_u64_e64 s[20:21], v[0:1], v[40:41]
	v_lshrrev_b64 v[0:1], v16, v[50:51]
	v_mov_b32_e32 v2, v1
	v_mov_b32_e32 v1, v0
	s_and_saveexec_b64 s[94:95], s[20:21]
; %bb.4344:                             ;   in Loop: Header=BB4_3836 Depth=2
	v_bfe_u32 v1, v0, 21, 1
	v_add_co_u32_e64 v1, s[20:21], v0, v1
	v_add_co_u32_e64 v1, s[20:21], -1, v1
; %bb.4345:                             ;   in Loop: Header=BB4_3836 Depth=2
	s_or_b64 exec, exec, s[94:95]
	v_add_u32_e32 v2, 0xffffff81, v13
	v_mov_b32_e32 v13, 0xffffff82
	v_cndmask_b32_e64 v2, v2, v13, s[18:19]
	v_lshrrev_b32_e32 v13, 23, v0
	v_add3_u32 v16, v16, v2, v13
	v_add_u32_e32 v13, 14, v16
	v_and_b32_e32 v1, 0x1fffff, v1
	v_add_u32_e32 v50, v1, v0
	v_cmp_ne_u32_e64 s[18:19], 0, v13
                                        ; implicit-def: $vgpr0_vgpr1
                                        ; implicit-def: $vgpr2
	s_and_saveexec_b64 s[20:21], s[18:19]
	s_xor_b64 s[20:21], exec, s[20:21]
; %bb.4346:                             ;   in Loop: Header=BB4_3836 Depth=2
	v_cmp_lt_u64_e64 s[18:19], s[62:63], v[50:51]
	v_add_u32_e32 v0, 15, v16
	v_cndmask_b32_e64 v2, v13, v0, s[18:19]
	v_cndmask_b32_e64 v0, 0, 1, s[18:19]
	v_lshrrev_b64 v[0:1], v0, v[50:51]
; %bb.4347:                             ;   in Loop: Header=BB4_3836 Depth=2
	s_andn2_saveexec_b64 s[18:19], s[20:21]
; %bb.4348:                             ;   in Loop: Header=BB4_3836 Depth=2
	v_mov_b32_e32 v0, v50
	v_bfe_u32 v2, v50, 23, 1
	v_mov_b32_e32 v1, v51
; %bb.4349:                             ;   in Loop: Header=BB4_3836 Depth=2
	s_or_b64 exec, exec, s[18:19]
	v_lshrrev_b64 v[0:1], 21, v[0:1]
	v_cmp_gt_i32_e64 s[18:19], 32, v2
	v_cndmask_b32_e64 v1, 0, v1, s[18:19]
	v_cndmask_b32_e64 v0, 3, v0, s[18:19]
	v_cmp_eq_u64_e64 s[20:21], 0, v[0:1]
	v_min_i32_e32 v1, 31, v2
	v_lshlrev_b32_e32 v1, 2, v1
	v_cmp_eq_u32_e64 s[18:19], 0, v2
	v_and_b32_e32 v1, 0xfc, v1
	v_and_or_b32 v0, v0, 3, v1
	s_and_b64 s[18:19], s[18:19], s[20:21]
	v_cndmask_b32_e64 v0, v0, 0, s[18:19]
	v_or_b32_e32 v0, v0, v12
.LBB4_4350:                             ;   in Loop: Header=BB4_3836 Depth=2
	s_or_b64 exec, exec, s[92:93]
                                        ; implicit-def: $vgpr12
.LBB4_4351:                             ;   in Loop: Header=BB4_3836 Depth=2
	s_andn2_saveexec_b64 s[18:19], s[90:91]
; %bb.4352:                             ;   in Loop: Header=BB4_3836 Depth=2
	v_or_b32_e32 v0, 0x7b, v12
; %bb.4353:                             ;   in Loop: Header=BB4_3836 Depth=2
	s_or_b64 exec, exec, s[18:19]
                                        ; implicit-def: $vgpr1
.LBB4_4354:                             ;   in Loop: Header=BB4_3836 Depth=2
	s_andn2_saveexec_b64 s[20:21], s[22:23]
	s_cbranch_execz .LBB4_3835
; %bb.4355:                             ;   in Loop: Header=BB4_3836 Depth=2
	v_cmp_ne_u64_e64 s[18:19], 0, v[50:51]
                                        ; implicit-def: $vgpr0
	s_and_saveexec_b64 s[22:23], s[18:19]
	s_xor_b64 s[18:19], exec, s[22:23]
; %bb.4356:                             ;   in Loop: Header=BB4_3836 Depth=2
	v_or_b32_sdwa v0, v1, s54 dst_sel:DWORD dst_unused:UNUSED_PAD src0_sel:BYTE_3 src1_sel:DWORD
                                        ; implicit-def: $vgpr1
; %bb.4357:                             ;   in Loop: Header=BB4_3836 Depth=2
	s_andn2_saveexec_b64 s[22:23], s[18:19]
	s_cbranch_execz .LBB4_3834
; %bb.4358:                             ;   in Loop: Header=BB4_3836 Depth=2
	v_cmp_lt_i32_e64 s[18:19], -1, v1
	v_bfrev_b32_e32 v0, 0.5
	v_mov_b32_e32 v1, 0x7c
	v_cndmask_b32_e64 v0, v0, v1, s[18:19]
	s_branch .LBB4_3834
.LBB4_4359:                             ;   in Loop: Header=BB4_3836 Depth=2
	s_or_saveexec_b64 s[20:21], s[20:21]
	v_bfrev_b32_e32 v1, 1
	s_xor_b64 exec, exec, s[20:21]
	s_cbranch_execz .LBB4_3848
.LBB4_4360:                             ;   in Loop: Header=BB4_3836 Depth=2
	v_cmp_ne_u16_sdwa s[22:23], v10, v51 src0_sel:BYTE_0 src1_sel:DWORD
	s_andn2_b64 s[18:19], s[18:19], exec
	s_and_b64 s[22:23], s[22:23], exec
	v_mov_b32_e32 v1, 0
	s_or_b64 s[18:19], s[18:19], s[22:23]
	s_or_b64 exec, exec, s[20:21]
	s_and_saveexec_b64 s[90:91], s[18:19]
	s_cbranch_execnz .LBB4_3849
	s_branch .LBB4_3850
.LBB4_4361:                             ;   in Loop: Header=BB4_3836 Depth=2
	s_or_saveexec_b64 s[22:23], s[22:23]
	v_bfrev_b32_e32 v1, 1
	s_xor_b64 exec, exec, s[22:23]
	s_cbranch_execz .LBB4_3882
.LBB4_4362:                             ;   in Loop: Header=BB4_3836 Depth=2
	v_cmp_ne_u16_e64 s[18:19], 0, v50
	s_andn2_b64 s[20:21], s[20:21], exec
	s_and_b64 s[18:19], s[18:19], exec
	v_mov_b32_e32 v1, 0
	s_or_b64 s[20:21], s[20:21], s[18:19]
	s_or_b64 exec, exec, s[22:23]
	s_and_saveexec_b64 s[90:91], s[20:21]
	s_cbranch_execnz .LBB4_3883
	s_branch .LBB4_3884
.LBB4_4363:                             ;   in Loop: Header=BB4_3836 Depth=2
	s_or_saveexec_b64 s[20:21], s[20:21]
	v_bfrev_b32_e32 v2, 1
	s_xor_b64 exec, exec, s[20:21]
	s_cbranch_execz .LBB4_3916
.LBB4_4364:                             ;   in Loop: Header=BB4_3836 Depth=2
	v_cmp_ne_u16_sdwa s[22:23], v0, v51 src0_sel:BYTE_0 src1_sel:DWORD
	s_andn2_b64 s[18:19], s[18:19], exec
	s_and_b64 s[22:23], s[22:23], exec
	v_mov_b32_e32 v2, 0
	s_or_b64 s[18:19], s[18:19], s[22:23]
	s_or_b64 exec, exec, s[20:21]
	s_and_saveexec_b64 s[90:91], s[18:19]
	s_cbranch_execnz .LBB4_3917
	s_branch .LBB4_3918
.LBB4_4365:                             ;   in Loop: Header=BB4_3836 Depth=2
	s_or_saveexec_b64 s[22:23], s[22:23]
	v_bfrev_b32_e32 v1, 1
	s_xor_b64 exec, exec, s[22:23]
	s_cbranch_execz .LBB4_4014
.LBB4_4366:                             ;   in Loop: Header=BB4_3836 Depth=2
	v_cmp_ne_u16_e64 s[18:19], 0, v50
	s_andn2_b64 s[20:21], s[20:21], exec
	s_and_b64 s[18:19], s[18:19], exec
	v_mov_b32_e32 v1, 0
	s_or_b64 s[20:21], s[20:21], s[18:19]
	s_or_b64 exec, exec, s[22:23]
	s_and_saveexec_b64 s[90:91], s[20:21]
	s_cbranch_execnz .LBB4_4015
	s_branch .LBB4_4016
.LBB4_4367:                             ;   in Loop: Header=BB4_3836 Depth=2
	s_or_saveexec_b64 s[20:21], s[20:21]
	v_bfrev_b32_e32 v2, 1
	s_xor_b64 exec, exec, s[20:21]
	s_cbranch_execz .LBB4_4048
.LBB4_4368:                             ;   in Loop: Header=BB4_3836 Depth=2
	v_cmp_ne_u16_sdwa s[22:23], v0, v51 src0_sel:BYTE_0 src1_sel:DWORD
	s_andn2_b64 s[18:19], s[18:19], exec
	s_and_b64 s[22:23], s[22:23], exec
	v_mov_b32_e32 v2, 0
	s_or_b64 s[18:19], s[18:19], s[22:23]
	s_or_b64 exec, exec, s[20:21]
	s_and_saveexec_b64 s[90:91], s[18:19]
	s_cbranch_execnz .LBB4_4049
	s_branch .LBB4_4050
.LBB4_4369:                             ;   in Loop: Header=BB4_3836 Depth=2
	s_or_saveexec_b64 s[20:21], s[20:21]
	v_bfrev_b32_e32 v1, 1
	s_xor_b64 exec, exec, s[20:21]
	s_cbranch_execz .LBB4_4110
.LBB4_4370:                             ;   in Loop: Header=BB4_3836 Depth=2
	v_cmp_ne_u16_sdwa s[22:23], v12, v51 src0_sel:BYTE_0 src1_sel:DWORD
	s_andn2_b64 s[18:19], s[18:19], exec
	s_and_b64 s[22:23], s[22:23], exec
	v_mov_b32_e32 v1, 0
	s_or_b64 s[18:19], s[18:19], s[22:23]
	s_or_b64 exec, exec, s[20:21]
	s_and_saveexec_b64 s[90:91], s[18:19]
	s_cbranch_execnz .LBB4_4111
	s_branch .LBB4_4112
.LBB4_4371:                             ;   in Loop: Header=BB4_3836 Depth=2
	s_or_saveexec_b64 s[22:23], s[22:23]
	v_bfrev_b32_e32 v1, 1
	s_xor_b64 exec, exec, s[22:23]
	s_cbranch_execz .LBB4_4144
.LBB4_4372:                             ;   in Loop: Header=BB4_3836 Depth=2
	v_cmp_ne_u16_e64 s[18:19], 0, v50
	s_andn2_b64 s[20:21], s[20:21], exec
	s_and_b64 s[18:19], s[18:19], exec
	v_mov_b32_e32 v1, 0
	s_or_b64 s[20:21], s[20:21], s[18:19]
	s_or_b64 exec, exec, s[22:23]
	s_and_saveexec_b64 s[90:91], s[20:21]
	s_cbranch_execnz .LBB4_4145
	s_branch .LBB4_4146
.LBB4_4373:                             ;   in Loop: Header=BB4_3836 Depth=2
	s_or_saveexec_b64 s[20:21], s[20:21]
	v_bfrev_b32_e32 v2, 1
	s_xor_b64 exec, exec, s[20:21]
	s_cbranch_execz .LBB4_4178
.LBB4_4374:                             ;   in Loop: Header=BB4_3836 Depth=2
	v_cmp_ne_u16_sdwa s[22:23], v0, v51 src0_sel:BYTE_0 src1_sel:DWORD
	s_andn2_b64 s[18:19], s[18:19], exec
	s_and_b64 s[22:23], s[22:23], exec
	v_mov_b32_e32 v2, 0
	s_or_b64 s[18:19], s[18:19], s[22:23]
	s_or_b64 exec, exec, s[20:21]
	s_and_saveexec_b64 s[90:91], s[18:19]
	s_cbranch_execnz .LBB4_4179
	s_branch .LBB4_4180
.LBB4_4375:                             ;   in Loop: Header=BB4_3836 Depth=2
	s_or_saveexec_b64 s[22:23], s[22:23]
	v_bfrev_b32_e32 v1, 1
	s_xor_b64 exec, exec, s[22:23]
	s_cbranch_execz .LBB4_4276
.LBB4_4376:                             ;   in Loop: Header=BB4_3836 Depth=2
	v_cmp_ne_u16_e64 s[18:19], 0, v50
	s_andn2_b64 s[20:21], s[20:21], exec
	s_and_b64 s[18:19], s[18:19], exec
	v_mov_b32_e32 v1, 0
	s_or_b64 s[20:21], s[20:21], s[18:19]
	s_or_b64 exec, exec, s[22:23]
	s_and_saveexec_b64 s[90:91], s[20:21]
	s_cbranch_execnz .LBB4_4277
	s_branch .LBB4_4278
.LBB4_4377:                             ;   in Loop: Header=BB4_3836 Depth=2
	s_or_saveexec_b64 s[20:21], s[20:21]
	v_bfrev_b32_e32 v2, 1
	s_xor_b64 exec, exec, s[20:21]
	s_cbranch_execz .LBB4_4310
.LBB4_4378:                             ;   in Loop: Header=BB4_3836 Depth=2
	v_cmp_ne_u16_sdwa s[22:23], v0, v51 src0_sel:BYTE_0 src1_sel:DWORD
	s_andn2_b64 s[18:19], s[18:19], exec
	s_and_b64 s[22:23], s[22:23], exec
	v_mov_b32_e32 v2, 0
	s_or_b64 s[18:19], s[18:19], s[22:23]
	s_or_b64 exec, exec, s[20:21]
	s_and_saveexec_b64 s[90:91], s[18:19]
	s_cbranch_execnz .LBB4_4311
	s_branch .LBB4_4312
.LBB4_4379:                             ;   in Loop: Header=BB4_2603 Depth=1
	s_or_b64 exec, exec, s[88:89]
	v_mov_b32_e32 v61, v57
.LBB4_4380:                             ;   in Loop: Header=BB4_2603 Depth=1
	s_or_b64 exec, exec, s[78:79]
	buffer_load_dword v0, off, s[0:3], s33 offset:148 ; 4-byte Folded Reload
	v_mov_b32_e32 v10, 0
	s_mov_b64 s[20:21], 0
                                        ; implicit-def: $vgpr12
	s_waitcnt vmcnt(0)
	v_and_b32_e32 v0, 15, v0
	v_cndmask_b32_e32 v11, v25, v0, vcc
	v_cmp_ne_u32_e64 s[18:19], 0, v11
                                        ; implicit-def: $vgpr0
	s_and_saveexec_b64 s[22:23], s[18:19]
	s_cbranch_execz .LBB4_4382
; %bb.4381:                             ;   in Loop: Header=BB4_2603 Depth=1
	buffer_load_dword v1, off, s[0:3], s33 offset:148 ; 4-byte Folded Reload
	s_mov_b64 s[20:21], exec
	s_waitcnt vmcnt(0)
	v_and_b32_e32 v0, 0x3f0, v1
	v_cndmask_b32_e32 v0, 0, v0, vcc
	v_and_or_b32 v10, v1, s65, v0
	buffer_load_dword v0, off, s[0:3], s33 offset:68 ; 4-byte Folded Reload
	v_cmp_lt_i32_e32 vcc, 0, v24
	s_waitcnt vmcnt(0)
	v_cndmask_b32_e32 v0, 0, v0, vcc
	v_sub_u32_e32 v0, v0, v24
	v_lshl_add_u32 v12, v0, 6, v4
	v_ashrrev_i32_e32 v0, 31, v12
	v_lshrrev_b32_e32 v0, 26, v0
	v_add_u32_e32 v0, v12, v0
	v_ashrrev_i32_e32 v0, 6, v0
.LBB4_4382:                             ;   in Loop: Header=BB4_2603 Depth=1
	s_or_b64 exec, exec, s[22:23]
	s_and_b64 s[18:19], s[20:21], exec
.LBB4_4383:                             ;   in Loop: Header=BB4_2603 Depth=1
	s_or_b64 exec, exec, s[76:77]
	buffer_load_dword v2, off, s[0:3], s33 offset:188 ; 4-byte Folded Reload
	buffer_load_dword v3, off, s[0:3], s33 offset:192 ; 4-byte Folded Reload
	s_and_saveexec_b64 s[20:21], s[18:19]
	s_cbranch_execz .LBB4_5072
.LBB4_4384:                             ;   in Loop: Header=BB4_2603 Depth=1
	v_lshrrev_b32_e32 v1, 10, v11
	s_waitcnt vmcnt(0)
	v_mov_b32_e32 v15, v3
	v_sub_u32_e32 v54, v1, v0
	v_ashrrev_i32_e32 v1, 31, v12
	v_mov_b32_e32 v14, v2
	v_cmp_lt_i32_e32 vcc, 0, v54
	v_lshrrev_b32_e32 v4, 26, v1
	s_and_saveexec_b64 s[22:23], vcc
	s_cbranch_execz .LBB4_5028
; %bb.4385:                             ;   in Loop: Header=BB4_2603 Depth=1
	v_add_u32_e32 v1, v12, v4
	v_and_b32_e32 v1, 0xffffffc0, v1
	v_sub_u32_e32 v1, v12, v1
	v_lshlrev_b32_e32 v0, 10, v0
	buffer_store_dword v11, off, s[0:3], s33 offset:84 ; 4-byte Folded Spill
	buffer_store_dword v56, off, s[0:3], s33 offset:176 ; 4-byte Folded Spill
	;; [unrolled: 1-line block ×4, first 2 shown]
	v_add3_u32 v2, v10, v1, v0
	s_trap 2
	ds_read_b64 v[0:1], v0
	buffer_load_dword v10, off, s[0:3], s33 offset:160 ; 4-byte Folded Reload
	buffer_load_dword v11, off, s[0:3], s33 offset:164 ; 4-byte Folded Reload
	v_ashrrev_i32_e32 v3, 31, v2
	s_mov_b64 s[76:77], 0
	s_waitcnt vmcnt(1)
	v_add_co_u32_e32 v10, vcc, v2, v10
	s_waitcnt vmcnt(0)
	v_addc_co_u32_e32 v11, vcc, v3, v11, vcc
	s_waitcnt lgkmcnt(0)
	v_add_co_u32_e32 v12, vcc, v0, v2
	v_addc_co_u32_e32 v13, vcc, v1, v3, vcc
	v_add_co_u32_e32 v0, vcc, 0x3c0, v14
	v_addc_co_u32_e32 v1, vcc, 0, v15, vcc
	;; [unrolled: 2-line block ×3, first 2 shown]
	s_branch .LBB4_4388
.LBB4_4386:                             ;   in Loop: Header=BB4_4388 Depth=2
	s_or_b64 exec, exec, s[78:79]
.LBB4_4387:                             ;   in Loop: Header=BB4_4388 Depth=2
	s_or_b64 exec, exec, s[18:19]
	v_add_co_u32_e32 v16, vcc, 0xfffffc40, v14
	v_addc_co_u32_e32 v17, vcc, -1, v15, vcc
	flat_store_byte v[16:17], v48 glc slc
	v_add_co_u32_e32 v16, vcc, 0xfffffc80, v14
	v_addc_co_u32_e32 v17, vcc, -1, v15, vcc
	flat_store_byte v[16:17], v34 glc slc
	;; [unrolled: 3-line block ×5, first 2 shown]
	v_add_co_u32_e32 v16, vcc, 0xfffffd80, v14
	v_addc_co_u32_e32 v17, vcc, -1, v15, vcc
	v_add_co_u32_e32 v2, vcc, 0xfffffdc0, v14
	flat_store_byte v[16:17], v3 glc slc
	v_addc_co_u32_e32 v3, vcc, -1, v15, vcc
	flat_store_byte v[2:3], v28 glc slc
	v_add_co_u32_e32 v2, vcc, 0xfffffe00, v14
	v_addc_co_u32_e32 v3, vcc, -1, v15, vcc
	flat_store_byte v[2:3], v29 glc slc
	v_add_co_u32_e32 v2, vcc, 0xfffffe40, v14
	;; [unrolled: 3-line block ×8, first 2 shown]
	v_addc_co_u32_e32 v3, vcc, -1, v15, vcc
	flat_store_byte v[2:3], v19 glc slc
	flat_store_byte v[14:15], v1 glc slc
	buffer_load_dword v1, off, s[0:3], s33 offset:112 ; 4-byte Folded Reload
	s_nop 0
	buffer_load_dword v0, off, s[0:3], s33 offset:68 ; 4-byte Folded Reload
	s_waitcnt vmcnt(0)
	v_add_co_u32_e32 v10, vcc, v10, v1
	v_addc_co_u32_e32 v11, vcc, 0, v11, vcc
	v_add_co_u32_e32 v12, vcc, v12, v1
	v_addc_co_u32_e32 v13, vcc, 0, v13, vcc
	v_sub_u32_e32 v54, v54, v0
	v_cmp_gt_i32_e32 vcc, 1, v54
	s_or_b64 s[76:77], vcc, s[76:77]
	v_add_co_u32_e32 v14, vcc, v14, v1
	v_addc_co_u32_e32 v15, vcc, 0, v15, vcc
	s_andn2_b64 exec, exec, s[76:77]
	s_cbranch_execz .LBB4_5027
.LBB4_4388:                             ;   Parent Loop BB4_2603 Depth=1
                                        ; =>  This Inner Loop Header: Depth=2
	flat_load_sbyte v50, v[10:11] glc slc
	flat_load_sbyte v34, v[10:11] offset:64 glc slc
	flat_load_sbyte v26, v[10:11] offset:128 glc slc
	;; [unrolled: 1-line block ×15, first 2 shown]
	flat_load_sbyte v61, v[12:13] glc slc
	flat_load_sbyte v0, v[12:13] offset:64 glc slc
	flat_load_sbyte v25, v[12:13] offset:128 glc slc
	;; [unrolled: 1-line block ×15, first 2 shown]
	v_mov_b32_e32 v1, 0
	v_mov_b32_e32 v3, 0
	s_waitcnt vmcnt(0) lgkmcnt(0)
	v_cmp_ne_u16_e32 vcc, 0, v50
	s_and_saveexec_b64 s[18:19], vcc
	s_cbranch_execz .LBB4_4396
; %bb.4389:                             ;   in Loop: Header=BB4_4388 Depth=2
	v_cmp_ne_u16_e32 vcc, s49, v50
	v_bfrev_b32_e32 v3, 1
	s_and_saveexec_b64 s[78:79], vcc
	s_cbranch_execz .LBB4_4395
; %bb.4390:                             ;   in Loop: Header=BB4_4388 Depth=2
	v_and_b32_e32 v3, 0x7c, v50
	v_and_b32_e32 v27, 3, v50
	v_cmp_ne_u32_e32 vcc, s50, v3
                                        ; implicit-def: $vgpr3
	s_and_saveexec_b64 s[88:89], vcc
	s_xor_b64 s[88:89], exec, s[88:89]
	s_cbranch_execz .LBB4_4392
; %bb.4391:                             ;   in Loop: Header=BB4_4388 Depth=2
	v_ffbh_u32_e32 v31, v27
	v_min_u32_e32 v31, 32, v31
	v_and_b32_e32 v3, 0xff, v50
	v_subrev_u32_e32 v35, 29, v31
	v_bfe_u32 v3, v3, 2, 5
	v_lshlrev_b64 v[48:49], v35, v[50:51]
	v_sub_u32_e32 v31, 30, v31
	v_cmp_eq_u32_e32 vcc, 0, v3
	v_and_b32_e32 v35, 3, v48
	v_cndmask_b32_e32 v3, v3, v31, vcc
	v_and_b32_sdwa v31, sext(v50), s51 dst_sel:DWORD dst_unused:UNUSED_PAD src0_sel:WORD_0 src1_sel:DWORD
	v_cndmask_b32_e32 v27, v27, v35, vcc
	v_lshl_add_u32 v3, v3, 23, v31
	v_lshl_or_b32 v3, v27, 21, v3
	v_add_u32_e32 v3, 0x38000000, v3
                                        ; implicit-def: $vgpr27
.LBB4_4392:                             ;   in Loop: Header=BB4_4388 Depth=2
	s_andn2_saveexec_b64 s[88:89], s[88:89]
; %bb.4393:                             ;   in Loop: Header=BB4_4388 Depth=2
	v_cmp_lt_i16_e32 vcc, -1, v50
	v_cndmask_b32_e32 v3, v5, v36, vcc
	v_cmp_eq_u32_e32 vcc, 0, v27
	v_cndmask_b32_e32 v3, v37, v3, vcc
; %bb.4394:                             ;   in Loop: Header=BB4_4388 Depth=2
	s_or_b64 exec, exec, s[88:89]
.LBB4_4395:                             ;   in Loop: Header=BB4_4388 Depth=2
	s_or_b64 exec, exec, s[78:79]
.LBB4_4396:                             ;   in Loop: Header=BB4_4388 Depth=2
	s_or_b64 exec, exec, s[18:19]
	v_cmp_ne_u16_e32 vcc, 0, v61
	s_and_saveexec_b64 s[18:19], vcc
	s_cbranch_execz .LBB4_4404
; %bb.4397:                             ;   in Loop: Header=BB4_4388 Depth=2
	v_cmp_ne_u16_e32 vcc, s49, v61
	v_bfrev_b32_e32 v1, 1
	s_and_saveexec_b64 s[78:79], vcc
	s_cbranch_execz .LBB4_4403
; %bb.4398:                             ;   in Loop: Header=BB4_4388 Depth=2
	v_and_b32_e32 v1, 0x7c, v61
	v_and_b32_e32 v27, 3, v61
	v_cmp_ne_u32_e32 vcc, s50, v1
                                        ; implicit-def: $vgpr1
	s_and_saveexec_b64 s[88:89], vcc
	s_xor_b64 s[88:89], exec, s[88:89]
	s_cbranch_execz .LBB4_4400
; %bb.4399:                             ;   in Loop: Header=BB4_4388 Depth=2
	v_ffbh_u32_e32 v31, v27
	v_min_u32_e32 v31, 32, v31
	v_and_b32_e32 v1, 0xff, v61
	v_mov_b32_e32 v62, v51
	v_subrev_u32_e32 v35, 29, v31
	v_bfe_u32 v1, v1, 2, 5
	v_lshlrev_b64 v[48:49], v35, v[61:62]
	v_sub_u32_e32 v31, 30, v31
	v_cmp_eq_u32_e32 vcc, 0, v1
	v_and_b32_e32 v35, 3, v48
	v_cndmask_b32_e32 v1, v1, v31, vcc
	v_and_b32_sdwa v31, sext(v61), s51 dst_sel:DWORD dst_unused:UNUSED_PAD src0_sel:WORD_0 src1_sel:DWORD
	v_cndmask_b32_e32 v27, v27, v35, vcc
	v_lshl_add_u32 v1, v1, 23, v31
	v_lshl_or_b32 v1, v27, 21, v1
	v_add_u32_e32 v1, 0x38000000, v1
                                        ; implicit-def: $vgpr27
                                        ; implicit-def: $vgpr61
.LBB4_4400:                             ;   in Loop: Header=BB4_4388 Depth=2
	s_andn2_saveexec_b64 s[88:89], s[88:89]
; %bb.4401:                             ;   in Loop: Header=BB4_4388 Depth=2
	v_cmp_lt_i16_e32 vcc, -1, v61
	v_cndmask_b32_e32 v1, v5, v36, vcc
	v_cmp_eq_u32_e32 vcc, 0, v27
	v_cndmask_b32_e32 v1, v37, v1, vcc
; %bb.4402:                             ;   in Loop: Header=BB4_4388 Depth=2
	s_or_b64 exec, exec, s[88:89]
.LBB4_4403:                             ;   in Loop: Header=BB4_4388 Depth=2
	s_or_b64 exec, exec, s[78:79]
.LBB4_4404:                             ;   in Loop: Header=BB4_4388 Depth=2
	s_or_b64 exec, exec, s[18:19]
	v_mul_f32_e32 v3, v3, v1
	v_and_b32_e32 v48, 0x7f800000, v3
	v_mov_b32_e32 v49, v51
	v_cmp_ne_u64_e32 vcc, s[58:59], v[48:49]
	v_and_b32_e32 v50, 0x7fffff, v3
                                        ; implicit-def: $vgpr48
	s_and_saveexec_b64 s[18:19], vcc
	s_xor_b64 s[78:79], exec, s[18:19]
	s_cbranch_execz .LBB4_4422
; %bb.4405:                             ;   in Loop: Header=BB4_4388 Depth=2
	v_and_b32_e32 v48, 0x7fffffff, v3
	v_mov_b32_e32 v49, v51
	v_cmp_gt_u64_e32 vcc, s[60:61], v[48:49]
	v_and_b32_sdwa v1, v3, s52 dst_sel:DWORD dst_unused:UNUSED_PAD src0_sel:BYTE_3 src1_sel:DWORD
                                        ; implicit-def: $vgpr48
	s_and_saveexec_b64 s[18:19], vcc
	s_xor_b64 s[88:89], exec, s[18:19]
	s_cbranch_execz .LBB4_4419
; %bb.4406:                             ;   in Loop: Header=BB4_4388 Depth=2
	v_cmp_ne_u32_e32 vcc, 0, v3
	v_mov_b32_e32 v48, 0
	s_and_saveexec_b64 s[90:91], vcc
	s_cbranch_execz .LBB4_4418
; %bb.4407:                             ;   in Loop: Header=BB4_4388 Depth=2
	v_bfe_u32 v3, v3, 23, 8
	v_cmp_gt_u32_e64 s[18:19], s53, v3
	v_sub_u32_e32 v27, 0x71, v3
	v_cmp_eq_u32_e32 vcc, 0, v3
	v_cndmask_b32_e64 v27, 0, v27, s[18:19]
	v_mov_b32_e32 v35, 0x70
	v_or_b32_e32 v31, 0x800000, v50
	v_cndmask_b32_e32 v27, v27, v35, vcc
	v_cndmask_b32_e32 v50, v31, v50, vcc
	v_add_u32_e32 v31, 21, v27
	v_lshlrev_b64 v[48:49], v31, -1
	v_add_u32_e32 v31, 20, v27
	v_lshlrev_b64 v[61:62], v31, 1
	v_bfi_b32 v49, v49, 0, 0
	v_bfi_b32 v48, v48, 0, v50
	v_cmp_eq_u64_e64 s[18:19], v[48:49], v[61:62]
	v_lshrrev_b64 v[61:62], v27, v[50:51]
	v_mov_b32_e32 v48, v61
	v_mov_b32_e32 v49, v62
	s_and_saveexec_b64 s[92:93], s[18:19]
; %bb.4408:                             ;   in Loop: Header=BB4_4388 Depth=2
	v_bfe_u32 v31, v61, 21, 1
	v_add_co_u32_e64 v31, s[18:19], v61, v31
	v_add_co_u32_e64 v48, s[18:19], -1, v31
; %bb.4409:                             ;   in Loop: Header=BB4_4388 Depth=2
	s_or_b64 exec, exec, s[92:93]
	v_add_u32_e32 v3, 0xffffff81, v3
	v_mov_b32_e32 v31, 0xffffff82
	v_cndmask_b32_e32 v3, v3, v31, vcc
	v_lshrrev_b32_e32 v31, 23, v61
	v_add3_u32 v31, v27, v3, v31
	v_add_u32_e32 v27, 14, v31
	v_and_b32_e32 v3, 0x1fffff, v48
	v_add_u32_e32 v50, v3, v61
	v_cmp_ne_u32_e32 vcc, 0, v27
                                        ; implicit-def: $vgpr61_vgpr62
                                        ; implicit-def: $vgpr3
	s_and_saveexec_b64 s[18:19], vcc
	s_xor_b64 s[18:19], exec, s[18:19]
; %bb.4410:                             ;   in Loop: Header=BB4_4388 Depth=2
	v_cmp_lt_u64_e32 vcc, s[62:63], v[50:51]
	v_add_u32_e32 v3, 15, v31
	v_cndmask_b32_e32 v3, v27, v3, vcc
	v_cndmask_b32_e64 v27, 0, 1, vcc
	v_lshrrev_b64 v[61:62], v27, v[50:51]
; %bb.4411:                             ;   in Loop: Header=BB4_4388 Depth=2
	s_andn2_saveexec_b64 s[18:19], s[18:19]
; %bb.4412:                             ;   in Loop: Header=BB4_4388 Depth=2
	v_mov_b32_e32 v62, v51
	v_bfe_u32 v3, v50, 23, 1
	v_mov_b32_e32 v61, v50
; %bb.4413:                             ;   in Loop: Header=BB4_4388 Depth=2
	s_or_b64 exec, exec, s[18:19]
	v_lshrrev_b64 v[48:49], 21, v[61:62]
	v_cmp_gt_i32_e32 vcc, 32, v3
	v_cndmask_b32_e32 v62, 0, v49, vcc
	v_cndmask_b32_e32 v61, 3, v48, vcc
	v_cmp_ne_u64_e32 vcc, 0, v[61:62]
	v_cmp_ne_u32_e64 s[18:19], 0, v3
	s_or_b64 s[18:19], s[18:19], vcc
                                        ; implicit-def: $vgpr48
	s_and_saveexec_b64 s[92:93], s[18:19]
	s_xor_b64 s[18:19], exec, s[92:93]
; %bb.4414:                             ;   in Loop: Header=BB4_4388 Depth=2
	v_min_i32_e32 v3, 31, v3
	v_lshl_or_b32 v1, v3, 2, v1
	v_and_or_b32 v48, v61, 3, v1
                                        ; implicit-def: $vgpr1
; %bb.4415:                             ;   in Loop: Header=BB4_4388 Depth=2
	s_andn2_saveexec_b64 s[18:19], s[18:19]
; %bb.4416:                             ;   in Loop: Header=BB4_4388 Depth=2
	v_mov_b32_e32 v48, v1
; %bb.4417:                             ;   in Loop: Header=BB4_4388 Depth=2
	s_or_b64 exec, exec, s[18:19]
.LBB4_4418:                             ;   in Loop: Header=BB4_4388 Depth=2
	s_or_b64 exec, exec, s[90:91]
                                        ; implicit-def: $vgpr1
.LBB4_4419:                             ;   in Loop: Header=BB4_4388 Depth=2
	s_andn2_saveexec_b64 s[18:19], s[88:89]
; %bb.4420:                             ;   in Loop: Header=BB4_4388 Depth=2
	v_or_b32_e32 v48, 0x7b, v1
; %bb.4421:                             ;   in Loop: Header=BB4_4388 Depth=2
	s_or_b64 exec, exec, s[18:19]
                                        ; implicit-def: $vgpr3
.LBB4_4422:                             ;   in Loop: Header=BB4_4388 Depth=2
	s_andn2_saveexec_b64 s[18:19], s[78:79]
	s_cbranch_execz .LBB4_4428
; %bb.4423:                             ;   in Loop: Header=BB4_4388 Depth=2
	v_cmp_ne_u64_e32 vcc, 0, v[50:51]
                                        ; implicit-def: $vgpr48
	s_and_saveexec_b64 s[78:79], vcc
	s_xor_b64 s[78:79], exec, s[78:79]
; %bb.4424:                             ;   in Loop: Header=BB4_4388 Depth=2
	v_or_b32_sdwa v48, v3, s54 dst_sel:DWORD dst_unused:UNUSED_PAD src0_sel:BYTE_3 src1_sel:DWORD
                                        ; implicit-def: $vgpr3
; %bb.4425:                             ;   in Loop: Header=BB4_4388 Depth=2
	s_andn2_saveexec_b64 s[78:79], s[78:79]
; %bb.4426:                             ;   in Loop: Header=BB4_4388 Depth=2
	v_cmp_lt_i32_e32 vcc, -1, v3
	v_mov_b32_e32 v1, 0x7c
	v_cndmask_b32_e32 v48, -4, v1, vcc
; %bb.4427:                             ;   in Loop: Header=BB4_4388 Depth=2
	s_or_b64 exec, exec, s[78:79]
.LBB4_4428:                             ;   in Loop: Header=BB4_4388 Depth=2
	s_or_b64 exec, exec, s[18:19]
	v_cmp_ne_u16_e32 vcc, 0, v34
	v_mov_b32_e32 v1, 0
	v_mov_b32_e32 v3, 0
	s_and_saveexec_b64 s[18:19], vcc
	s_cbranch_execz .LBB4_4436
; %bb.4429:                             ;   in Loop: Header=BB4_4388 Depth=2
	v_cmp_ne_u16_e32 vcc, s49, v34
	v_bfrev_b32_e32 v3, 1
	s_and_saveexec_b64 s[78:79], vcc
	s_cbranch_execz .LBB4_4435
; %bb.4430:                             ;   in Loop: Header=BB4_4388 Depth=2
	v_and_b32_e32 v3, 0x7c, v34
	v_and_b32_e32 v27, 3, v34
	v_cmp_ne_u32_e32 vcc, s50, v3
                                        ; implicit-def: $vgpr3
	s_and_saveexec_b64 s[88:89], vcc
	s_xor_b64 s[88:89], exec, s[88:89]
	s_cbranch_execz .LBB4_4432
; %bb.4431:                             ;   in Loop: Header=BB4_4388 Depth=2
	v_ffbh_u32_e32 v31, v27
	v_min_u32_e32 v31, 32, v31
	v_and_b32_e32 v3, 0xff, v34
	v_mov_b32_e32 v35, v51
	v_subrev_u32_e32 v49, 29, v31
	v_bfe_u32 v3, v3, 2, 5
	v_lshlrev_b64 v[49:50], v49, v[34:35]
	v_sub_u32_e32 v31, 30, v31
	v_cmp_eq_u32_e32 vcc, 0, v3
	v_and_b32_e32 v35, 3, v49
	v_cndmask_b32_e32 v3, v3, v31, vcc
	v_and_b32_sdwa v31, sext(v34), s51 dst_sel:DWORD dst_unused:UNUSED_PAD src0_sel:WORD_0 src1_sel:DWORD
	v_cndmask_b32_e32 v27, v27, v35, vcc
	v_lshl_add_u32 v3, v3, 23, v31
	v_lshl_or_b32 v3, v27, 21, v3
	v_add_u32_e32 v3, 0x38000000, v3
                                        ; implicit-def: $vgpr27
                                        ; implicit-def: $vgpr34
.LBB4_4432:                             ;   in Loop: Header=BB4_4388 Depth=2
	s_andn2_saveexec_b64 s[88:89], s[88:89]
; %bb.4433:                             ;   in Loop: Header=BB4_4388 Depth=2
	v_cmp_lt_i16_e32 vcc, -1, v34
	v_cndmask_b32_e32 v3, v5, v36, vcc
	v_cmp_eq_u32_e32 vcc, 0, v27
	v_cndmask_b32_e32 v3, v37, v3, vcc
; %bb.4434:                             ;   in Loop: Header=BB4_4388 Depth=2
	s_or_b64 exec, exec, s[88:89]
.LBB4_4435:                             ;   in Loop: Header=BB4_4388 Depth=2
	s_or_b64 exec, exec, s[78:79]
.LBB4_4436:                             ;   in Loop: Header=BB4_4388 Depth=2
	s_or_b64 exec, exec, s[18:19]
	v_cmp_ne_u16_e32 vcc, 0, v0
	s_and_saveexec_b64 s[18:19], vcc
	s_cbranch_execz .LBB4_4444
; %bb.4437:                             ;   in Loop: Header=BB4_4388 Depth=2
	v_cmp_ne_u16_e32 vcc, s49, v0
	v_bfrev_b32_e32 v1, 1
	s_and_saveexec_b64 s[78:79], vcc
	s_cbranch_execz .LBB4_4443
; %bb.4438:                             ;   in Loop: Header=BB4_4388 Depth=2
	v_and_b32_e32 v1, 0x7c, v0
	v_and_b32_e32 v27, 3, v0
	v_cmp_ne_u32_e32 vcc, s50, v1
                                        ; implicit-def: $vgpr1
	s_and_saveexec_b64 s[88:89], vcc
	s_xor_b64 s[88:89], exec, s[88:89]
	s_cbranch_execz .LBB4_4440
; %bb.4439:                             ;   in Loop: Header=BB4_4388 Depth=2
	v_ffbh_u32_e32 v34, v27
	v_min_u32_e32 v49, 32, v34
	v_and_b32_e32 v31, 0xff, v0
	v_mov_b32_e32 v1, v51
	v_subrev_u32_e32 v34, 29, v49
	v_bfe_u32 v31, v31, 2, 5
	v_lshlrev_b64 v[34:35], v34, v[0:1]
	v_sub_u32_e32 v1, 30, v49
	v_cmp_eq_u32_e32 vcc, 0, v31
	v_and_b32_e32 v34, 3, v34
	v_cndmask_b32_e32 v1, v31, v1, vcc
	v_and_b32_sdwa v0, sext(v0), s51 dst_sel:DWORD dst_unused:UNUSED_PAD src0_sel:WORD_0 src1_sel:DWORD
	v_cndmask_b32_e32 v27, v27, v34, vcc
	v_lshl_add_u32 v0, v1, 23, v0
	v_lshl_or_b32 v0, v27, 21, v0
	v_add_u32_e32 v1, 0x38000000, v0
                                        ; implicit-def: $vgpr27
                                        ; implicit-def: $vgpr0
.LBB4_4440:                             ;   in Loop: Header=BB4_4388 Depth=2
	s_andn2_saveexec_b64 s[88:89], s[88:89]
; %bb.4441:                             ;   in Loop: Header=BB4_4388 Depth=2
	v_cmp_lt_i16_e32 vcc, -1, v0
	v_cndmask_b32_e32 v0, v5, v36, vcc
	v_cmp_eq_u32_e32 vcc, 0, v27
	v_cndmask_b32_e32 v1, v37, v0, vcc
; %bb.4442:                             ;   in Loop: Header=BB4_4388 Depth=2
	s_or_b64 exec, exec, s[88:89]
.LBB4_4443:                             ;   in Loop: Header=BB4_4388 Depth=2
	s_or_b64 exec, exec, s[78:79]
.LBB4_4444:                             ;   in Loop: Header=BB4_4388 Depth=2
	s_or_b64 exec, exec, s[18:19]
	v_mul_f32_e32 v0, v3, v1
	v_and_b32_e32 v34, 0x7f800000, v0
	v_mov_b32_e32 v35, v51
	v_cmp_ne_u64_e32 vcc, s[58:59], v[34:35]
	v_and_b32_e32 v50, 0x7fffff, v0
                                        ; implicit-def: $vgpr34
	s_and_saveexec_b64 s[18:19], vcc
	s_xor_b64 s[78:79], exec, s[18:19]
	s_cbranch_execz .LBB4_4462
; %bb.4445:                             ;   in Loop: Header=BB4_4388 Depth=2
	v_and_b32_e32 v34, 0x7fffffff, v0
	v_mov_b32_e32 v35, v51
	v_cmp_gt_u64_e32 vcc, s[60:61], v[34:35]
	v_and_b32_sdwa v3, v0, s52 dst_sel:DWORD dst_unused:UNUSED_PAD src0_sel:BYTE_3 src1_sel:DWORD
                                        ; implicit-def: $vgpr34
	s_and_saveexec_b64 s[18:19], vcc
	s_xor_b64 s[88:89], exec, s[18:19]
	s_cbranch_execz .LBB4_4459
; %bb.4446:                             ;   in Loop: Header=BB4_4388 Depth=2
	v_cmp_ne_u32_e32 vcc, 0, v0
	v_mov_b32_e32 v34, 0
	s_and_saveexec_b64 s[90:91], vcc
	s_cbranch_execz .LBB4_4458
; %bb.4447:                             ;   in Loop: Header=BB4_4388 Depth=2
	v_bfe_u32 v27, v0, 23, 8
	v_cmp_gt_u32_e64 s[18:19], s53, v27
	v_sub_u32_e32 v0, 0x71, v27
	v_cmp_eq_u32_e32 vcc, 0, v27
	v_cndmask_b32_e64 v0, 0, v0, s[18:19]
	v_mov_b32_e32 v31, 0x70
	v_cndmask_b32_e32 v31, v0, v31, vcc
	v_or_b32_e32 v1, 0x800000, v50
	v_add_u32_e32 v0, 21, v31
	v_cndmask_b32_e32 v50, v1, v50, vcc
	v_lshlrev_b64 v[0:1], v0, -1
	v_add_u32_e32 v34, 20, v31
	v_lshlrev_b64 v[34:35], v34, 1
	v_bfi_b32 v1, v1, 0, 0
	v_bfi_b32 v0, v0, 0, v50
	v_cmp_eq_u64_e64 s[18:19], v[0:1], v[34:35]
	v_lshrrev_b64 v[0:1], v31, v[50:51]
	v_mov_b32_e32 v35, v1
	v_mov_b32_e32 v34, v0
	s_and_saveexec_b64 s[92:93], s[18:19]
; %bb.4448:                             ;   in Loop: Header=BB4_4388 Depth=2
	v_bfe_u32 v1, v0, 21, 1
	v_add_co_u32_e64 v1, s[18:19], v0, v1
	v_add_co_u32_e64 v34, s[18:19], -1, v1
; %bb.4449:                             ;   in Loop: Header=BB4_4388 Depth=2
	s_or_b64 exec, exec, s[92:93]
	v_add_u32_e32 v1, 0xffffff81, v27
	v_mov_b32_e32 v27, 0xffffff82
	v_cndmask_b32_e32 v1, v1, v27, vcc
	v_lshrrev_b32_e32 v27, 23, v0
	v_add3_u32 v35, v31, v1, v27
	v_add_u32_e32 v31, 14, v35
	v_and_b32_e32 v1, 0x1fffff, v34
	v_add_u32_e32 v50, v1, v0
	v_cmp_ne_u32_e32 vcc, 0, v31
                                        ; implicit-def: $vgpr0_vgpr1
                                        ; implicit-def: $vgpr27
	s_and_saveexec_b64 s[18:19], vcc
	s_xor_b64 s[18:19], exec, s[18:19]
; %bb.4450:                             ;   in Loop: Header=BB4_4388 Depth=2
	v_cmp_lt_u64_e32 vcc, s[62:63], v[50:51]
	v_add_u32_e32 v0, 15, v35
	v_cndmask_b32_e32 v27, v31, v0, vcc
	v_cndmask_b32_e64 v0, 0, 1, vcc
	v_lshrrev_b64 v[0:1], v0, v[50:51]
; %bb.4451:                             ;   in Loop: Header=BB4_4388 Depth=2
	s_andn2_saveexec_b64 s[18:19], s[18:19]
; %bb.4452:                             ;   in Loop: Header=BB4_4388 Depth=2
	v_mov_b32_e32 v0, v50
	v_bfe_u32 v27, v50, 23, 1
	v_mov_b32_e32 v1, v51
; %bb.4453:                             ;   in Loop: Header=BB4_4388 Depth=2
	s_or_b64 exec, exec, s[18:19]
	v_lshrrev_b64 v[0:1], 21, v[0:1]
	v_cmp_gt_i32_e32 vcc, 32, v27
	v_cndmask_b32_e32 v1, 0, v1, vcc
	v_cndmask_b32_e32 v0, 3, v0, vcc
	v_cmp_ne_u64_e32 vcc, 0, v[0:1]
	v_cmp_ne_u32_e64 s[18:19], 0, v27
	s_or_b64 s[18:19], s[18:19], vcc
                                        ; implicit-def: $vgpr34
	s_and_saveexec_b64 s[92:93], s[18:19]
	s_xor_b64 s[18:19], exec, s[92:93]
; %bb.4454:                             ;   in Loop: Header=BB4_4388 Depth=2
	v_min_i32_e32 v1, 31, v27
	v_lshl_or_b32 v1, v1, 2, v3
	v_and_or_b32 v34, v0, 3, v1
                                        ; implicit-def: $vgpr3
; %bb.4455:                             ;   in Loop: Header=BB4_4388 Depth=2
	s_andn2_saveexec_b64 s[18:19], s[18:19]
; %bb.4456:                             ;   in Loop: Header=BB4_4388 Depth=2
	v_mov_b32_e32 v34, v3
; %bb.4457:                             ;   in Loop: Header=BB4_4388 Depth=2
	s_or_b64 exec, exec, s[18:19]
.LBB4_4458:                             ;   in Loop: Header=BB4_4388 Depth=2
	s_or_b64 exec, exec, s[90:91]
                                        ; implicit-def: $vgpr3
.LBB4_4459:                             ;   in Loop: Header=BB4_4388 Depth=2
	s_andn2_saveexec_b64 s[18:19], s[88:89]
; %bb.4460:                             ;   in Loop: Header=BB4_4388 Depth=2
	v_or_b32_e32 v34, 0x7b, v3
; %bb.4461:                             ;   in Loop: Header=BB4_4388 Depth=2
	s_or_b64 exec, exec, s[18:19]
                                        ; implicit-def: $vgpr0
.LBB4_4462:                             ;   in Loop: Header=BB4_4388 Depth=2
	s_andn2_saveexec_b64 s[18:19], s[78:79]
	s_cbranch_execz .LBB4_4468
; %bb.4463:                             ;   in Loop: Header=BB4_4388 Depth=2
	v_cmp_ne_u64_e32 vcc, 0, v[50:51]
                                        ; implicit-def: $vgpr34
	s_and_saveexec_b64 s[78:79], vcc
	s_xor_b64 s[78:79], exec, s[78:79]
; %bb.4464:                             ;   in Loop: Header=BB4_4388 Depth=2
	v_or_b32_sdwa v34, v0, s54 dst_sel:DWORD dst_unused:UNUSED_PAD src0_sel:BYTE_3 src1_sel:DWORD
                                        ; implicit-def: $vgpr0
; %bb.4465:                             ;   in Loop: Header=BB4_4388 Depth=2
	s_andn2_saveexec_b64 s[78:79], s[78:79]
; %bb.4466:                             ;   in Loop: Header=BB4_4388 Depth=2
	v_cmp_lt_i32_e32 vcc, -1, v0
	v_mov_b32_e32 v0, 0x7c
	v_cndmask_b32_e32 v34, -4, v0, vcc
; %bb.4467:                             ;   in Loop: Header=BB4_4388 Depth=2
	s_or_b64 exec, exec, s[78:79]
.LBB4_4468:                             ;   in Loop: Header=BB4_4388 Depth=2
	s_or_b64 exec, exec, s[18:19]
	v_cmp_ne_u16_e32 vcc, 0, v26
	v_mov_b32_e32 v0, 0
	v_mov_b32_e32 v1, 0
	s_and_saveexec_b64 s[18:19], vcc
	s_cbranch_execz .LBB4_4476
; %bb.4469:                             ;   in Loop: Header=BB4_4388 Depth=2
	v_cmp_ne_u16_e32 vcc, s49, v26
	v_bfrev_b32_e32 v1, 1
	s_and_saveexec_b64 s[78:79], vcc
	s_cbranch_execz .LBB4_4475
; %bb.4470:                             ;   in Loop: Header=BB4_4388 Depth=2
	v_and_b32_e32 v1, 0x7c, v26
	v_and_b32_e32 v3, 3, v26
	v_cmp_ne_u32_e32 vcc, s50, v1
                                        ; implicit-def: $vgpr1
	s_and_saveexec_b64 s[88:89], vcc
	s_xor_b64 s[88:89], exec, s[88:89]
	s_cbranch_execz .LBB4_4472
; %bb.4471:                             ;   in Loop: Header=BB4_4388 Depth=2
	v_ffbh_u32_e32 v31, v3
	v_min_u32_e32 v31, 32, v31
	v_and_b32_e32 v1, 0xff, v26
	v_mov_b32_e32 v27, v51
	v_subrev_u32_e32 v35, 29, v31
	v_bfe_u32 v1, v1, 2, 5
	v_lshlrev_b64 v[49:50], v35, v[26:27]
	v_sub_u32_e32 v27, 30, v31
	v_cmp_eq_u32_e32 vcc, 0, v1
	v_and_b32_e32 v31, 3, v49
	v_cndmask_b32_e32 v1, v1, v27, vcc
	v_and_b32_sdwa v26, sext(v26), s51 dst_sel:DWORD dst_unused:UNUSED_PAD src0_sel:WORD_0 src1_sel:DWORD
	v_cndmask_b32_e32 v3, v3, v31, vcc
	v_lshl_add_u32 v1, v1, 23, v26
	v_lshl_or_b32 v1, v3, 21, v1
	v_add_u32_e32 v1, 0x38000000, v1
                                        ; implicit-def: $vgpr3
                                        ; implicit-def: $vgpr26
.LBB4_4472:                             ;   in Loop: Header=BB4_4388 Depth=2
	s_andn2_saveexec_b64 s[88:89], s[88:89]
; %bb.4473:                             ;   in Loop: Header=BB4_4388 Depth=2
	v_cmp_lt_i16_e32 vcc, -1, v26
	v_cndmask_b32_e32 v1, v5, v36, vcc
	v_cmp_eq_u32_e32 vcc, 0, v3
	v_cndmask_b32_e32 v1, v37, v1, vcc
; %bb.4474:                             ;   in Loop: Header=BB4_4388 Depth=2
	s_or_b64 exec, exec, s[88:89]
.LBB4_4475:                             ;   in Loop: Header=BB4_4388 Depth=2
	s_or_b64 exec, exec, s[78:79]
.LBB4_4476:                             ;   in Loop: Header=BB4_4388 Depth=2
	s_or_b64 exec, exec, s[18:19]
	v_cmp_ne_u16_e32 vcc, 0, v25
	s_and_saveexec_b64 s[18:19], vcc
	s_cbranch_execz .LBB4_4484
; %bb.4477:                             ;   in Loop: Header=BB4_4388 Depth=2
	v_cmp_ne_u16_e32 vcc, s49, v25
	v_bfrev_b32_e32 v0, 1
	s_and_saveexec_b64 s[78:79], vcc
	s_cbranch_execz .LBB4_4483
; %bb.4478:                             ;   in Loop: Header=BB4_4388 Depth=2
	v_and_b32_e32 v0, 0x7c, v25
	v_and_b32_e32 v3, 3, v25
	v_cmp_ne_u32_e32 vcc, s50, v0
                                        ; implicit-def: $vgpr0
	s_and_saveexec_b64 s[88:89], vcc
	s_xor_b64 s[88:89], exec, s[88:89]
	s_cbranch_execz .LBB4_4480
; %bb.4479:                             ;   in Loop: Header=BB4_4388 Depth=2
	v_ffbh_u32_e32 v27, v3
	v_min_u32_e32 v31, 32, v27
	v_and_b32_e32 v0, 0xff, v25
	v_mov_b32_e32 v26, v51
	v_subrev_u32_e32 v27, 29, v31
	v_bfe_u32 v0, v0, 2, 5
	v_lshlrev_b64 v[26:27], v27, v[25:26]
	v_sub_u32_e32 v27, 30, v31
	v_cmp_eq_u32_e32 vcc, 0, v0
	v_and_b32_e32 v26, 3, v26
	v_cndmask_b32_e32 v0, v0, v27, vcc
	v_and_b32_sdwa v25, sext(v25), s51 dst_sel:DWORD dst_unused:UNUSED_PAD src0_sel:WORD_0 src1_sel:DWORD
	v_cndmask_b32_e32 v3, v3, v26, vcc
	v_lshl_add_u32 v0, v0, 23, v25
	v_lshl_or_b32 v0, v3, 21, v0
	v_add_u32_e32 v0, 0x38000000, v0
                                        ; implicit-def: $vgpr3
                                        ; implicit-def: $vgpr25
.LBB4_4480:                             ;   in Loop: Header=BB4_4388 Depth=2
	s_andn2_saveexec_b64 s[88:89], s[88:89]
; %bb.4481:                             ;   in Loop: Header=BB4_4388 Depth=2
	v_cmp_lt_i16_e32 vcc, -1, v25
	v_cndmask_b32_e32 v0, v5, v36, vcc
	v_cmp_eq_u32_e32 vcc, 0, v3
	v_cndmask_b32_e32 v0, v37, v0, vcc
; %bb.4482:                             ;   in Loop: Header=BB4_4388 Depth=2
	s_or_b64 exec, exec, s[88:89]
.LBB4_4483:                             ;   in Loop: Header=BB4_4388 Depth=2
	s_or_b64 exec, exec, s[78:79]
.LBB4_4484:                             ;   in Loop: Header=BB4_4388 Depth=2
	s_or_b64 exec, exec, s[18:19]
	v_mul_f32_e32 v0, v1, v0
	v_and_b32_e32 v25, 0x7f800000, v0
	v_mov_b32_e32 v26, v51
	v_cmp_ne_u64_e32 vcc, s[58:59], v[25:26]
	v_and_b32_e32 v50, 0x7fffff, v0
                                        ; implicit-def: $vgpr27
	s_and_saveexec_b64 s[18:19], vcc
	s_xor_b64 s[78:79], exec, s[18:19]
	s_cbranch_execz .LBB4_4502
; %bb.4485:                             ;   in Loop: Header=BB4_4388 Depth=2
	v_and_b32_e32 v25, 0x7fffffff, v0
	v_mov_b32_e32 v26, v51
	v_cmp_gt_u64_e32 vcc, s[60:61], v[25:26]
	v_and_b32_sdwa v3, v0, s52 dst_sel:DWORD dst_unused:UNUSED_PAD src0_sel:BYTE_3 src1_sel:DWORD
                                        ; implicit-def: $vgpr27
	s_and_saveexec_b64 s[18:19], vcc
	s_xor_b64 s[88:89], exec, s[18:19]
	s_cbranch_execz .LBB4_4499
; %bb.4486:                             ;   in Loop: Header=BB4_4388 Depth=2
	v_cmp_ne_u32_e32 vcc, 0, v0
	v_mov_b32_e32 v27, 0
	s_and_saveexec_b64 s[90:91], vcc
	s_cbranch_execz .LBB4_4498
; %bb.4487:                             ;   in Loop: Header=BB4_4388 Depth=2
	v_bfe_u32 v27, v0, 23, 8
	v_cmp_gt_u32_e64 s[18:19], s53, v27
	v_sub_u32_e32 v0, 0x71, v27
	v_cmp_eq_u32_e32 vcc, 0, v27
	v_cndmask_b32_e64 v0, 0, v0, s[18:19]
	v_mov_b32_e32 v25, 0x70
	v_cndmask_b32_e32 v31, v0, v25, vcc
	v_or_b32_e32 v1, 0x800000, v50
	v_add_u32_e32 v0, 21, v31
	v_cndmask_b32_e32 v50, v1, v50, vcc
	v_lshlrev_b64 v[0:1], v0, -1
	v_add_u32_e32 v25, 20, v31
	v_lshlrev_b64 v[25:26], v25, 1
	v_bfi_b32 v1, v1, 0, 0
	v_bfi_b32 v0, v0, 0, v50
	v_cmp_eq_u64_e64 s[18:19], v[0:1], v[25:26]
	v_lshrrev_b64 v[0:1], v31, v[50:51]
	v_mov_b32_e32 v26, v1
	v_mov_b32_e32 v25, v0
	s_and_saveexec_b64 s[92:93], s[18:19]
; %bb.4488:                             ;   in Loop: Header=BB4_4388 Depth=2
	v_bfe_u32 v1, v0, 21, 1
	v_add_co_u32_e64 v1, s[18:19], v0, v1
	v_add_co_u32_e64 v25, s[18:19], -1, v1
; %bb.4489:                             ;   in Loop: Header=BB4_4388 Depth=2
	s_or_b64 exec, exec, s[92:93]
	v_add_u32_e32 v1, 0xffffff81, v27
	v_mov_b32_e32 v26, 0xffffff82
	v_cndmask_b32_e32 v1, v1, v26, vcc
	v_lshrrev_b32_e32 v26, 23, v0
	v_add3_u32 v27, v31, v1, v26
	v_add_u32_e32 v26, 14, v27
	v_and_b32_e32 v1, 0x1fffff, v25
	v_add_u32_e32 v50, v1, v0
	v_cmp_ne_u32_e32 vcc, 0, v26
                                        ; implicit-def: $vgpr0_vgpr1
                                        ; implicit-def: $vgpr25
	s_and_saveexec_b64 s[18:19], vcc
	s_xor_b64 s[18:19], exec, s[18:19]
; %bb.4490:                             ;   in Loop: Header=BB4_4388 Depth=2
	v_cmp_lt_u64_e32 vcc, s[62:63], v[50:51]
	v_add_u32_e32 v0, 15, v27
	v_cndmask_b32_e32 v25, v26, v0, vcc
	v_cndmask_b32_e64 v0, 0, 1, vcc
	v_lshrrev_b64 v[0:1], v0, v[50:51]
; %bb.4491:                             ;   in Loop: Header=BB4_4388 Depth=2
	s_andn2_saveexec_b64 s[18:19], s[18:19]
; %bb.4492:                             ;   in Loop: Header=BB4_4388 Depth=2
	v_mov_b32_e32 v0, v50
	v_bfe_u32 v25, v50, 23, 1
	v_mov_b32_e32 v1, v51
; %bb.4493:                             ;   in Loop: Header=BB4_4388 Depth=2
	s_or_b64 exec, exec, s[18:19]
	v_lshrrev_b64 v[0:1], 21, v[0:1]
	v_cmp_gt_i32_e32 vcc, 32, v25
	v_cndmask_b32_e32 v1, 0, v1, vcc
	v_cndmask_b32_e32 v0, 3, v0, vcc
	v_cmp_ne_u64_e32 vcc, 0, v[0:1]
	v_cmp_ne_u32_e64 s[18:19], 0, v25
	s_or_b64 s[18:19], s[18:19], vcc
                                        ; implicit-def: $vgpr27
	s_and_saveexec_b64 s[92:93], s[18:19]
	s_xor_b64 s[18:19], exec, s[92:93]
; %bb.4494:                             ;   in Loop: Header=BB4_4388 Depth=2
	v_min_i32_e32 v1, 31, v25
	v_lshl_or_b32 v1, v1, 2, v3
	v_and_or_b32 v27, v0, 3, v1
                                        ; implicit-def: $vgpr3
; %bb.4495:                             ;   in Loop: Header=BB4_4388 Depth=2
	s_andn2_saveexec_b64 s[18:19], s[18:19]
; %bb.4496:                             ;   in Loop: Header=BB4_4388 Depth=2
	v_mov_b32_e32 v27, v3
; %bb.4497:                             ;   in Loop: Header=BB4_4388 Depth=2
	s_or_b64 exec, exec, s[18:19]
.LBB4_4498:                             ;   in Loop: Header=BB4_4388 Depth=2
	s_or_b64 exec, exec, s[90:91]
                                        ; implicit-def: $vgpr3
.LBB4_4499:                             ;   in Loop: Header=BB4_4388 Depth=2
	s_andn2_saveexec_b64 s[18:19], s[88:89]
; %bb.4500:                             ;   in Loop: Header=BB4_4388 Depth=2
	v_or_b32_e32 v27, 0x7b, v3
; %bb.4501:                             ;   in Loop: Header=BB4_4388 Depth=2
	s_or_b64 exec, exec, s[18:19]
                                        ; implicit-def: $vgpr0
.LBB4_4502:                             ;   in Loop: Header=BB4_4388 Depth=2
	s_andn2_saveexec_b64 s[18:19], s[78:79]
	s_cbranch_execz .LBB4_4508
; %bb.4503:                             ;   in Loop: Header=BB4_4388 Depth=2
	v_cmp_ne_u64_e32 vcc, 0, v[50:51]
                                        ; implicit-def: $vgpr27
	s_and_saveexec_b64 s[78:79], vcc
	s_xor_b64 s[78:79], exec, s[78:79]
; %bb.4504:                             ;   in Loop: Header=BB4_4388 Depth=2
	v_or_b32_sdwa v27, v0, s54 dst_sel:DWORD dst_unused:UNUSED_PAD src0_sel:BYTE_3 src1_sel:DWORD
                                        ; implicit-def: $vgpr0
; %bb.4505:                             ;   in Loop: Header=BB4_4388 Depth=2
	s_andn2_saveexec_b64 s[78:79], s[78:79]
; %bb.4506:                             ;   in Loop: Header=BB4_4388 Depth=2
	v_cmp_lt_i32_e32 vcc, -1, v0
	v_mov_b32_e32 v0, 0x7c
	v_cndmask_b32_e32 v27, -4, v0, vcc
; %bb.4507:                             ;   in Loop: Header=BB4_4388 Depth=2
	s_or_b64 exec, exec, s[78:79]
.LBB4_4508:                             ;   in Loop: Header=BB4_4388 Depth=2
	s_or_b64 exec, exec, s[18:19]
	v_cmp_ne_u16_e32 vcc, 0, v60
	v_mov_b32_e32 v0, 0
	v_mov_b32_e32 v1, 0
	s_and_saveexec_b64 s[18:19], vcc
	s_cbranch_execz .LBB4_4516
; %bb.4509:                             ;   in Loop: Header=BB4_4388 Depth=2
	v_cmp_ne_u16_e32 vcc, s49, v60
	v_bfrev_b32_e32 v1, 1
	s_and_saveexec_b64 s[78:79], vcc
	s_cbranch_execz .LBB4_4515
; %bb.4510:                             ;   in Loop: Header=BB4_4388 Depth=2
	v_and_b32_e32 v1, 0x7c, v60
	v_and_b32_e32 v3, 3, v60
	v_cmp_ne_u32_e32 vcc, s50, v1
                                        ; implicit-def: $vgpr1
	s_and_saveexec_b64 s[88:89], vcc
	s_xor_b64 s[88:89], exec, s[88:89]
	s_cbranch_execz .LBB4_4512
; %bb.4511:                             ;   in Loop: Header=BB4_4388 Depth=2
	v_ffbh_u32_e32 v25, v3
	v_min_u32_e32 v31, 32, v25
	v_mov_b32_e32 v61, v51
	v_subrev_u32_e32 v25, 29, v31
	v_and_b32_e32 v1, 0xff, v60
	v_lshlrev_b64 v[25:26], v25, v[60:61]
	v_bfe_u32 v1, v1, 2, 5
	v_sub_u32_e32 v26, 30, v31
	v_and_b32_e32 v25, 3, v25
	v_cmp_eq_u32_e32 vcc, 0, v1
	v_cndmask_b32_e32 v1, v1, v26, vcc
	v_cndmask_b32_e32 v3, v3, v25, vcc
	v_and_b32_sdwa v25, sext(v60), s51 dst_sel:DWORD dst_unused:UNUSED_PAD src0_sel:WORD_0 src1_sel:DWORD
	v_lshl_add_u32 v1, v1, 23, v25
	v_lshl_or_b32 v1, v3, 21, v1
	v_add_u32_e32 v1, 0x38000000, v1
                                        ; implicit-def: $vgpr3
                                        ; implicit-def: $vgpr60
.LBB4_4512:                             ;   in Loop: Header=BB4_4388 Depth=2
	s_andn2_saveexec_b64 s[88:89], s[88:89]
; %bb.4513:                             ;   in Loop: Header=BB4_4388 Depth=2
	v_cmp_lt_i16_e32 vcc, -1, v60
	v_cndmask_b32_e32 v1, v5, v36, vcc
	v_cmp_eq_u32_e32 vcc, 0, v3
	v_cndmask_b32_e32 v1, v37, v1, vcc
; %bb.4514:                             ;   in Loop: Header=BB4_4388 Depth=2
	s_or_b64 exec, exec, s[88:89]
.LBB4_4515:                             ;   in Loop: Header=BB4_4388 Depth=2
	s_or_b64 exec, exec, s[78:79]
.LBB4_4516:                             ;   in Loop: Header=BB4_4388 Depth=2
	s_or_b64 exec, exec, s[18:19]
	v_cmp_ne_u16_e32 vcc, 0, v59
	s_and_saveexec_b64 s[18:19], vcc
	s_cbranch_execz .LBB4_4524
; %bb.4517:                             ;   in Loop: Header=BB4_4388 Depth=2
	v_cmp_ne_u16_e32 vcc, s49, v59
	v_bfrev_b32_e32 v0, 1
	s_and_saveexec_b64 s[78:79], vcc
	s_cbranch_execz .LBB4_4523
; %bb.4518:                             ;   in Loop: Header=BB4_4388 Depth=2
	v_and_b32_e32 v0, 0x7c, v59
	v_and_b32_e32 v3, 3, v59
	v_cmp_ne_u32_e32 vcc, s50, v0
                                        ; implicit-def: $vgpr0
	s_and_saveexec_b64 s[88:89], vcc
	s_xor_b64 s[88:89], exec, s[88:89]
	s_cbranch_execz .LBB4_4520
; %bb.4519:                             ;   in Loop: Header=BB4_4388 Depth=2
	v_ffbh_u32_e32 v25, v3
	v_min_u32_e32 v31, 32, v25
	v_mov_b32_e32 v60, v51
	v_subrev_u32_e32 v25, 29, v31
	v_and_b32_e32 v0, 0xff, v59
	v_lshlrev_b64 v[25:26], v25, v[59:60]
	v_bfe_u32 v0, v0, 2, 5
	v_sub_u32_e32 v26, 30, v31
	v_and_b32_e32 v25, 3, v25
	v_cmp_eq_u32_e32 vcc, 0, v0
	v_cndmask_b32_e32 v0, v0, v26, vcc
	v_cndmask_b32_e32 v3, v3, v25, vcc
	v_and_b32_sdwa v25, sext(v59), s51 dst_sel:DWORD dst_unused:UNUSED_PAD src0_sel:WORD_0 src1_sel:DWORD
	v_lshl_add_u32 v0, v0, 23, v25
	v_lshl_or_b32 v0, v3, 21, v0
	v_add_u32_e32 v0, 0x38000000, v0
                                        ; implicit-def: $vgpr3
                                        ; implicit-def: $vgpr59
.LBB4_4520:                             ;   in Loop: Header=BB4_4388 Depth=2
	s_andn2_saveexec_b64 s[88:89], s[88:89]
; %bb.4521:                             ;   in Loop: Header=BB4_4388 Depth=2
	v_cmp_lt_i16_e32 vcc, -1, v59
	v_cndmask_b32_e32 v0, v5, v36, vcc
	v_cmp_eq_u32_e32 vcc, 0, v3
	v_cndmask_b32_e32 v0, v37, v0, vcc
; %bb.4522:                             ;   in Loop: Header=BB4_4388 Depth=2
	s_or_b64 exec, exec, s[88:89]
.LBB4_4523:                             ;   in Loop: Header=BB4_4388 Depth=2
	s_or_b64 exec, exec, s[78:79]
.LBB4_4524:                             ;   in Loop: Header=BB4_4388 Depth=2
	s_or_b64 exec, exec, s[18:19]
	v_mul_f32_e32 v0, v1, v0
	v_and_b32_e32 v25, 0x7f800000, v0
	v_mov_b32_e32 v26, v51
	v_cmp_ne_u64_e32 vcc, s[58:59], v[25:26]
	v_and_b32_e32 v50, 0x7fffff, v0
                                        ; implicit-def: $vgpr35
	s_and_saveexec_b64 s[18:19], vcc
	s_xor_b64 s[78:79], exec, s[18:19]
	s_cbranch_execz .LBB4_4542
; %bb.4525:                             ;   in Loop: Header=BB4_4388 Depth=2
	v_and_b32_e32 v25, 0x7fffffff, v0
	v_mov_b32_e32 v26, v51
	v_cmp_gt_u64_e32 vcc, s[60:61], v[25:26]
	v_and_b32_sdwa v3, v0, s52 dst_sel:DWORD dst_unused:UNUSED_PAD src0_sel:BYTE_3 src1_sel:DWORD
                                        ; implicit-def: $vgpr35
	s_and_saveexec_b64 s[18:19], vcc
	s_xor_b64 s[88:89], exec, s[18:19]
	s_cbranch_execz .LBB4_4539
; %bb.4526:                             ;   in Loop: Header=BB4_4388 Depth=2
	v_cmp_ne_u32_e32 vcc, 0, v0
	v_mov_b32_e32 v35, 0
	s_and_saveexec_b64 s[90:91], vcc
	s_cbranch_execz .LBB4_4538
; %bb.4527:                             ;   in Loop: Header=BB4_4388 Depth=2
	v_bfe_u32 v31, v0, 23, 8
	v_cmp_gt_u32_e64 s[18:19], s53, v31
	v_sub_u32_e32 v0, 0x71, v31
	v_cmp_eq_u32_e32 vcc, 0, v31
	v_cndmask_b32_e64 v0, 0, v0, s[18:19]
	v_mov_b32_e32 v25, 0x70
	v_cndmask_b32_e32 v35, v0, v25, vcc
	v_or_b32_e32 v1, 0x800000, v50
	v_add_u32_e32 v0, 21, v35
	v_cndmask_b32_e32 v50, v1, v50, vcc
	v_lshlrev_b64 v[0:1], v0, -1
	v_add_u32_e32 v25, 20, v35
	v_lshlrev_b64 v[25:26], v25, 1
	v_bfi_b32 v1, v1, 0, 0
	v_bfi_b32 v0, v0, 0, v50
	v_cmp_eq_u64_e64 s[18:19], v[0:1], v[25:26]
	v_lshrrev_b64 v[0:1], v35, v[50:51]
	v_mov_b32_e32 v26, v1
	v_mov_b32_e32 v25, v0
	s_and_saveexec_b64 s[92:93], s[18:19]
; %bb.4528:                             ;   in Loop: Header=BB4_4388 Depth=2
	v_bfe_u32 v1, v0, 21, 1
	v_add_co_u32_e64 v1, s[18:19], v0, v1
	v_add_co_u32_e64 v25, s[18:19], -1, v1
; %bb.4529:                             ;   in Loop: Header=BB4_4388 Depth=2
	s_or_b64 exec, exec, s[92:93]
	v_add_u32_e32 v1, 0xffffff81, v31
	v_mov_b32_e32 v26, 0xffffff82
	v_cndmask_b32_e32 v1, v1, v26, vcc
	v_lshrrev_b32_e32 v26, 23, v0
	v_add3_u32 v31, v35, v1, v26
	v_add_u32_e32 v26, 14, v31
	v_and_b32_e32 v1, 0x1fffff, v25
	v_add_u32_e32 v50, v1, v0
	v_cmp_ne_u32_e32 vcc, 0, v26
                                        ; implicit-def: $vgpr0_vgpr1
                                        ; implicit-def: $vgpr25
	s_and_saveexec_b64 s[18:19], vcc
	s_xor_b64 s[18:19], exec, s[18:19]
; %bb.4530:                             ;   in Loop: Header=BB4_4388 Depth=2
	v_cmp_lt_u64_e32 vcc, s[62:63], v[50:51]
	v_add_u32_e32 v0, 15, v31
	v_cndmask_b32_e32 v25, v26, v0, vcc
	v_cndmask_b32_e64 v0, 0, 1, vcc
	v_lshrrev_b64 v[0:1], v0, v[50:51]
; %bb.4531:                             ;   in Loop: Header=BB4_4388 Depth=2
	s_andn2_saveexec_b64 s[18:19], s[18:19]
; %bb.4532:                             ;   in Loop: Header=BB4_4388 Depth=2
	v_mov_b32_e32 v0, v50
	v_bfe_u32 v25, v50, 23, 1
	v_mov_b32_e32 v1, v51
; %bb.4533:                             ;   in Loop: Header=BB4_4388 Depth=2
	s_or_b64 exec, exec, s[18:19]
	v_lshrrev_b64 v[0:1], 21, v[0:1]
	v_cmp_gt_i32_e32 vcc, 32, v25
	v_cndmask_b32_e32 v1, 0, v1, vcc
	v_cndmask_b32_e32 v0, 3, v0, vcc
	v_cmp_ne_u64_e32 vcc, 0, v[0:1]
	v_cmp_ne_u32_e64 s[18:19], 0, v25
	s_or_b64 s[18:19], s[18:19], vcc
                                        ; implicit-def: $vgpr35
	s_and_saveexec_b64 s[92:93], s[18:19]
	s_xor_b64 s[18:19], exec, s[92:93]
; %bb.4534:                             ;   in Loop: Header=BB4_4388 Depth=2
	v_min_i32_e32 v1, 31, v25
	v_lshl_or_b32 v1, v1, 2, v3
	v_and_or_b32 v35, v0, 3, v1
                                        ; implicit-def: $vgpr3
; %bb.4535:                             ;   in Loop: Header=BB4_4388 Depth=2
	s_andn2_saveexec_b64 s[18:19], s[18:19]
; %bb.4536:                             ;   in Loop: Header=BB4_4388 Depth=2
	v_mov_b32_e32 v35, v3
; %bb.4537:                             ;   in Loop: Header=BB4_4388 Depth=2
	s_or_b64 exec, exec, s[18:19]
.LBB4_4538:                             ;   in Loop: Header=BB4_4388 Depth=2
	s_or_b64 exec, exec, s[90:91]
                                        ; implicit-def: $vgpr3
.LBB4_4539:                             ;   in Loop: Header=BB4_4388 Depth=2
	s_andn2_saveexec_b64 s[18:19], s[88:89]
; %bb.4540:                             ;   in Loop: Header=BB4_4388 Depth=2
	v_or_b32_e32 v35, 0x7b, v3
; %bb.4541:                             ;   in Loop: Header=BB4_4388 Depth=2
	s_or_b64 exec, exec, s[18:19]
                                        ; implicit-def: $vgpr0
.LBB4_4542:                             ;   in Loop: Header=BB4_4388 Depth=2
	s_andn2_saveexec_b64 s[18:19], s[78:79]
	s_cbranch_execz .LBB4_4548
; %bb.4543:                             ;   in Loop: Header=BB4_4388 Depth=2
	v_cmp_ne_u64_e32 vcc, 0, v[50:51]
                                        ; implicit-def: $vgpr35
	s_and_saveexec_b64 s[78:79], vcc
	s_xor_b64 s[78:79], exec, s[78:79]
; %bb.4544:                             ;   in Loop: Header=BB4_4388 Depth=2
	v_or_b32_sdwa v35, v0, s54 dst_sel:DWORD dst_unused:UNUSED_PAD src0_sel:BYTE_3 src1_sel:DWORD
                                        ; implicit-def: $vgpr0
; %bb.4545:                             ;   in Loop: Header=BB4_4388 Depth=2
	s_andn2_saveexec_b64 s[78:79], s[78:79]
; %bb.4546:                             ;   in Loop: Header=BB4_4388 Depth=2
	v_cmp_lt_i32_e32 vcc, -1, v0
	v_mov_b32_e32 v0, 0x7c
	v_cndmask_b32_e32 v35, -4, v0, vcc
; %bb.4547:                             ;   in Loop: Header=BB4_4388 Depth=2
	s_or_b64 exec, exec, s[78:79]
.LBB4_4548:                             ;   in Loop: Header=BB4_4388 Depth=2
	s_or_b64 exec, exec, s[18:19]
	v_cmp_ne_u16_e32 vcc, 0, v30
	v_mov_b32_e32 v0, 0
	v_mov_b32_e32 v1, 0
	s_and_saveexec_b64 s[18:19], vcc
	s_cbranch_execz .LBB4_4556
; %bb.4549:                             ;   in Loop: Header=BB4_4388 Depth=2
	v_cmp_ne_u16_e32 vcc, s49, v30
	v_bfrev_b32_e32 v1, 1
	s_and_saveexec_b64 s[78:79], vcc
	s_cbranch_execz .LBB4_4555
; %bb.4550:                             ;   in Loop: Header=BB4_4388 Depth=2
	v_and_b32_e32 v1, 0x7c, v30
	v_and_b32_e32 v3, 3, v30
	v_cmp_ne_u32_e32 vcc, s50, v1
                                        ; implicit-def: $vgpr1
	s_and_saveexec_b64 s[88:89], vcc
	s_xor_b64 s[88:89], exec, s[88:89]
	s_cbranch_execz .LBB4_4552
; %bb.4551:                             ;   in Loop: Header=BB4_4388 Depth=2
	v_ffbh_u32_e32 v25, v3
	v_min_u32_e32 v49, 32, v25
	v_mov_b32_e32 v31, v51
	v_subrev_u32_e32 v25, 29, v49
	v_and_b32_e32 v1, 0xff, v30
	v_lshlrev_b64 v[25:26], v25, v[30:31]
	v_bfe_u32 v1, v1, 2, 5
	v_sub_u32_e32 v26, 30, v49
	v_and_b32_e32 v25, 3, v25
	v_cmp_eq_u32_e32 vcc, 0, v1
	v_cndmask_b32_e32 v1, v1, v26, vcc
	v_cndmask_b32_e32 v3, v3, v25, vcc
	v_and_b32_sdwa v25, sext(v30), s51 dst_sel:DWORD dst_unused:UNUSED_PAD src0_sel:WORD_0 src1_sel:DWORD
	v_lshl_add_u32 v1, v1, 23, v25
	v_lshl_or_b32 v1, v3, 21, v1
	v_add_u32_e32 v1, 0x38000000, v1
                                        ; implicit-def: $vgpr3
                                        ; implicit-def: $vgpr30
.LBB4_4552:                             ;   in Loop: Header=BB4_4388 Depth=2
	s_andn2_saveexec_b64 s[88:89], s[88:89]
; %bb.4553:                             ;   in Loop: Header=BB4_4388 Depth=2
	v_cmp_lt_i16_e32 vcc, -1, v30
	v_cndmask_b32_e32 v1, v5, v36, vcc
	v_cmp_eq_u32_e32 vcc, 0, v3
	v_cndmask_b32_e32 v1, v37, v1, vcc
; %bb.4554:                             ;   in Loop: Header=BB4_4388 Depth=2
	s_or_b64 exec, exec, s[88:89]
.LBB4_4555:                             ;   in Loop: Header=BB4_4388 Depth=2
	s_or_b64 exec, exec, s[78:79]
.LBB4_4556:                             ;   in Loop: Header=BB4_4388 Depth=2
	s_or_b64 exec, exec, s[18:19]
	v_cmp_ne_u16_e32 vcc, 0, v29
	s_and_saveexec_b64 s[18:19], vcc
	s_cbranch_execz .LBB4_4564
; %bb.4557:                             ;   in Loop: Header=BB4_4388 Depth=2
	v_cmp_ne_u16_e32 vcc, s49, v29
	v_bfrev_b32_e32 v0, 1
	s_and_saveexec_b64 s[78:79], vcc
	s_cbranch_execz .LBB4_4563
; %bb.4558:                             ;   in Loop: Header=BB4_4388 Depth=2
	v_and_b32_e32 v0, 0x7c, v29
	v_and_b32_e32 v3, 3, v29
	v_cmp_ne_u32_e32 vcc, s50, v0
                                        ; implicit-def: $vgpr0
	s_and_saveexec_b64 s[88:89], vcc
	s_xor_b64 s[88:89], exec, s[88:89]
	s_cbranch_execz .LBB4_4560
; %bb.4559:                             ;   in Loop: Header=BB4_4388 Depth=2
	v_ffbh_u32_e32 v25, v3
	v_min_u32_e32 v31, 32, v25
	v_mov_b32_e32 v30, v51
	v_subrev_u32_e32 v25, 29, v31
	v_and_b32_e32 v0, 0xff, v29
	v_lshlrev_b64 v[25:26], v25, v[29:30]
	v_bfe_u32 v0, v0, 2, 5
	v_sub_u32_e32 v26, 30, v31
	v_and_b32_e32 v25, 3, v25
	v_cmp_eq_u32_e32 vcc, 0, v0
	v_cndmask_b32_e32 v0, v0, v26, vcc
	v_cndmask_b32_e32 v3, v3, v25, vcc
	v_and_b32_sdwa v25, sext(v29), s51 dst_sel:DWORD dst_unused:UNUSED_PAD src0_sel:WORD_0 src1_sel:DWORD
	v_lshl_add_u32 v0, v0, 23, v25
	v_lshl_or_b32 v0, v3, 21, v0
	v_add_u32_e32 v0, 0x38000000, v0
                                        ; implicit-def: $vgpr3
                                        ; implicit-def: $vgpr29
.LBB4_4560:                             ;   in Loop: Header=BB4_4388 Depth=2
	s_andn2_saveexec_b64 s[88:89], s[88:89]
; %bb.4561:                             ;   in Loop: Header=BB4_4388 Depth=2
	v_cmp_lt_i16_e32 vcc, -1, v29
	v_cndmask_b32_e32 v0, v5, v36, vcc
	v_cmp_eq_u32_e32 vcc, 0, v3
	v_cndmask_b32_e32 v0, v37, v0, vcc
; %bb.4562:                             ;   in Loop: Header=BB4_4388 Depth=2
	s_or_b64 exec, exec, s[88:89]
.LBB4_4563:                             ;   in Loop: Header=BB4_4388 Depth=2
	s_or_b64 exec, exec, s[78:79]
.LBB4_4564:                             ;   in Loop: Header=BB4_4388 Depth=2
	s_or_b64 exec, exec, s[18:19]
	v_mul_f32_e32 v0, v1, v0
	v_and_b32_e32 v25, 0x7f800000, v0
	v_mov_b32_e32 v26, v51
	v_cmp_ne_u64_e32 vcc, s[58:59], v[25:26]
	v_and_b32_e32 v50, 0x7fffff, v0
                                        ; implicit-def: $vgpr26
	s_and_saveexec_b64 s[18:19], vcc
	s_xor_b64 s[78:79], exec, s[18:19]
	s_cbranch_execz .LBB4_4582
; %bb.4565:                             ;   in Loop: Header=BB4_4388 Depth=2
	v_and_b32_e32 v25, 0x7fffffff, v0
	v_mov_b32_e32 v26, v51
	v_cmp_gt_u64_e32 vcc, s[60:61], v[25:26]
	v_and_b32_sdwa v3, v0, s52 dst_sel:DWORD dst_unused:UNUSED_PAD src0_sel:BYTE_3 src1_sel:DWORD
                                        ; implicit-def: $vgpr26
	s_and_saveexec_b64 s[18:19], vcc
	s_xor_b64 s[88:89], exec, s[18:19]
	s_cbranch_execz .LBB4_4579
; %bb.4566:                             ;   in Loop: Header=BB4_4388 Depth=2
	v_cmp_ne_u32_e32 vcc, 0, v0
	v_mov_b32_e32 v26, 0
	s_and_saveexec_b64 s[90:91], vcc
	s_cbranch_execz .LBB4_4578
; %bb.4567:                             ;   in Loop: Header=BB4_4388 Depth=2
	v_bfe_u32 v29, v0, 23, 8
	v_cmp_gt_u32_e64 s[18:19], s53, v29
	v_sub_u32_e32 v0, 0x71, v29
	v_cmp_eq_u32_e32 vcc, 0, v29
	v_cndmask_b32_e64 v0, 0, v0, s[18:19]
	v_mov_b32_e32 v25, 0x70
	v_cndmask_b32_e32 v30, v0, v25, vcc
	v_or_b32_e32 v1, 0x800000, v50
	v_add_u32_e32 v0, 21, v30
	v_cndmask_b32_e32 v50, v1, v50, vcc
	v_lshlrev_b64 v[0:1], v0, -1
	v_add_u32_e32 v25, 20, v30
	v_lshlrev_b64 v[25:26], v25, 1
	v_bfi_b32 v1, v1, 0, 0
	v_bfi_b32 v0, v0, 0, v50
	v_cmp_eq_u64_e64 s[18:19], v[0:1], v[25:26]
	v_lshrrev_b64 v[0:1], v30, v[50:51]
	v_mov_b32_e32 v26, v1
	v_mov_b32_e32 v25, v0
	s_and_saveexec_b64 s[92:93], s[18:19]
; %bb.4568:                             ;   in Loop: Header=BB4_4388 Depth=2
	v_bfe_u32 v1, v0, 21, 1
	v_add_co_u32_e64 v1, s[18:19], v0, v1
	v_add_co_u32_e64 v25, s[18:19], -1, v1
; %bb.4569:                             ;   in Loop: Header=BB4_4388 Depth=2
	s_or_b64 exec, exec, s[92:93]
	v_add_u32_e32 v1, 0xffffff81, v29
	v_mov_b32_e32 v26, 0xffffff82
	v_cndmask_b32_e32 v1, v1, v26, vcc
	v_lshrrev_b32_e32 v26, 23, v0
	v_add3_u32 v29, v30, v1, v26
	v_add_u32_e32 v26, 14, v29
	v_and_b32_e32 v1, 0x1fffff, v25
	v_add_u32_e32 v50, v1, v0
	v_cmp_ne_u32_e32 vcc, 0, v26
                                        ; implicit-def: $vgpr0_vgpr1
                                        ; implicit-def: $vgpr25
	s_and_saveexec_b64 s[18:19], vcc
	s_xor_b64 s[18:19], exec, s[18:19]
; %bb.4570:                             ;   in Loop: Header=BB4_4388 Depth=2
	v_cmp_lt_u64_e32 vcc, s[62:63], v[50:51]
	v_add_u32_e32 v0, 15, v29
	v_cndmask_b32_e32 v25, v26, v0, vcc
	v_cndmask_b32_e64 v0, 0, 1, vcc
	v_lshrrev_b64 v[0:1], v0, v[50:51]
; %bb.4571:                             ;   in Loop: Header=BB4_4388 Depth=2
	s_andn2_saveexec_b64 s[18:19], s[18:19]
; %bb.4572:                             ;   in Loop: Header=BB4_4388 Depth=2
	v_mov_b32_e32 v0, v50
	v_bfe_u32 v25, v50, 23, 1
	v_mov_b32_e32 v1, v51
; %bb.4573:                             ;   in Loop: Header=BB4_4388 Depth=2
	s_or_b64 exec, exec, s[18:19]
	v_lshrrev_b64 v[0:1], 21, v[0:1]
	v_cmp_gt_i32_e32 vcc, 32, v25
	v_cndmask_b32_e32 v1, 0, v1, vcc
	v_cndmask_b32_e32 v0, 3, v0, vcc
	v_cmp_ne_u64_e32 vcc, 0, v[0:1]
	v_cmp_ne_u32_e64 s[18:19], 0, v25
	s_or_b64 s[18:19], s[18:19], vcc
                                        ; implicit-def: $vgpr26
	s_and_saveexec_b64 s[92:93], s[18:19]
	s_xor_b64 s[18:19], exec, s[92:93]
; %bb.4574:                             ;   in Loop: Header=BB4_4388 Depth=2
	v_min_i32_e32 v1, 31, v25
	v_lshl_or_b32 v1, v1, 2, v3
	v_and_or_b32 v26, v0, 3, v1
                                        ; implicit-def: $vgpr3
; %bb.4575:                             ;   in Loop: Header=BB4_4388 Depth=2
	s_andn2_saveexec_b64 s[18:19], s[18:19]
; %bb.4576:                             ;   in Loop: Header=BB4_4388 Depth=2
	v_mov_b32_e32 v26, v3
; %bb.4577:                             ;   in Loop: Header=BB4_4388 Depth=2
	s_or_b64 exec, exec, s[18:19]
.LBB4_4578:                             ;   in Loop: Header=BB4_4388 Depth=2
	s_or_b64 exec, exec, s[90:91]
                                        ; implicit-def: $vgpr3
.LBB4_4579:                             ;   in Loop: Header=BB4_4388 Depth=2
	s_andn2_saveexec_b64 s[18:19], s[88:89]
; %bb.4580:                             ;   in Loop: Header=BB4_4388 Depth=2
	v_or_b32_e32 v26, 0x7b, v3
; %bb.4581:                             ;   in Loop: Header=BB4_4388 Depth=2
	s_or_b64 exec, exec, s[18:19]
                                        ; implicit-def: $vgpr0
.LBB4_4582:                             ;   in Loop: Header=BB4_4388 Depth=2
	s_andn2_saveexec_b64 s[18:19], s[78:79]
	s_cbranch_execz .LBB4_4588
; %bb.4583:                             ;   in Loop: Header=BB4_4388 Depth=2
	v_cmp_ne_u64_e32 vcc, 0, v[50:51]
                                        ; implicit-def: $vgpr26
	s_and_saveexec_b64 s[78:79], vcc
	s_xor_b64 s[78:79], exec, s[78:79]
; %bb.4584:                             ;   in Loop: Header=BB4_4388 Depth=2
	v_or_b32_sdwa v26, v0, s54 dst_sel:DWORD dst_unused:UNUSED_PAD src0_sel:BYTE_3 src1_sel:DWORD
                                        ; implicit-def: $vgpr0
; %bb.4585:                             ;   in Loop: Header=BB4_4388 Depth=2
	s_andn2_saveexec_b64 s[78:79], s[78:79]
; %bb.4586:                             ;   in Loop: Header=BB4_4388 Depth=2
	v_cmp_lt_i32_e32 vcc, -1, v0
	v_mov_b32_e32 v0, 0x7c
	v_cndmask_b32_e32 v26, -4, v0, vcc
; %bb.4587:                             ;   in Loop: Header=BB4_4388 Depth=2
	s_or_b64 exec, exec, s[78:79]
.LBB4_4588:                             ;   in Loop: Header=BB4_4388 Depth=2
	s_or_b64 exec, exec, s[18:19]
	v_cmp_ne_u16_e32 vcc, 0, v28
	v_mov_b32_e32 v0, 0
	v_mov_b32_e32 v1, 0
	s_and_saveexec_b64 s[18:19], vcc
	s_cbranch_execz .LBB4_4596
; %bb.4589:                             ;   in Loop: Header=BB4_4388 Depth=2
	v_cmp_ne_u16_e32 vcc, s49, v28
	v_bfrev_b32_e32 v1, 1
	s_and_saveexec_b64 s[78:79], vcc
	s_cbranch_execz .LBB4_4595
; %bb.4590:                             ;   in Loop: Header=BB4_4388 Depth=2
	v_and_b32_e32 v1, 0x7c, v28
	v_and_b32_e32 v3, 3, v28
	v_cmp_ne_u32_e32 vcc, s50, v1
                                        ; implicit-def: $vgpr1
	s_and_saveexec_b64 s[88:89], vcc
	s_xor_b64 s[88:89], exec, s[88:89]
	s_cbranch_execz .LBB4_4592
; %bb.4591:                             ;   in Loop: Header=BB4_4388 Depth=2
	v_ffbh_u32_e32 v25, v3
	v_min_u32_e32 v25, 32, v25
	v_and_b32_e32 v1, 0xff, v28
	v_mov_b32_e32 v29, v51
	v_subrev_u32_e32 v30, 29, v25
	v_bfe_u32 v1, v1, 2, 5
	v_lshlrev_b64 v[29:30], v30, v[28:29]
	v_sub_u32_e32 v25, 30, v25
	v_cmp_eq_u32_e32 vcc, 0, v1
	v_and_b32_e32 v29, 3, v29
	v_cndmask_b32_e32 v1, v1, v25, vcc
	v_and_b32_sdwa v25, sext(v28), s51 dst_sel:DWORD dst_unused:UNUSED_PAD src0_sel:WORD_0 src1_sel:DWORD
	v_cndmask_b32_e32 v3, v3, v29, vcc
	v_lshl_add_u32 v1, v1, 23, v25
	v_lshl_or_b32 v1, v3, 21, v1
	v_add_u32_e32 v1, 0x38000000, v1
                                        ; implicit-def: $vgpr3
                                        ; implicit-def: $vgpr28
.LBB4_4592:                             ;   in Loop: Header=BB4_4388 Depth=2
	s_andn2_saveexec_b64 s[88:89], s[88:89]
; %bb.4593:                             ;   in Loop: Header=BB4_4388 Depth=2
	v_cmp_lt_i16_e32 vcc, -1, v28
	v_cndmask_b32_e32 v1, v5, v36, vcc
	v_cmp_eq_u32_e32 vcc, 0, v3
	v_cndmask_b32_e32 v1, v37, v1, vcc
; %bb.4594:                             ;   in Loop: Header=BB4_4388 Depth=2
	s_or_b64 exec, exec, s[88:89]
.LBB4_4595:                             ;   in Loop: Header=BB4_4388 Depth=2
	s_or_b64 exec, exec, s[78:79]
.LBB4_4596:                             ;   in Loop: Header=BB4_4388 Depth=2
	s_or_b64 exec, exec, s[18:19]
	v_cmp_ne_u16_e32 vcc, 0, v2
	s_and_saveexec_b64 s[18:19], vcc
	s_cbranch_execz .LBB4_4604
; %bb.4597:                             ;   in Loop: Header=BB4_4388 Depth=2
	v_cmp_ne_u16_e32 vcc, s49, v2
	v_bfrev_b32_e32 v0, 1
	s_and_saveexec_b64 s[78:79], vcc
	s_cbranch_execz .LBB4_4603
; %bb.4598:                             ;   in Loop: Header=BB4_4388 Depth=2
	v_and_b32_e32 v0, 0x7c, v2
	v_and_b32_e32 v25, 3, v2
	v_cmp_ne_u32_e32 vcc, s50, v0
                                        ; implicit-def: $vgpr0
	s_and_saveexec_b64 s[88:89], vcc
	s_xor_b64 s[88:89], exec, s[88:89]
	s_cbranch_execz .LBB4_4600
; %bb.4599:                             ;   in Loop: Header=BB4_4388 Depth=2
	v_ffbh_u32_e32 v28, v25
	v_min_u32_e32 v30, 32, v28
	v_and_b32_e32 v0, 0xff, v2
	v_mov_b32_e32 v3, v51
	v_subrev_u32_e32 v28, 29, v30
	v_bfe_u32 v0, v0, 2, 5
	v_lshlrev_b64 v[28:29], v28, v[2:3]
	v_sub_u32_e32 v3, 30, v30
	v_cmp_eq_u32_e32 vcc, 0, v0
	v_and_b32_e32 v28, 3, v28
	v_cndmask_b32_e32 v0, v0, v3, vcc
	v_and_b32_sdwa v2, sext(v2), s51 dst_sel:DWORD dst_unused:UNUSED_PAD src0_sel:WORD_0 src1_sel:DWORD
	v_cndmask_b32_e32 v3, v25, v28, vcc
	v_lshl_add_u32 v0, v0, 23, v2
	v_lshl_or_b32 v0, v3, 21, v0
	v_add_u32_e32 v0, 0x38000000, v0
                                        ; implicit-def: $vgpr25
                                        ; implicit-def: $vgpr2
.LBB4_4600:                             ;   in Loop: Header=BB4_4388 Depth=2
	s_andn2_saveexec_b64 s[88:89], s[88:89]
; %bb.4601:                             ;   in Loop: Header=BB4_4388 Depth=2
	v_cmp_lt_i16_e32 vcc, -1, v2
	v_cndmask_b32_e32 v0, v5, v36, vcc
	v_cmp_eq_u32_e32 vcc, 0, v25
	v_cndmask_b32_e32 v0, v37, v0, vcc
; %bb.4602:                             ;   in Loop: Header=BB4_4388 Depth=2
	s_or_b64 exec, exec, s[88:89]
.LBB4_4603:                             ;   in Loop: Header=BB4_4388 Depth=2
	s_or_b64 exec, exec, s[78:79]
.LBB4_4604:                             ;   in Loop: Header=BB4_4388 Depth=2
	s_or_b64 exec, exec, s[18:19]
	v_mul_f32_e32 v0, v1, v0
	v_and_b32_e32 v1, 0x7f800000, v0
	v_mov_b32_e32 v2, v51
	v_cmp_ne_u64_e32 vcc, s[58:59], v[1:2]
	v_and_b32_e32 v50, 0x7fffff, v0
                                        ; implicit-def: $vgpr3
	s_and_saveexec_b64 s[18:19], vcc
	s_xor_b64 s[78:79], exec, s[18:19]
	s_cbranch_execz .LBB4_4622
; %bb.4605:                             ;   in Loop: Header=BB4_4388 Depth=2
	v_and_b32_e32 v1, 0x7fffffff, v0
	v_mov_b32_e32 v2, v51
	v_cmp_gt_u64_e32 vcc, s[60:61], v[1:2]
	v_and_b32_sdwa v25, v0, s52 dst_sel:DWORD dst_unused:UNUSED_PAD src0_sel:BYTE_3 src1_sel:DWORD
                                        ; implicit-def: $vgpr3
	s_and_saveexec_b64 s[18:19], vcc
	s_xor_b64 s[88:89], exec, s[18:19]
	s_cbranch_execz .LBB4_4619
; %bb.4606:                             ;   in Loop: Header=BB4_4388 Depth=2
	v_cmp_ne_u32_e32 vcc, 0, v0
	v_mov_b32_e32 v3, 0
	s_and_saveexec_b64 s[90:91], vcc
	s_cbranch_execz .LBB4_4618
; %bb.4607:                             ;   in Loop: Header=BB4_4388 Depth=2
	v_bfe_u32 v3, v0, 23, 8
	v_cmp_gt_u32_e64 s[18:19], s53, v3
	v_sub_u32_e32 v0, 0x71, v3
	v_cmp_eq_u32_e32 vcc, 0, v3
	v_cndmask_b32_e64 v0, 0, v0, s[18:19]
	v_mov_b32_e32 v2, 0x70
	v_cndmask_b32_e32 v28, v0, v2, vcc
	v_or_b32_e32 v1, 0x800000, v50
	v_add_u32_e32 v0, 21, v28
	v_cndmask_b32_e32 v50, v1, v50, vcc
	v_lshlrev_b64 v[0:1], v0, -1
	v_add_u32_e32 v2, 20, v28
	v_lshlrev_b64 v[29:30], v2, 1
	v_bfi_b32 v1, v1, 0, 0
	v_bfi_b32 v0, v0, 0, v50
	v_cmp_eq_u64_e64 s[18:19], v[0:1], v[29:30]
	v_lshrrev_b64 v[0:1], v28, v[50:51]
	v_mov_b32_e32 v2, v1
	v_mov_b32_e32 v1, v0
	s_and_saveexec_b64 s[92:93], s[18:19]
; %bb.4608:                             ;   in Loop: Header=BB4_4388 Depth=2
	v_bfe_u32 v1, v0, 21, 1
	v_add_co_u32_e64 v1, s[18:19], v0, v1
	v_add_co_u32_e64 v1, s[18:19], -1, v1
; %bb.4609:                             ;   in Loop: Header=BB4_4388 Depth=2
	s_or_b64 exec, exec, s[92:93]
	v_add_u32_e32 v2, 0xffffff81, v3
	v_mov_b32_e32 v3, 0xffffff82
	v_cndmask_b32_e32 v2, v2, v3, vcc
	v_lshrrev_b32_e32 v3, 23, v0
	v_add3_u32 v28, v28, v2, v3
	v_add_u32_e32 v3, 14, v28
	v_and_b32_e32 v1, 0x1fffff, v1
	v_add_u32_e32 v50, v1, v0
	v_cmp_ne_u32_e32 vcc, 0, v3
                                        ; implicit-def: $vgpr0_vgpr1
                                        ; implicit-def: $vgpr2
	s_and_saveexec_b64 s[18:19], vcc
	s_xor_b64 s[18:19], exec, s[18:19]
; %bb.4610:                             ;   in Loop: Header=BB4_4388 Depth=2
	v_cmp_lt_u64_e32 vcc, s[62:63], v[50:51]
	v_add_u32_e32 v0, 15, v28
	v_cndmask_b32_e32 v2, v3, v0, vcc
	v_cndmask_b32_e64 v0, 0, 1, vcc
	v_lshrrev_b64 v[0:1], v0, v[50:51]
; %bb.4611:                             ;   in Loop: Header=BB4_4388 Depth=2
	s_andn2_saveexec_b64 s[18:19], s[18:19]
; %bb.4612:                             ;   in Loop: Header=BB4_4388 Depth=2
	v_mov_b32_e32 v0, v50
	v_bfe_u32 v2, v50, 23, 1
	v_mov_b32_e32 v1, v51
; %bb.4613:                             ;   in Loop: Header=BB4_4388 Depth=2
	s_or_b64 exec, exec, s[18:19]
	v_lshrrev_b64 v[0:1], 21, v[0:1]
	v_cmp_gt_i32_e32 vcc, 32, v2
	v_cndmask_b32_e32 v1, 0, v1, vcc
	v_cndmask_b32_e32 v0, 3, v0, vcc
	v_cmp_ne_u64_e32 vcc, 0, v[0:1]
	v_cmp_ne_u32_e64 s[18:19], 0, v2
	s_or_b64 s[18:19], s[18:19], vcc
                                        ; implicit-def: $vgpr3
	s_and_saveexec_b64 s[92:93], s[18:19]
	s_xor_b64 s[18:19], exec, s[92:93]
; %bb.4614:                             ;   in Loop: Header=BB4_4388 Depth=2
	v_min_i32_e32 v1, 31, v2
	v_lshl_or_b32 v1, v1, 2, v25
	v_and_or_b32 v3, v0, 3, v1
                                        ; implicit-def: $vgpr25
; %bb.4615:                             ;   in Loop: Header=BB4_4388 Depth=2
	s_andn2_saveexec_b64 s[18:19], s[18:19]
; %bb.4616:                             ;   in Loop: Header=BB4_4388 Depth=2
	v_mov_b32_e32 v3, v25
; %bb.4617:                             ;   in Loop: Header=BB4_4388 Depth=2
	s_or_b64 exec, exec, s[18:19]
.LBB4_4618:                             ;   in Loop: Header=BB4_4388 Depth=2
	s_or_b64 exec, exec, s[90:91]
                                        ; implicit-def: $vgpr25
.LBB4_4619:                             ;   in Loop: Header=BB4_4388 Depth=2
	s_andn2_saveexec_b64 s[18:19], s[88:89]
; %bb.4620:                             ;   in Loop: Header=BB4_4388 Depth=2
	v_or_b32_e32 v3, 0x7b, v25
; %bb.4621:                             ;   in Loop: Header=BB4_4388 Depth=2
	s_or_b64 exec, exec, s[18:19]
                                        ; implicit-def: $vgpr0
.LBB4_4622:                             ;   in Loop: Header=BB4_4388 Depth=2
	s_andn2_saveexec_b64 s[18:19], s[78:79]
	s_cbranch_execz .LBB4_4628
; %bb.4623:                             ;   in Loop: Header=BB4_4388 Depth=2
	v_cmp_ne_u64_e32 vcc, 0, v[50:51]
                                        ; implicit-def: $vgpr3
	s_and_saveexec_b64 s[78:79], vcc
	s_xor_b64 s[78:79], exec, s[78:79]
; %bb.4624:                             ;   in Loop: Header=BB4_4388 Depth=2
	v_or_b32_sdwa v3, v0, s54 dst_sel:DWORD dst_unused:UNUSED_PAD src0_sel:BYTE_3 src1_sel:DWORD
                                        ; implicit-def: $vgpr0
; %bb.4625:                             ;   in Loop: Header=BB4_4388 Depth=2
	s_andn2_saveexec_b64 s[78:79], s[78:79]
; %bb.4626:                             ;   in Loop: Header=BB4_4388 Depth=2
	v_cmp_lt_i32_e32 vcc, -1, v0
	v_mov_b32_e32 v0, 0x7c
	v_cndmask_b32_e32 v3, -4, v0, vcc
; %bb.4627:                             ;   in Loop: Header=BB4_4388 Depth=2
	s_or_b64 exec, exec, s[78:79]
.LBB4_4628:                             ;   in Loop: Header=BB4_4388 Depth=2
	s_or_b64 exec, exec, s[18:19]
	v_cmp_ne_u16_e32 vcc, 0, v58
	v_mov_b32_e32 v0, 0
	v_mov_b32_e32 v1, 0
	s_and_saveexec_b64 s[18:19], vcc
	s_cbranch_execz .LBB4_4636
; %bb.4629:                             ;   in Loop: Header=BB4_4388 Depth=2
	v_cmp_ne_u16_e32 vcc, s49, v58
	v_bfrev_b32_e32 v1, 1
	s_and_saveexec_b64 s[78:79], vcc
	s_cbranch_execz .LBB4_4635
; %bb.4630:                             ;   in Loop: Header=BB4_4388 Depth=2
	v_and_b32_e32 v1, 0x7c, v58
	v_and_b32_e32 v2, 3, v58
	v_cmp_ne_u32_e32 vcc, s50, v1
                                        ; implicit-def: $vgpr1
	s_and_saveexec_b64 s[88:89], vcc
	s_xor_b64 s[88:89], exec, s[88:89]
	s_cbranch_execz .LBB4_4632
; %bb.4631:                             ;   in Loop: Header=BB4_4388 Depth=2
	v_ffbh_u32_e32 v25, v2
	v_min_u32_e32 v25, 32, v25
	v_and_b32_e32 v1, 0xff, v58
	v_mov_b32_e32 v59, v51
	v_subrev_u32_e32 v28, 29, v25
	v_bfe_u32 v1, v1, 2, 5
	v_lshlrev_b64 v[28:29], v28, v[58:59]
	v_sub_u32_e32 v25, 30, v25
	v_cmp_eq_u32_e32 vcc, 0, v1
	v_and_b32_e32 v28, 3, v28
	v_cndmask_b32_e32 v1, v1, v25, vcc
	v_and_b32_sdwa v25, sext(v58), s51 dst_sel:DWORD dst_unused:UNUSED_PAD src0_sel:WORD_0 src1_sel:DWORD
	v_cndmask_b32_e32 v2, v2, v28, vcc
	v_lshl_add_u32 v1, v1, 23, v25
	v_lshl_or_b32 v1, v2, 21, v1
	v_add_u32_e32 v1, 0x38000000, v1
                                        ; implicit-def: $vgpr2
                                        ; implicit-def: $vgpr58
.LBB4_4632:                             ;   in Loop: Header=BB4_4388 Depth=2
	s_andn2_saveexec_b64 s[88:89], s[88:89]
; %bb.4633:                             ;   in Loop: Header=BB4_4388 Depth=2
	v_cmp_lt_i16_e32 vcc, -1, v58
	v_cndmask_b32_e32 v1, v5, v36, vcc
	v_cmp_eq_u32_e32 vcc, 0, v2
	v_cndmask_b32_e32 v1, v37, v1, vcc
; %bb.4634:                             ;   in Loop: Header=BB4_4388 Depth=2
	s_or_b64 exec, exec, s[88:89]
.LBB4_4635:                             ;   in Loop: Header=BB4_4388 Depth=2
	s_or_b64 exec, exec, s[78:79]
.LBB4_4636:                             ;   in Loop: Header=BB4_4388 Depth=2
	s_or_b64 exec, exec, s[18:19]
	v_cmp_ne_u16_e32 vcc, 0, v57
	s_and_saveexec_b64 s[18:19], vcc
	s_cbranch_execz .LBB4_4644
; %bb.4637:                             ;   in Loop: Header=BB4_4388 Depth=2
	v_cmp_ne_u16_e32 vcc, s49, v57
	v_bfrev_b32_e32 v0, 1
	s_and_saveexec_b64 s[78:79], vcc
	s_cbranch_execz .LBB4_4643
; %bb.4638:                             ;   in Loop: Header=BB4_4388 Depth=2
	v_and_b32_e32 v0, 0x7c, v57
	v_and_b32_e32 v2, 3, v57
	v_cmp_ne_u32_e32 vcc, s50, v0
                                        ; implicit-def: $vgpr0
	s_and_saveexec_b64 s[88:89], vcc
	s_xor_b64 s[88:89], exec, s[88:89]
	s_cbranch_execz .LBB4_4640
; %bb.4639:                             ;   in Loop: Header=BB4_4388 Depth=2
	v_ffbh_u32_e32 v25, v2
	v_min_u32_e32 v25, 32, v25
	v_and_b32_e32 v0, 0xff, v57
	v_mov_b32_e32 v58, v51
	v_subrev_u32_e32 v28, 29, v25
	v_bfe_u32 v0, v0, 2, 5
	v_lshlrev_b64 v[28:29], v28, v[57:58]
	v_sub_u32_e32 v25, 30, v25
	v_cmp_eq_u32_e32 vcc, 0, v0
	v_and_b32_e32 v28, 3, v28
	v_cndmask_b32_e32 v0, v0, v25, vcc
	v_and_b32_sdwa v25, sext(v57), s51 dst_sel:DWORD dst_unused:UNUSED_PAD src0_sel:WORD_0 src1_sel:DWORD
	v_cndmask_b32_e32 v2, v2, v28, vcc
	v_lshl_add_u32 v0, v0, 23, v25
	v_lshl_or_b32 v0, v2, 21, v0
	v_add_u32_e32 v0, 0x38000000, v0
                                        ; implicit-def: $vgpr2
                                        ; implicit-def: $vgpr57
.LBB4_4640:                             ;   in Loop: Header=BB4_4388 Depth=2
	s_andn2_saveexec_b64 s[88:89], s[88:89]
; %bb.4641:                             ;   in Loop: Header=BB4_4388 Depth=2
	v_cmp_lt_i16_e32 vcc, -1, v57
	v_cndmask_b32_e32 v0, v5, v36, vcc
	v_cmp_eq_u32_e32 vcc, 0, v2
	v_cndmask_b32_e32 v0, v37, v0, vcc
; %bb.4642:                             ;   in Loop: Header=BB4_4388 Depth=2
	s_or_b64 exec, exec, s[88:89]
.LBB4_4643:                             ;   in Loop: Header=BB4_4388 Depth=2
	s_or_b64 exec, exec, s[78:79]
.LBB4_4644:                             ;   in Loop: Header=BB4_4388 Depth=2
	s_or_b64 exec, exec, s[18:19]
	v_mul_f32_e32 v0, v1, v0
	v_and_b32_e32 v1, 0x7f800000, v0
	v_mov_b32_e32 v2, v51
	v_cmp_ne_u64_e32 vcc, s[58:59], v[1:2]
	v_and_b32_e32 v50, 0x7fffff, v0
                                        ; implicit-def: $vgpr28
	s_and_saveexec_b64 s[18:19], vcc
	s_xor_b64 s[78:79], exec, s[18:19]
	s_cbranch_execz .LBB4_4662
; %bb.4645:                             ;   in Loop: Header=BB4_4388 Depth=2
	v_and_b32_e32 v1, 0x7fffffff, v0
	v_mov_b32_e32 v2, v51
	v_cmp_gt_u64_e32 vcc, s[60:61], v[1:2]
	v_and_b32_sdwa v25, v0, s52 dst_sel:DWORD dst_unused:UNUSED_PAD src0_sel:BYTE_3 src1_sel:DWORD
                                        ; implicit-def: $vgpr28
	s_and_saveexec_b64 s[18:19], vcc
	s_xor_b64 s[88:89], exec, s[18:19]
	s_cbranch_execz .LBB4_4659
; %bb.4646:                             ;   in Loop: Header=BB4_4388 Depth=2
	v_cmp_ne_u32_e32 vcc, 0, v0
	v_mov_b32_e32 v28, 0
	s_and_saveexec_b64 s[90:91], vcc
	s_cbranch_execz .LBB4_4658
; %bb.4647:                             ;   in Loop: Header=BB4_4388 Depth=2
	v_bfe_u32 v28, v0, 23, 8
	v_cmp_gt_u32_e64 s[18:19], s53, v28
	v_sub_u32_e32 v0, 0x71, v28
	v_cmp_eq_u32_e32 vcc, 0, v28
	v_cndmask_b32_e64 v0, 0, v0, s[18:19]
	v_mov_b32_e32 v2, 0x70
	v_cndmask_b32_e32 v29, v0, v2, vcc
	v_or_b32_e32 v1, 0x800000, v50
	v_add_u32_e32 v0, 21, v29
	v_cndmask_b32_e32 v50, v1, v50, vcc
	v_lshlrev_b64 v[0:1], v0, -1
	v_add_u32_e32 v2, 20, v29
	v_lshlrev_b64 v[30:31], v2, 1
	v_bfi_b32 v1, v1, 0, 0
	v_bfi_b32 v0, v0, 0, v50
	v_cmp_eq_u64_e64 s[18:19], v[0:1], v[30:31]
	v_lshrrev_b64 v[0:1], v29, v[50:51]
	v_mov_b32_e32 v2, v1
	v_mov_b32_e32 v1, v0
	s_and_saveexec_b64 s[92:93], s[18:19]
; %bb.4648:                             ;   in Loop: Header=BB4_4388 Depth=2
	v_bfe_u32 v1, v0, 21, 1
	v_add_co_u32_e64 v1, s[18:19], v0, v1
	v_add_co_u32_e64 v1, s[18:19], -1, v1
; %bb.4649:                             ;   in Loop: Header=BB4_4388 Depth=2
	s_or_b64 exec, exec, s[92:93]
	v_add_u32_e32 v2, 0xffffff81, v28
	v_mov_b32_e32 v28, 0xffffff82
	v_cndmask_b32_e32 v2, v2, v28, vcc
	v_lshrrev_b32_e32 v28, 23, v0
	v_add3_u32 v29, v29, v2, v28
	v_add_u32_e32 v28, 14, v29
	v_and_b32_e32 v1, 0x1fffff, v1
	v_add_u32_e32 v50, v1, v0
	v_cmp_ne_u32_e32 vcc, 0, v28
                                        ; implicit-def: $vgpr0_vgpr1
                                        ; implicit-def: $vgpr2
	s_and_saveexec_b64 s[18:19], vcc
	s_xor_b64 s[18:19], exec, s[18:19]
; %bb.4650:                             ;   in Loop: Header=BB4_4388 Depth=2
	v_cmp_lt_u64_e32 vcc, s[62:63], v[50:51]
	v_add_u32_e32 v0, 15, v29
	v_cndmask_b32_e32 v2, v28, v0, vcc
	v_cndmask_b32_e64 v0, 0, 1, vcc
	v_lshrrev_b64 v[0:1], v0, v[50:51]
; %bb.4651:                             ;   in Loop: Header=BB4_4388 Depth=2
	s_andn2_saveexec_b64 s[18:19], s[18:19]
; %bb.4652:                             ;   in Loop: Header=BB4_4388 Depth=2
	v_mov_b32_e32 v0, v50
	v_bfe_u32 v2, v50, 23, 1
	v_mov_b32_e32 v1, v51
; %bb.4653:                             ;   in Loop: Header=BB4_4388 Depth=2
	s_or_b64 exec, exec, s[18:19]
	v_lshrrev_b64 v[0:1], 21, v[0:1]
	v_cmp_gt_i32_e32 vcc, 32, v2
	v_cndmask_b32_e32 v1, 0, v1, vcc
	v_cndmask_b32_e32 v0, 3, v0, vcc
	v_cmp_ne_u64_e32 vcc, 0, v[0:1]
	v_cmp_ne_u32_e64 s[18:19], 0, v2
	s_or_b64 s[18:19], s[18:19], vcc
                                        ; implicit-def: $vgpr28
	s_and_saveexec_b64 s[92:93], s[18:19]
	s_xor_b64 s[18:19], exec, s[92:93]
; %bb.4654:                             ;   in Loop: Header=BB4_4388 Depth=2
	v_min_i32_e32 v1, 31, v2
	v_lshl_or_b32 v1, v1, 2, v25
	v_and_or_b32 v28, v0, 3, v1
                                        ; implicit-def: $vgpr25
; %bb.4655:                             ;   in Loop: Header=BB4_4388 Depth=2
	s_andn2_saveexec_b64 s[18:19], s[18:19]
; %bb.4656:                             ;   in Loop: Header=BB4_4388 Depth=2
	v_mov_b32_e32 v28, v25
; %bb.4657:                             ;   in Loop: Header=BB4_4388 Depth=2
	s_or_b64 exec, exec, s[18:19]
.LBB4_4658:                             ;   in Loop: Header=BB4_4388 Depth=2
	s_or_b64 exec, exec, s[90:91]
                                        ; implicit-def: $vgpr25
.LBB4_4659:                             ;   in Loop: Header=BB4_4388 Depth=2
	s_andn2_saveexec_b64 s[18:19], s[88:89]
; %bb.4660:                             ;   in Loop: Header=BB4_4388 Depth=2
	v_or_b32_e32 v28, 0x7b, v25
; %bb.4661:                             ;   in Loop: Header=BB4_4388 Depth=2
	s_or_b64 exec, exec, s[18:19]
                                        ; implicit-def: $vgpr0
.LBB4_4662:                             ;   in Loop: Header=BB4_4388 Depth=2
	s_andn2_saveexec_b64 s[18:19], s[78:79]
	s_cbranch_execz .LBB4_4668
; %bb.4663:                             ;   in Loop: Header=BB4_4388 Depth=2
	v_cmp_ne_u64_e32 vcc, 0, v[50:51]
                                        ; implicit-def: $vgpr28
	s_and_saveexec_b64 s[78:79], vcc
	s_xor_b64 s[78:79], exec, s[78:79]
; %bb.4664:                             ;   in Loop: Header=BB4_4388 Depth=2
	v_or_b32_sdwa v28, v0, s54 dst_sel:DWORD dst_unused:UNUSED_PAD src0_sel:BYTE_3 src1_sel:DWORD
                                        ; implicit-def: $vgpr0
; %bb.4665:                             ;   in Loop: Header=BB4_4388 Depth=2
	s_andn2_saveexec_b64 s[78:79], s[78:79]
; %bb.4666:                             ;   in Loop: Header=BB4_4388 Depth=2
	v_cmp_lt_i32_e32 vcc, -1, v0
	v_mov_b32_e32 v0, 0x7c
	v_cndmask_b32_e32 v28, -4, v0, vcc
; %bb.4667:                             ;   in Loop: Header=BB4_4388 Depth=2
	s_or_b64 exec, exec, s[78:79]
.LBB4_4668:                             ;   in Loop: Header=BB4_4388 Depth=2
	s_or_b64 exec, exec, s[18:19]
	v_cmp_ne_u16_e32 vcc, 0, v56
	v_mov_b32_e32 v0, 0
	v_mov_b32_e32 v1, 0
	s_and_saveexec_b64 s[18:19], vcc
	s_cbranch_execz .LBB4_4676
; %bb.4669:                             ;   in Loop: Header=BB4_4388 Depth=2
	v_cmp_ne_u16_e32 vcc, s49, v56
	v_bfrev_b32_e32 v1, 1
	s_and_saveexec_b64 s[78:79], vcc
	s_cbranch_execz .LBB4_4675
; %bb.4670:                             ;   in Loop: Header=BB4_4388 Depth=2
	v_and_b32_e32 v1, 0x7c, v56
	v_and_b32_e32 v2, 3, v56
	v_cmp_ne_u32_e32 vcc, s50, v1
                                        ; implicit-def: $vgpr1
	s_and_saveexec_b64 s[88:89], vcc
	s_xor_b64 s[88:89], exec, s[88:89]
	s_cbranch_execz .LBB4_4672
; %bb.4671:                             ;   in Loop: Header=BB4_4388 Depth=2
	v_ffbh_u32_e32 v25, v2
	v_min_u32_e32 v25, 32, v25
	v_and_b32_e32 v1, 0xff, v56
	v_mov_b32_e32 v57, v51
	v_subrev_u32_e32 v29, 29, v25
	v_bfe_u32 v1, v1, 2, 5
	v_lshlrev_b64 v[29:30], v29, v[56:57]
	v_sub_u32_e32 v25, 30, v25
	v_cmp_eq_u32_e32 vcc, 0, v1
	v_and_b32_e32 v29, 3, v29
	v_cndmask_b32_e32 v1, v1, v25, vcc
	v_and_b32_sdwa v25, sext(v56), s51 dst_sel:DWORD dst_unused:UNUSED_PAD src0_sel:WORD_0 src1_sel:DWORD
	v_cndmask_b32_e32 v2, v2, v29, vcc
	v_lshl_add_u32 v1, v1, 23, v25
	v_lshl_or_b32 v1, v2, 21, v1
	v_add_u32_e32 v1, 0x38000000, v1
                                        ; implicit-def: $vgpr2
                                        ; implicit-def: $vgpr56
.LBB4_4672:                             ;   in Loop: Header=BB4_4388 Depth=2
	s_andn2_saveexec_b64 s[88:89], s[88:89]
; %bb.4673:                             ;   in Loop: Header=BB4_4388 Depth=2
	v_cmp_lt_i16_e32 vcc, -1, v56
	v_cndmask_b32_e32 v1, v5, v36, vcc
	v_cmp_eq_u32_e32 vcc, 0, v2
	v_cndmask_b32_e32 v1, v37, v1, vcc
; %bb.4674:                             ;   in Loop: Header=BB4_4388 Depth=2
	s_or_b64 exec, exec, s[88:89]
.LBB4_4675:                             ;   in Loop: Header=BB4_4388 Depth=2
	s_or_b64 exec, exec, s[78:79]
.LBB4_4676:                             ;   in Loop: Header=BB4_4388 Depth=2
	s_or_b64 exec, exec, s[18:19]
	v_cmp_ne_u16_e32 vcc, 0, v55
	s_and_saveexec_b64 s[18:19], vcc
	s_cbranch_execz .LBB4_4684
; %bb.4677:                             ;   in Loop: Header=BB4_4388 Depth=2
	v_cmp_ne_u16_e32 vcc, s49, v55
	v_bfrev_b32_e32 v0, 1
	s_and_saveexec_b64 s[78:79], vcc
	s_cbranch_execz .LBB4_4683
; %bb.4678:                             ;   in Loop: Header=BB4_4388 Depth=2
	v_and_b32_e32 v0, 0x7c, v55
	v_and_b32_e32 v2, 3, v55
	v_cmp_ne_u32_e32 vcc, s50, v0
                                        ; implicit-def: $vgpr0
	s_and_saveexec_b64 s[88:89], vcc
	s_xor_b64 s[88:89], exec, s[88:89]
	s_cbranch_execz .LBB4_4680
; %bb.4679:                             ;   in Loop: Header=BB4_4388 Depth=2
	v_ffbh_u32_e32 v25, v2
	v_min_u32_e32 v25, 32, v25
	v_and_b32_e32 v0, 0xff, v55
	v_mov_b32_e32 v56, v51
	v_subrev_u32_e32 v29, 29, v25
	v_bfe_u32 v0, v0, 2, 5
	v_lshlrev_b64 v[29:30], v29, v[55:56]
	v_sub_u32_e32 v25, 30, v25
	v_cmp_eq_u32_e32 vcc, 0, v0
	v_and_b32_e32 v29, 3, v29
	v_cndmask_b32_e32 v0, v0, v25, vcc
	v_and_b32_sdwa v25, sext(v55), s51 dst_sel:DWORD dst_unused:UNUSED_PAD src0_sel:WORD_0 src1_sel:DWORD
	v_cndmask_b32_e32 v2, v2, v29, vcc
	v_lshl_add_u32 v0, v0, 23, v25
	v_lshl_or_b32 v0, v2, 21, v0
	v_add_u32_e32 v0, 0x38000000, v0
                                        ; implicit-def: $vgpr2
                                        ; implicit-def: $vgpr55
.LBB4_4680:                             ;   in Loop: Header=BB4_4388 Depth=2
	s_andn2_saveexec_b64 s[88:89], s[88:89]
; %bb.4681:                             ;   in Loop: Header=BB4_4388 Depth=2
	v_cmp_lt_i16_e32 vcc, -1, v55
	v_cndmask_b32_e32 v0, v5, v36, vcc
	v_cmp_eq_u32_e32 vcc, 0, v2
	v_cndmask_b32_e32 v0, v37, v0, vcc
; %bb.4682:                             ;   in Loop: Header=BB4_4388 Depth=2
	s_or_b64 exec, exec, s[88:89]
.LBB4_4683:                             ;   in Loop: Header=BB4_4388 Depth=2
	s_or_b64 exec, exec, s[78:79]
.LBB4_4684:                             ;   in Loop: Header=BB4_4388 Depth=2
	s_or_b64 exec, exec, s[18:19]
	v_mul_f32_e32 v0, v1, v0
	v_and_b32_e32 v1, 0x7f800000, v0
	v_mov_b32_e32 v2, v51
	v_cmp_ne_u64_e32 vcc, s[58:59], v[1:2]
	v_and_b32_e32 v50, 0x7fffff, v0
                                        ; implicit-def: $vgpr29
	s_and_saveexec_b64 s[18:19], vcc
	s_xor_b64 s[78:79], exec, s[18:19]
	s_cbranch_execz .LBB4_4702
; %bb.4685:                             ;   in Loop: Header=BB4_4388 Depth=2
	v_and_b32_e32 v1, 0x7fffffff, v0
	v_mov_b32_e32 v2, v51
	v_cmp_gt_u64_e32 vcc, s[60:61], v[1:2]
	v_and_b32_sdwa v25, v0, s52 dst_sel:DWORD dst_unused:UNUSED_PAD src0_sel:BYTE_3 src1_sel:DWORD
                                        ; implicit-def: $vgpr29
	s_and_saveexec_b64 s[18:19], vcc
	s_xor_b64 s[88:89], exec, s[18:19]
	s_cbranch_execz .LBB4_4699
; %bb.4686:                             ;   in Loop: Header=BB4_4388 Depth=2
	v_cmp_ne_u32_e32 vcc, 0, v0
	v_mov_b32_e32 v29, 0
	s_and_saveexec_b64 s[90:91], vcc
	s_cbranch_execz .LBB4_4698
; %bb.4687:                             ;   in Loop: Header=BB4_4388 Depth=2
	v_bfe_u32 v29, v0, 23, 8
	v_cmp_gt_u32_e64 s[18:19], s53, v29
	v_sub_u32_e32 v0, 0x71, v29
	v_cmp_eq_u32_e32 vcc, 0, v29
	v_cndmask_b32_e64 v0, 0, v0, s[18:19]
	v_mov_b32_e32 v2, 0x70
	v_cndmask_b32_e32 v30, v0, v2, vcc
	v_or_b32_e32 v1, 0x800000, v50
	v_add_u32_e32 v0, 21, v30
	v_cndmask_b32_e32 v50, v1, v50, vcc
	v_lshlrev_b64 v[0:1], v0, -1
	v_add_u32_e32 v2, 20, v30
	v_lshlrev_b64 v[55:56], v2, 1
	v_bfi_b32 v1, v1, 0, 0
	v_bfi_b32 v0, v0, 0, v50
	v_cmp_eq_u64_e64 s[18:19], v[0:1], v[55:56]
	v_lshrrev_b64 v[0:1], v30, v[50:51]
	v_mov_b32_e32 v2, v1
	v_mov_b32_e32 v1, v0
	s_and_saveexec_b64 s[92:93], s[18:19]
; %bb.4688:                             ;   in Loop: Header=BB4_4388 Depth=2
	v_bfe_u32 v1, v0, 21, 1
	v_add_co_u32_e64 v1, s[18:19], v0, v1
	v_add_co_u32_e64 v1, s[18:19], -1, v1
; %bb.4689:                             ;   in Loop: Header=BB4_4388 Depth=2
	s_or_b64 exec, exec, s[92:93]
	v_add_u32_e32 v2, 0xffffff81, v29
	v_mov_b32_e32 v29, 0xffffff82
	v_cndmask_b32_e32 v2, v2, v29, vcc
	v_lshrrev_b32_e32 v29, 23, v0
	v_add3_u32 v30, v30, v2, v29
	v_add_u32_e32 v29, 14, v30
	v_and_b32_e32 v1, 0x1fffff, v1
	v_add_u32_e32 v50, v1, v0
	v_cmp_ne_u32_e32 vcc, 0, v29
                                        ; implicit-def: $vgpr0_vgpr1
                                        ; implicit-def: $vgpr2
	s_and_saveexec_b64 s[18:19], vcc
	s_xor_b64 s[18:19], exec, s[18:19]
; %bb.4690:                             ;   in Loop: Header=BB4_4388 Depth=2
	v_cmp_lt_u64_e32 vcc, s[62:63], v[50:51]
	v_add_u32_e32 v0, 15, v30
	v_cndmask_b32_e32 v2, v29, v0, vcc
	v_cndmask_b32_e64 v0, 0, 1, vcc
	v_lshrrev_b64 v[0:1], v0, v[50:51]
; %bb.4691:                             ;   in Loop: Header=BB4_4388 Depth=2
	s_andn2_saveexec_b64 s[18:19], s[18:19]
; %bb.4692:                             ;   in Loop: Header=BB4_4388 Depth=2
	v_mov_b32_e32 v0, v50
	v_bfe_u32 v2, v50, 23, 1
	v_mov_b32_e32 v1, v51
; %bb.4693:                             ;   in Loop: Header=BB4_4388 Depth=2
	s_or_b64 exec, exec, s[18:19]
	v_lshrrev_b64 v[0:1], 21, v[0:1]
	v_cmp_gt_i32_e32 vcc, 32, v2
	v_cndmask_b32_e32 v1, 0, v1, vcc
	v_cndmask_b32_e32 v0, 3, v0, vcc
	v_cmp_ne_u64_e32 vcc, 0, v[0:1]
	v_cmp_ne_u32_e64 s[18:19], 0, v2
	s_or_b64 s[18:19], s[18:19], vcc
                                        ; implicit-def: $vgpr29
	s_and_saveexec_b64 s[92:93], s[18:19]
	s_xor_b64 s[18:19], exec, s[92:93]
; %bb.4694:                             ;   in Loop: Header=BB4_4388 Depth=2
	v_min_i32_e32 v1, 31, v2
	v_lshl_or_b32 v1, v1, 2, v25
	v_and_or_b32 v29, v0, 3, v1
                                        ; implicit-def: $vgpr25
; %bb.4695:                             ;   in Loop: Header=BB4_4388 Depth=2
	s_andn2_saveexec_b64 s[18:19], s[18:19]
; %bb.4696:                             ;   in Loop: Header=BB4_4388 Depth=2
	v_mov_b32_e32 v29, v25
; %bb.4697:                             ;   in Loop: Header=BB4_4388 Depth=2
	s_or_b64 exec, exec, s[18:19]
.LBB4_4698:                             ;   in Loop: Header=BB4_4388 Depth=2
	s_or_b64 exec, exec, s[90:91]
                                        ; implicit-def: $vgpr25
.LBB4_4699:                             ;   in Loop: Header=BB4_4388 Depth=2
	s_andn2_saveexec_b64 s[18:19], s[88:89]
; %bb.4700:                             ;   in Loop: Header=BB4_4388 Depth=2
	v_or_b32_e32 v29, 0x7b, v25
; %bb.4701:                             ;   in Loop: Header=BB4_4388 Depth=2
	s_or_b64 exec, exec, s[18:19]
                                        ; implicit-def: $vgpr0
.LBB4_4702:                             ;   in Loop: Header=BB4_4388 Depth=2
	s_andn2_saveexec_b64 s[18:19], s[78:79]
	s_cbranch_execz .LBB4_4708
; %bb.4703:                             ;   in Loop: Header=BB4_4388 Depth=2
	v_cmp_ne_u64_e32 vcc, 0, v[50:51]
                                        ; implicit-def: $vgpr29
	s_and_saveexec_b64 s[78:79], vcc
	s_xor_b64 s[78:79], exec, s[78:79]
; %bb.4704:                             ;   in Loop: Header=BB4_4388 Depth=2
	v_or_b32_sdwa v29, v0, s54 dst_sel:DWORD dst_unused:UNUSED_PAD src0_sel:BYTE_3 src1_sel:DWORD
                                        ; implicit-def: $vgpr0
; %bb.4705:                             ;   in Loop: Header=BB4_4388 Depth=2
	s_andn2_saveexec_b64 s[78:79], s[78:79]
; %bb.4706:                             ;   in Loop: Header=BB4_4388 Depth=2
	v_cmp_lt_i32_e32 vcc, -1, v0
	v_mov_b32_e32 v0, 0x7c
	v_cndmask_b32_e32 v29, -4, v0, vcc
; %bb.4707:                             ;   in Loop: Header=BB4_4388 Depth=2
	s_or_b64 exec, exec, s[78:79]
.LBB4_4708:                             ;   in Loop: Header=BB4_4388 Depth=2
	s_or_b64 exec, exec, s[18:19]
	v_cmp_ne_u16_e32 vcc, 0, v46
	v_mov_b32_e32 v0, 0
	v_mov_b32_e32 v1, 0
	s_and_saveexec_b64 s[18:19], vcc
	s_cbranch_execz .LBB4_4716
; %bb.4709:                             ;   in Loop: Header=BB4_4388 Depth=2
	v_cmp_ne_u16_e32 vcc, s49, v46
	v_bfrev_b32_e32 v1, 1
	s_and_saveexec_b64 s[78:79], vcc
	s_cbranch_execz .LBB4_4715
; %bb.4710:                             ;   in Loop: Header=BB4_4388 Depth=2
	v_and_b32_e32 v1, 0x7c, v46
	v_and_b32_e32 v2, 3, v46
	v_cmp_ne_u32_e32 vcc, s50, v1
                                        ; implicit-def: $vgpr1
	s_and_saveexec_b64 s[88:89], vcc
	s_xor_b64 s[88:89], exec, s[88:89]
	s_cbranch_execz .LBB4_4712
; %bb.4711:                             ;   in Loop: Header=BB4_4388 Depth=2
	v_ffbh_u32_e32 v25, v2
	v_min_u32_e32 v25, 32, v25
	v_and_b32_e32 v1, 0xff, v46
	v_mov_b32_e32 v47, v51
	v_subrev_u32_e32 v30, 29, v25
	v_bfe_u32 v1, v1, 2, 5
	v_lshlrev_b64 v[30:31], v30, v[46:47]
	v_sub_u32_e32 v25, 30, v25
	v_cmp_eq_u32_e32 vcc, 0, v1
	v_and_b32_e32 v30, 3, v30
	v_cndmask_b32_e32 v1, v1, v25, vcc
	v_and_b32_sdwa v25, sext(v46), s51 dst_sel:DWORD dst_unused:UNUSED_PAD src0_sel:WORD_0 src1_sel:DWORD
	v_cndmask_b32_e32 v2, v2, v30, vcc
	v_lshl_add_u32 v1, v1, 23, v25
	v_lshl_or_b32 v1, v2, 21, v1
	v_add_u32_e32 v1, 0x38000000, v1
                                        ; implicit-def: $vgpr2
                                        ; implicit-def: $vgpr46
.LBB4_4712:                             ;   in Loop: Header=BB4_4388 Depth=2
	s_andn2_saveexec_b64 s[88:89], s[88:89]
; %bb.4713:                             ;   in Loop: Header=BB4_4388 Depth=2
	v_cmp_lt_i16_e32 vcc, -1, v46
	v_cndmask_b32_e32 v1, v5, v36, vcc
	v_cmp_eq_u32_e32 vcc, 0, v2
	v_cndmask_b32_e32 v1, v37, v1, vcc
; %bb.4714:                             ;   in Loop: Header=BB4_4388 Depth=2
	s_or_b64 exec, exec, s[88:89]
.LBB4_4715:                             ;   in Loop: Header=BB4_4388 Depth=2
	s_or_b64 exec, exec, s[78:79]
.LBB4_4716:                             ;   in Loop: Header=BB4_4388 Depth=2
	s_or_b64 exec, exec, s[18:19]
	v_cmp_ne_u16_e32 vcc, 0, v45
	s_and_saveexec_b64 s[18:19], vcc
	s_cbranch_execz .LBB4_4724
; %bb.4717:                             ;   in Loop: Header=BB4_4388 Depth=2
	v_cmp_ne_u16_e32 vcc, s49, v45
	v_bfrev_b32_e32 v0, 1
	s_and_saveexec_b64 s[78:79], vcc
	s_cbranch_execz .LBB4_4723
; %bb.4718:                             ;   in Loop: Header=BB4_4388 Depth=2
	v_and_b32_e32 v0, 0x7c, v45
	v_and_b32_e32 v2, 3, v45
	v_cmp_ne_u32_e32 vcc, s50, v0
                                        ; implicit-def: $vgpr0
	s_and_saveexec_b64 s[88:89], vcc
	s_xor_b64 s[88:89], exec, s[88:89]
	s_cbranch_execz .LBB4_4720
; %bb.4719:                             ;   in Loop: Header=BB4_4388 Depth=2
	v_ffbh_u32_e32 v25, v2
	v_min_u32_e32 v25, 32, v25
	v_and_b32_e32 v0, 0xff, v45
	v_mov_b32_e32 v46, v51
	v_subrev_u32_e32 v30, 29, v25
	v_bfe_u32 v0, v0, 2, 5
	v_lshlrev_b64 v[30:31], v30, v[45:46]
	v_sub_u32_e32 v25, 30, v25
	v_cmp_eq_u32_e32 vcc, 0, v0
	v_and_b32_e32 v30, 3, v30
	v_cndmask_b32_e32 v0, v0, v25, vcc
	v_and_b32_sdwa v25, sext(v45), s51 dst_sel:DWORD dst_unused:UNUSED_PAD src0_sel:WORD_0 src1_sel:DWORD
	v_cndmask_b32_e32 v2, v2, v30, vcc
	v_lshl_add_u32 v0, v0, 23, v25
	v_lshl_or_b32 v0, v2, 21, v0
	v_add_u32_e32 v0, 0x38000000, v0
                                        ; implicit-def: $vgpr2
                                        ; implicit-def: $vgpr45
.LBB4_4720:                             ;   in Loop: Header=BB4_4388 Depth=2
	s_andn2_saveexec_b64 s[88:89], s[88:89]
; %bb.4721:                             ;   in Loop: Header=BB4_4388 Depth=2
	v_cmp_lt_i16_e32 vcc, -1, v45
	v_cndmask_b32_e32 v0, v5, v36, vcc
	v_cmp_eq_u32_e32 vcc, 0, v2
	v_cndmask_b32_e32 v0, v37, v0, vcc
; %bb.4722:                             ;   in Loop: Header=BB4_4388 Depth=2
	s_or_b64 exec, exec, s[88:89]
.LBB4_4723:                             ;   in Loop: Header=BB4_4388 Depth=2
	s_or_b64 exec, exec, s[78:79]
.LBB4_4724:                             ;   in Loop: Header=BB4_4388 Depth=2
	s_or_b64 exec, exec, s[18:19]
	v_mul_f32_e32 v0, v1, v0
	v_and_b32_e32 v1, 0x7f800000, v0
	v_mov_b32_e32 v2, v51
	v_cmp_ne_u64_e32 vcc, s[58:59], v[1:2]
	v_and_b32_e32 v50, 0x7fffff, v0
                                        ; implicit-def: $vgpr30
	s_and_saveexec_b64 s[18:19], vcc
	s_xor_b64 s[78:79], exec, s[18:19]
	s_cbranch_execz .LBB4_4742
; %bb.4725:                             ;   in Loop: Header=BB4_4388 Depth=2
	v_and_b32_e32 v1, 0x7fffffff, v0
	v_mov_b32_e32 v2, v51
	v_cmp_gt_u64_e32 vcc, s[60:61], v[1:2]
	v_and_b32_sdwa v25, v0, s52 dst_sel:DWORD dst_unused:UNUSED_PAD src0_sel:BYTE_3 src1_sel:DWORD
                                        ; implicit-def: $vgpr30
	s_and_saveexec_b64 s[18:19], vcc
	s_xor_b64 s[88:89], exec, s[18:19]
	s_cbranch_execz .LBB4_4739
; %bb.4726:                             ;   in Loop: Header=BB4_4388 Depth=2
	v_cmp_ne_u32_e32 vcc, 0, v0
	v_mov_b32_e32 v30, 0
	s_and_saveexec_b64 s[90:91], vcc
	s_cbranch_execz .LBB4_4738
; %bb.4727:                             ;   in Loop: Header=BB4_4388 Depth=2
	v_bfe_u32 v30, v0, 23, 8
	v_cmp_gt_u32_e64 s[18:19], s53, v30
	v_sub_u32_e32 v0, 0x71, v30
	v_cmp_eq_u32_e32 vcc, 0, v30
	v_cndmask_b32_e64 v0, 0, v0, s[18:19]
	v_mov_b32_e32 v2, 0x70
	v_cndmask_b32_e32 v31, v0, v2, vcc
	v_or_b32_e32 v1, 0x800000, v50
	v_add_u32_e32 v0, 21, v31
	v_cndmask_b32_e32 v50, v1, v50, vcc
	v_lshlrev_b64 v[0:1], v0, -1
	v_add_u32_e32 v2, 20, v31
	v_lshlrev_b64 v[45:46], v2, 1
	v_bfi_b32 v1, v1, 0, 0
	v_bfi_b32 v0, v0, 0, v50
	v_cmp_eq_u64_e64 s[18:19], v[0:1], v[45:46]
	v_lshrrev_b64 v[0:1], v31, v[50:51]
	v_mov_b32_e32 v2, v1
	v_mov_b32_e32 v1, v0
	s_and_saveexec_b64 s[92:93], s[18:19]
; %bb.4728:                             ;   in Loop: Header=BB4_4388 Depth=2
	v_bfe_u32 v1, v0, 21, 1
	v_add_co_u32_e64 v1, s[18:19], v0, v1
	v_add_co_u32_e64 v1, s[18:19], -1, v1
; %bb.4729:                             ;   in Loop: Header=BB4_4388 Depth=2
	s_or_b64 exec, exec, s[92:93]
	v_add_u32_e32 v2, 0xffffff81, v30
	v_mov_b32_e32 v30, 0xffffff82
	v_cndmask_b32_e32 v2, v2, v30, vcc
	v_lshrrev_b32_e32 v30, 23, v0
	v_add3_u32 v31, v31, v2, v30
	v_add_u32_e32 v30, 14, v31
	v_and_b32_e32 v1, 0x1fffff, v1
	v_add_u32_e32 v50, v1, v0
	v_cmp_ne_u32_e32 vcc, 0, v30
                                        ; implicit-def: $vgpr0_vgpr1
                                        ; implicit-def: $vgpr2
	s_and_saveexec_b64 s[18:19], vcc
	s_xor_b64 s[18:19], exec, s[18:19]
; %bb.4730:                             ;   in Loop: Header=BB4_4388 Depth=2
	v_cmp_lt_u64_e32 vcc, s[62:63], v[50:51]
	v_add_u32_e32 v0, 15, v31
	v_cndmask_b32_e32 v2, v30, v0, vcc
	v_cndmask_b32_e64 v0, 0, 1, vcc
	v_lshrrev_b64 v[0:1], v0, v[50:51]
; %bb.4731:                             ;   in Loop: Header=BB4_4388 Depth=2
	s_andn2_saveexec_b64 s[18:19], s[18:19]
; %bb.4732:                             ;   in Loop: Header=BB4_4388 Depth=2
	v_mov_b32_e32 v0, v50
	v_bfe_u32 v2, v50, 23, 1
	v_mov_b32_e32 v1, v51
; %bb.4733:                             ;   in Loop: Header=BB4_4388 Depth=2
	s_or_b64 exec, exec, s[18:19]
	v_lshrrev_b64 v[0:1], 21, v[0:1]
	v_cmp_gt_i32_e32 vcc, 32, v2
	v_cndmask_b32_e32 v1, 0, v1, vcc
	v_cndmask_b32_e32 v0, 3, v0, vcc
	v_cmp_ne_u64_e32 vcc, 0, v[0:1]
	v_cmp_ne_u32_e64 s[18:19], 0, v2
	s_or_b64 s[18:19], s[18:19], vcc
                                        ; implicit-def: $vgpr30
	s_and_saveexec_b64 s[92:93], s[18:19]
	s_xor_b64 s[18:19], exec, s[92:93]
; %bb.4734:                             ;   in Loop: Header=BB4_4388 Depth=2
	v_min_i32_e32 v1, 31, v2
	v_lshl_or_b32 v1, v1, 2, v25
	v_and_or_b32 v30, v0, 3, v1
                                        ; implicit-def: $vgpr25
; %bb.4735:                             ;   in Loop: Header=BB4_4388 Depth=2
	s_andn2_saveexec_b64 s[18:19], s[18:19]
; %bb.4736:                             ;   in Loop: Header=BB4_4388 Depth=2
	v_mov_b32_e32 v30, v25
; %bb.4737:                             ;   in Loop: Header=BB4_4388 Depth=2
	s_or_b64 exec, exec, s[18:19]
.LBB4_4738:                             ;   in Loop: Header=BB4_4388 Depth=2
	s_or_b64 exec, exec, s[90:91]
                                        ; implicit-def: $vgpr25
.LBB4_4739:                             ;   in Loop: Header=BB4_4388 Depth=2
	s_andn2_saveexec_b64 s[18:19], s[88:89]
; %bb.4740:                             ;   in Loop: Header=BB4_4388 Depth=2
	v_or_b32_e32 v30, 0x7b, v25
; %bb.4741:                             ;   in Loop: Header=BB4_4388 Depth=2
	s_or_b64 exec, exec, s[18:19]
                                        ; implicit-def: $vgpr0
.LBB4_4742:                             ;   in Loop: Header=BB4_4388 Depth=2
	s_andn2_saveexec_b64 s[18:19], s[78:79]
	s_cbranch_execz .LBB4_4748
; %bb.4743:                             ;   in Loop: Header=BB4_4388 Depth=2
	v_cmp_ne_u64_e32 vcc, 0, v[50:51]
                                        ; implicit-def: $vgpr30
	s_and_saveexec_b64 s[78:79], vcc
	s_xor_b64 s[78:79], exec, s[78:79]
; %bb.4744:                             ;   in Loop: Header=BB4_4388 Depth=2
	v_or_b32_sdwa v30, v0, s54 dst_sel:DWORD dst_unused:UNUSED_PAD src0_sel:BYTE_3 src1_sel:DWORD
                                        ; implicit-def: $vgpr0
; %bb.4745:                             ;   in Loop: Header=BB4_4388 Depth=2
	s_andn2_saveexec_b64 s[78:79], s[78:79]
; %bb.4746:                             ;   in Loop: Header=BB4_4388 Depth=2
	v_cmp_lt_i32_e32 vcc, -1, v0
	v_mov_b32_e32 v0, 0x7c
	v_cndmask_b32_e32 v30, -4, v0, vcc
; %bb.4747:                             ;   in Loop: Header=BB4_4388 Depth=2
	s_or_b64 exec, exec, s[78:79]
.LBB4_4748:                             ;   in Loop: Header=BB4_4388 Depth=2
	s_or_b64 exec, exec, s[18:19]
	v_cmp_ne_u16_e32 vcc, 0, v44
	v_mov_b32_e32 v0, 0
	v_mov_b32_e32 v1, 0
	s_and_saveexec_b64 s[18:19], vcc
	s_cbranch_execz .LBB4_4756
; %bb.4749:                             ;   in Loop: Header=BB4_4388 Depth=2
	v_cmp_ne_u16_e32 vcc, s49, v44
	v_bfrev_b32_e32 v1, 1
	s_and_saveexec_b64 s[78:79], vcc
	s_cbranch_execz .LBB4_4755
; %bb.4750:                             ;   in Loop: Header=BB4_4388 Depth=2
	v_and_b32_e32 v1, 0x7c, v44
	v_and_b32_e32 v2, 3, v44
	v_cmp_ne_u32_e32 vcc, s50, v1
                                        ; implicit-def: $vgpr1
	s_and_saveexec_b64 s[88:89], vcc
	s_xor_b64 s[88:89], exec, s[88:89]
	s_cbranch_execz .LBB4_4752
; %bb.4751:                             ;   in Loop: Header=BB4_4388 Depth=2
	v_ffbh_u32_e32 v25, v2
	v_min_u32_e32 v25, 32, v25
	v_and_b32_e32 v1, 0xff, v44
	v_mov_b32_e32 v45, v51
	v_subrev_u32_e32 v31, 29, v25
	v_bfe_u32 v1, v1, 2, 5
	v_lshlrev_b64 v[49:50], v31, v[44:45]
	v_sub_u32_e32 v25, 30, v25
	v_cmp_eq_u32_e32 vcc, 0, v1
	v_and_b32_e32 v31, 3, v49
	v_cndmask_b32_e32 v1, v1, v25, vcc
	v_and_b32_sdwa v25, sext(v44), s51 dst_sel:DWORD dst_unused:UNUSED_PAD src0_sel:WORD_0 src1_sel:DWORD
	v_cndmask_b32_e32 v2, v2, v31, vcc
	v_lshl_add_u32 v1, v1, 23, v25
	v_lshl_or_b32 v1, v2, 21, v1
	v_add_u32_e32 v1, 0x38000000, v1
                                        ; implicit-def: $vgpr2
                                        ; implicit-def: $vgpr44
.LBB4_4752:                             ;   in Loop: Header=BB4_4388 Depth=2
	s_andn2_saveexec_b64 s[88:89], s[88:89]
; %bb.4753:                             ;   in Loop: Header=BB4_4388 Depth=2
	v_cmp_lt_i16_e32 vcc, -1, v44
	v_cndmask_b32_e32 v1, v5, v36, vcc
	v_cmp_eq_u32_e32 vcc, 0, v2
	v_cndmask_b32_e32 v1, v37, v1, vcc
; %bb.4754:                             ;   in Loop: Header=BB4_4388 Depth=2
	s_or_b64 exec, exec, s[88:89]
.LBB4_4755:                             ;   in Loop: Header=BB4_4388 Depth=2
	s_or_b64 exec, exec, s[78:79]
.LBB4_4756:                             ;   in Loop: Header=BB4_4388 Depth=2
	s_or_b64 exec, exec, s[18:19]
	v_cmp_ne_u16_e32 vcc, 0, v43
	s_and_saveexec_b64 s[18:19], vcc
	s_cbranch_execz .LBB4_4764
; %bb.4757:                             ;   in Loop: Header=BB4_4388 Depth=2
	v_cmp_ne_u16_e32 vcc, s49, v43
	v_bfrev_b32_e32 v0, 1
	s_and_saveexec_b64 s[78:79], vcc
	s_cbranch_execz .LBB4_4763
; %bb.4758:                             ;   in Loop: Header=BB4_4388 Depth=2
	v_and_b32_e32 v0, 0x7c, v43
	v_and_b32_e32 v2, 3, v43
	v_cmp_ne_u32_e32 vcc, s50, v0
                                        ; implicit-def: $vgpr0
	s_and_saveexec_b64 s[88:89], vcc
	s_xor_b64 s[88:89], exec, s[88:89]
	s_cbranch_execz .LBB4_4760
; %bb.4759:                             ;   in Loop: Header=BB4_4388 Depth=2
	v_ffbh_u32_e32 v25, v2
	v_min_u32_e32 v25, 32, v25
	v_and_b32_e32 v0, 0xff, v43
	v_mov_b32_e32 v44, v51
	v_subrev_u32_e32 v31, 29, v25
	v_bfe_u32 v0, v0, 2, 5
	v_lshlrev_b64 v[49:50], v31, v[43:44]
	v_sub_u32_e32 v25, 30, v25
	v_cmp_eq_u32_e32 vcc, 0, v0
	v_and_b32_e32 v31, 3, v49
	v_cndmask_b32_e32 v0, v0, v25, vcc
	v_and_b32_sdwa v25, sext(v43), s51 dst_sel:DWORD dst_unused:UNUSED_PAD src0_sel:WORD_0 src1_sel:DWORD
	v_cndmask_b32_e32 v2, v2, v31, vcc
	v_lshl_add_u32 v0, v0, 23, v25
	v_lshl_or_b32 v0, v2, 21, v0
	v_add_u32_e32 v0, 0x38000000, v0
                                        ; implicit-def: $vgpr2
                                        ; implicit-def: $vgpr43
.LBB4_4760:                             ;   in Loop: Header=BB4_4388 Depth=2
	s_andn2_saveexec_b64 s[88:89], s[88:89]
; %bb.4761:                             ;   in Loop: Header=BB4_4388 Depth=2
	v_cmp_lt_i16_e32 vcc, -1, v43
	v_cndmask_b32_e32 v0, v5, v36, vcc
	v_cmp_eq_u32_e32 vcc, 0, v2
	v_cndmask_b32_e32 v0, v37, v0, vcc
; %bb.4762:                             ;   in Loop: Header=BB4_4388 Depth=2
	s_or_b64 exec, exec, s[88:89]
.LBB4_4763:                             ;   in Loop: Header=BB4_4388 Depth=2
	s_or_b64 exec, exec, s[78:79]
.LBB4_4764:                             ;   in Loop: Header=BB4_4388 Depth=2
	s_or_b64 exec, exec, s[18:19]
	v_mul_f32_e32 v0, v1, v0
	v_and_b32_e32 v1, 0x7f800000, v0
	v_mov_b32_e32 v2, v51
	v_cmp_ne_u64_e32 vcc, s[58:59], v[1:2]
	v_and_b32_e32 v50, 0x7fffff, v0
                                        ; implicit-def: $vgpr31
	s_and_saveexec_b64 s[18:19], vcc
	s_xor_b64 s[78:79], exec, s[18:19]
	s_cbranch_execz .LBB4_4782
; %bb.4765:                             ;   in Loop: Header=BB4_4388 Depth=2
	v_and_b32_e32 v1, 0x7fffffff, v0
	v_mov_b32_e32 v2, v51
	v_cmp_gt_u64_e32 vcc, s[60:61], v[1:2]
	v_and_b32_sdwa v25, v0, s52 dst_sel:DWORD dst_unused:UNUSED_PAD src0_sel:BYTE_3 src1_sel:DWORD
                                        ; implicit-def: $vgpr31
	s_and_saveexec_b64 s[18:19], vcc
	s_xor_b64 s[88:89], exec, s[18:19]
	s_cbranch_execz .LBB4_4779
; %bb.4766:                             ;   in Loop: Header=BB4_4388 Depth=2
	v_cmp_ne_u32_e32 vcc, 0, v0
	v_mov_b32_e32 v31, 0
	s_and_saveexec_b64 s[90:91], vcc
	s_cbranch_execz .LBB4_4778
; %bb.4767:                             ;   in Loop: Header=BB4_4388 Depth=2
	v_bfe_u32 v31, v0, 23, 8
	v_cmp_gt_u32_e64 s[18:19], s53, v31
	v_sub_u32_e32 v0, 0x71, v31
	v_cmp_eq_u32_e32 vcc, 0, v31
	v_cndmask_b32_e64 v0, 0, v0, s[18:19]
	v_mov_b32_e32 v2, 0x70
	v_cndmask_b32_e32 v49, v0, v2, vcc
	v_or_b32_e32 v1, 0x800000, v50
	v_add_u32_e32 v0, 21, v49
	v_cndmask_b32_e32 v50, v1, v50, vcc
	v_lshlrev_b64 v[0:1], v0, -1
	v_add_u32_e32 v2, 20, v49
	v_lshlrev_b64 v[43:44], v2, 1
	v_bfi_b32 v1, v1, 0, 0
	v_bfi_b32 v0, v0, 0, v50
	v_cmp_eq_u64_e64 s[18:19], v[0:1], v[43:44]
	v_lshrrev_b64 v[0:1], v49, v[50:51]
	v_mov_b32_e32 v2, v1
	v_mov_b32_e32 v1, v0
	s_and_saveexec_b64 s[92:93], s[18:19]
; %bb.4768:                             ;   in Loop: Header=BB4_4388 Depth=2
	v_bfe_u32 v1, v0, 21, 1
	v_add_co_u32_e64 v1, s[18:19], v0, v1
	v_add_co_u32_e64 v1, s[18:19], -1, v1
; %bb.4769:                             ;   in Loop: Header=BB4_4388 Depth=2
	s_or_b64 exec, exec, s[92:93]
	v_add_u32_e32 v2, 0xffffff81, v31
	v_mov_b32_e32 v31, 0xffffff82
	v_cndmask_b32_e32 v2, v2, v31, vcc
	v_lshrrev_b32_e32 v31, 23, v0
	v_add3_u32 v49, v49, v2, v31
	v_add_u32_e32 v31, 14, v49
	v_and_b32_e32 v1, 0x1fffff, v1
	v_add_u32_e32 v50, v1, v0
	v_cmp_ne_u32_e32 vcc, 0, v31
                                        ; implicit-def: $vgpr0_vgpr1
                                        ; implicit-def: $vgpr2
	s_and_saveexec_b64 s[18:19], vcc
	s_xor_b64 s[18:19], exec, s[18:19]
; %bb.4770:                             ;   in Loop: Header=BB4_4388 Depth=2
	v_cmp_lt_u64_e32 vcc, s[62:63], v[50:51]
	v_add_u32_e32 v0, 15, v49
	v_cndmask_b32_e32 v2, v31, v0, vcc
	v_cndmask_b32_e64 v0, 0, 1, vcc
	v_lshrrev_b64 v[0:1], v0, v[50:51]
; %bb.4771:                             ;   in Loop: Header=BB4_4388 Depth=2
	s_andn2_saveexec_b64 s[18:19], s[18:19]
; %bb.4772:                             ;   in Loop: Header=BB4_4388 Depth=2
	v_mov_b32_e32 v0, v50
	v_bfe_u32 v2, v50, 23, 1
	v_mov_b32_e32 v1, v51
; %bb.4773:                             ;   in Loop: Header=BB4_4388 Depth=2
	s_or_b64 exec, exec, s[18:19]
	v_lshrrev_b64 v[0:1], 21, v[0:1]
	v_cmp_gt_i32_e32 vcc, 32, v2
	v_cndmask_b32_e32 v1, 0, v1, vcc
	v_cndmask_b32_e32 v0, 3, v0, vcc
	v_cmp_ne_u64_e32 vcc, 0, v[0:1]
	v_cmp_ne_u32_e64 s[18:19], 0, v2
	s_or_b64 s[18:19], s[18:19], vcc
                                        ; implicit-def: $vgpr31
	s_and_saveexec_b64 s[92:93], s[18:19]
	s_xor_b64 s[18:19], exec, s[92:93]
; %bb.4774:                             ;   in Loop: Header=BB4_4388 Depth=2
	v_min_i32_e32 v1, 31, v2
	v_lshl_or_b32 v1, v1, 2, v25
	v_and_or_b32 v31, v0, 3, v1
                                        ; implicit-def: $vgpr25
; %bb.4775:                             ;   in Loop: Header=BB4_4388 Depth=2
	s_andn2_saveexec_b64 s[18:19], s[18:19]
; %bb.4776:                             ;   in Loop: Header=BB4_4388 Depth=2
	v_mov_b32_e32 v31, v25
; %bb.4777:                             ;   in Loop: Header=BB4_4388 Depth=2
	s_or_b64 exec, exec, s[18:19]
.LBB4_4778:                             ;   in Loop: Header=BB4_4388 Depth=2
	s_or_b64 exec, exec, s[90:91]
                                        ; implicit-def: $vgpr25
.LBB4_4779:                             ;   in Loop: Header=BB4_4388 Depth=2
	s_andn2_saveexec_b64 s[18:19], s[88:89]
; %bb.4780:                             ;   in Loop: Header=BB4_4388 Depth=2
	v_or_b32_e32 v31, 0x7b, v25
; %bb.4781:                             ;   in Loop: Header=BB4_4388 Depth=2
	s_or_b64 exec, exec, s[18:19]
                                        ; implicit-def: $vgpr0
.LBB4_4782:                             ;   in Loop: Header=BB4_4388 Depth=2
	s_andn2_saveexec_b64 s[18:19], s[78:79]
	s_cbranch_execz .LBB4_4788
; %bb.4783:                             ;   in Loop: Header=BB4_4388 Depth=2
	v_cmp_ne_u64_e32 vcc, 0, v[50:51]
                                        ; implicit-def: $vgpr31
	s_and_saveexec_b64 s[78:79], vcc
	s_xor_b64 s[78:79], exec, s[78:79]
; %bb.4784:                             ;   in Loop: Header=BB4_4388 Depth=2
	v_or_b32_sdwa v31, v0, s54 dst_sel:DWORD dst_unused:UNUSED_PAD src0_sel:BYTE_3 src1_sel:DWORD
                                        ; implicit-def: $vgpr0
; %bb.4785:                             ;   in Loop: Header=BB4_4388 Depth=2
	s_andn2_saveexec_b64 s[78:79], s[78:79]
; %bb.4786:                             ;   in Loop: Header=BB4_4388 Depth=2
	v_cmp_lt_i32_e32 vcc, -1, v0
	v_mov_b32_e32 v0, 0x7c
	v_cndmask_b32_e32 v31, -4, v0, vcc
; %bb.4787:                             ;   in Loop: Header=BB4_4388 Depth=2
	s_or_b64 exec, exec, s[78:79]
.LBB4_4788:                             ;   in Loop: Header=BB4_4388 Depth=2
	s_or_b64 exec, exec, s[18:19]
	v_cmp_ne_u16_e32 vcc, 0, v42
	v_mov_b32_e32 v0, 0
	v_mov_b32_e32 v1, 0
	s_and_saveexec_b64 s[18:19], vcc
	s_cbranch_execz .LBB4_4796
; %bb.4789:                             ;   in Loop: Header=BB4_4388 Depth=2
	v_cmp_ne_u16_e32 vcc, s49, v42
	v_bfrev_b32_e32 v1, 1
	s_and_saveexec_b64 s[78:79], vcc
	s_cbranch_execz .LBB4_4795
; %bb.4790:                             ;   in Loop: Header=BB4_4388 Depth=2
	v_and_b32_e32 v1, 0x7c, v42
	v_and_b32_e32 v2, 3, v42
	v_cmp_ne_u32_e32 vcc, s50, v1
                                        ; implicit-def: $vgpr1
	s_and_saveexec_b64 s[88:89], vcc
	s_xor_b64 s[88:89], exec, s[88:89]
	s_cbranch_execz .LBB4_4792
; %bb.4791:                             ;   in Loop: Header=BB4_4388 Depth=2
	v_ffbh_u32_e32 v25, v2
	v_min_u32_e32 v25, 32, v25
	v_and_b32_e32 v1, 0xff, v42
	v_mov_b32_e32 v43, v51
	v_subrev_u32_e32 v49, 29, v25
	v_bfe_u32 v1, v1, 2, 5
	v_lshlrev_b64 v[49:50], v49, v[42:43]
	v_sub_u32_e32 v25, 30, v25
	v_cmp_eq_u32_e32 vcc, 0, v1
	v_and_b32_e32 v49, 3, v49
	v_cndmask_b32_e32 v1, v1, v25, vcc
	v_and_b32_sdwa v25, sext(v42), s51 dst_sel:DWORD dst_unused:UNUSED_PAD src0_sel:WORD_0 src1_sel:DWORD
	v_cndmask_b32_e32 v2, v2, v49, vcc
	v_lshl_add_u32 v1, v1, 23, v25
	v_lshl_or_b32 v1, v2, 21, v1
	v_add_u32_e32 v1, 0x38000000, v1
                                        ; implicit-def: $vgpr2
                                        ; implicit-def: $vgpr42
.LBB4_4792:                             ;   in Loop: Header=BB4_4388 Depth=2
	s_andn2_saveexec_b64 s[88:89], s[88:89]
; %bb.4793:                             ;   in Loop: Header=BB4_4388 Depth=2
	v_cmp_lt_i16_e32 vcc, -1, v42
	v_cndmask_b32_e32 v1, v5, v36, vcc
	v_cmp_eq_u32_e32 vcc, 0, v2
	v_cndmask_b32_e32 v1, v37, v1, vcc
; %bb.4794:                             ;   in Loop: Header=BB4_4388 Depth=2
	s_or_b64 exec, exec, s[88:89]
.LBB4_4795:                             ;   in Loop: Header=BB4_4388 Depth=2
	s_or_b64 exec, exec, s[78:79]
.LBB4_4796:                             ;   in Loop: Header=BB4_4388 Depth=2
	s_or_b64 exec, exec, s[18:19]
	v_cmp_ne_u16_e32 vcc, 0, v41
	s_and_saveexec_b64 s[18:19], vcc
	s_cbranch_execz .LBB4_4804
; %bb.4797:                             ;   in Loop: Header=BB4_4388 Depth=2
	v_cmp_ne_u16_e32 vcc, s49, v41
	v_bfrev_b32_e32 v0, 1
	s_and_saveexec_b64 s[78:79], vcc
	s_cbranch_execz .LBB4_4803
; %bb.4798:                             ;   in Loop: Header=BB4_4388 Depth=2
	v_and_b32_e32 v0, 0x7c, v41
	v_and_b32_e32 v2, 3, v41
	v_cmp_ne_u32_e32 vcc, s50, v0
                                        ; implicit-def: $vgpr0
	s_and_saveexec_b64 s[88:89], vcc
	s_xor_b64 s[88:89], exec, s[88:89]
	s_cbranch_execz .LBB4_4800
; %bb.4799:                             ;   in Loop: Header=BB4_4388 Depth=2
	v_ffbh_u32_e32 v25, v2
	v_min_u32_e32 v25, 32, v25
	v_and_b32_e32 v0, 0xff, v41
	v_mov_b32_e32 v42, v51
	v_subrev_u32_e32 v49, 29, v25
	v_bfe_u32 v0, v0, 2, 5
	v_lshlrev_b64 v[49:50], v49, v[41:42]
	v_sub_u32_e32 v25, 30, v25
	v_cmp_eq_u32_e32 vcc, 0, v0
	v_and_b32_e32 v49, 3, v49
	v_cndmask_b32_e32 v0, v0, v25, vcc
	v_and_b32_sdwa v25, sext(v41), s51 dst_sel:DWORD dst_unused:UNUSED_PAD src0_sel:WORD_0 src1_sel:DWORD
	v_cndmask_b32_e32 v2, v2, v49, vcc
	v_lshl_add_u32 v0, v0, 23, v25
	v_lshl_or_b32 v0, v2, 21, v0
	v_add_u32_e32 v0, 0x38000000, v0
                                        ; implicit-def: $vgpr2
                                        ; implicit-def: $vgpr41
.LBB4_4800:                             ;   in Loop: Header=BB4_4388 Depth=2
	s_andn2_saveexec_b64 s[88:89], s[88:89]
; %bb.4801:                             ;   in Loop: Header=BB4_4388 Depth=2
	v_cmp_lt_i16_e32 vcc, -1, v41
	v_cndmask_b32_e32 v0, v5, v36, vcc
	v_cmp_eq_u32_e32 vcc, 0, v2
	v_cndmask_b32_e32 v0, v37, v0, vcc
; %bb.4802:                             ;   in Loop: Header=BB4_4388 Depth=2
	s_or_b64 exec, exec, s[88:89]
.LBB4_4803:                             ;   in Loop: Header=BB4_4388 Depth=2
	s_or_b64 exec, exec, s[78:79]
.LBB4_4804:                             ;   in Loop: Header=BB4_4388 Depth=2
	s_or_b64 exec, exec, s[18:19]
	v_mul_f32_e32 v0, v1, v0
	v_and_b32_e32 v1, 0x7f800000, v0
	v_mov_b32_e32 v2, v51
	v_cmp_ne_u64_e32 vcc, s[58:59], v[1:2]
	v_and_b32_e32 v50, 0x7fffff, v0
                                        ; implicit-def: $vgpr49
	s_and_saveexec_b64 s[18:19], vcc
	s_xor_b64 s[78:79], exec, s[18:19]
	s_cbranch_execz .LBB4_4822
; %bb.4805:                             ;   in Loop: Header=BB4_4388 Depth=2
	v_and_b32_e32 v1, 0x7fffffff, v0
	v_mov_b32_e32 v2, v51
	v_cmp_gt_u64_e32 vcc, s[60:61], v[1:2]
	v_and_b32_sdwa v25, v0, s52 dst_sel:DWORD dst_unused:UNUSED_PAD src0_sel:BYTE_3 src1_sel:DWORD
                                        ; implicit-def: $vgpr49
	s_and_saveexec_b64 s[18:19], vcc
	s_xor_b64 s[88:89], exec, s[18:19]
	s_cbranch_execz .LBB4_4819
; %bb.4806:                             ;   in Loop: Header=BB4_4388 Depth=2
	v_cmp_ne_u32_e32 vcc, 0, v0
	v_mov_b32_e32 v49, 0
	s_and_saveexec_b64 s[90:91], vcc
	s_cbranch_execz .LBB4_4818
; %bb.4807:                             ;   in Loop: Header=BB4_4388 Depth=2
	v_bfe_u32 v49, v0, 23, 8
	v_cmp_gt_u32_e64 s[18:19], s53, v49
	v_sub_u32_e32 v0, 0x71, v49
	v_cmp_eq_u32_e32 vcc, 0, v49
	v_cndmask_b32_e64 v0, 0, v0, s[18:19]
	v_mov_b32_e32 v2, 0x70
	v_cndmask_b32_e32 v55, v0, v2, vcc
	v_or_b32_e32 v1, 0x800000, v50
	v_add_u32_e32 v0, 21, v55
	v_cndmask_b32_e32 v50, v1, v50, vcc
	v_lshlrev_b64 v[0:1], v0, -1
	v_add_u32_e32 v2, 20, v55
	v_lshlrev_b64 v[41:42], v2, 1
	v_bfi_b32 v1, v1, 0, 0
	v_bfi_b32 v0, v0, 0, v50
	v_cmp_eq_u64_e64 s[18:19], v[0:1], v[41:42]
	v_lshrrev_b64 v[0:1], v55, v[50:51]
	v_mov_b32_e32 v2, v1
	v_mov_b32_e32 v1, v0
	s_and_saveexec_b64 s[92:93], s[18:19]
; %bb.4808:                             ;   in Loop: Header=BB4_4388 Depth=2
	v_bfe_u32 v1, v0, 21, 1
	v_add_co_u32_e64 v1, s[18:19], v0, v1
	v_add_co_u32_e64 v1, s[18:19], -1, v1
; %bb.4809:                             ;   in Loop: Header=BB4_4388 Depth=2
	s_or_b64 exec, exec, s[92:93]
	v_add_u32_e32 v2, 0xffffff81, v49
	v_mov_b32_e32 v49, 0xffffff82
	v_cndmask_b32_e32 v2, v2, v49, vcc
	v_lshrrev_b32_e32 v49, 23, v0
	v_add3_u32 v55, v55, v2, v49
	v_add_u32_e32 v49, 14, v55
	v_and_b32_e32 v1, 0x1fffff, v1
	v_add_u32_e32 v50, v1, v0
	v_cmp_ne_u32_e32 vcc, 0, v49
                                        ; implicit-def: $vgpr0_vgpr1
                                        ; implicit-def: $vgpr2
	s_and_saveexec_b64 s[18:19], vcc
	s_xor_b64 s[18:19], exec, s[18:19]
; %bb.4810:                             ;   in Loop: Header=BB4_4388 Depth=2
	v_cmp_lt_u64_e32 vcc, s[62:63], v[50:51]
	v_add_u32_e32 v0, 15, v55
	v_cndmask_b32_e32 v2, v49, v0, vcc
	v_cndmask_b32_e64 v0, 0, 1, vcc
	v_lshrrev_b64 v[0:1], v0, v[50:51]
; %bb.4811:                             ;   in Loop: Header=BB4_4388 Depth=2
	s_andn2_saveexec_b64 s[18:19], s[18:19]
; %bb.4812:                             ;   in Loop: Header=BB4_4388 Depth=2
	v_mov_b32_e32 v0, v50
	v_bfe_u32 v2, v50, 23, 1
	v_mov_b32_e32 v1, v51
; %bb.4813:                             ;   in Loop: Header=BB4_4388 Depth=2
	s_or_b64 exec, exec, s[18:19]
	v_lshrrev_b64 v[0:1], 21, v[0:1]
	v_cmp_gt_i32_e32 vcc, 32, v2
	v_cndmask_b32_e32 v1, 0, v1, vcc
	v_cndmask_b32_e32 v0, 3, v0, vcc
	v_cmp_ne_u64_e32 vcc, 0, v[0:1]
	v_cmp_ne_u32_e64 s[18:19], 0, v2
	s_or_b64 s[18:19], s[18:19], vcc
                                        ; implicit-def: $vgpr49
	s_and_saveexec_b64 s[92:93], s[18:19]
	s_xor_b64 s[18:19], exec, s[92:93]
; %bb.4814:                             ;   in Loop: Header=BB4_4388 Depth=2
	v_min_i32_e32 v1, 31, v2
	v_lshl_or_b32 v1, v1, 2, v25
	v_and_or_b32 v49, v0, 3, v1
                                        ; implicit-def: $vgpr25
; %bb.4815:                             ;   in Loop: Header=BB4_4388 Depth=2
	s_andn2_saveexec_b64 s[18:19], s[18:19]
; %bb.4816:                             ;   in Loop: Header=BB4_4388 Depth=2
	v_mov_b32_e32 v49, v25
; %bb.4817:                             ;   in Loop: Header=BB4_4388 Depth=2
	s_or_b64 exec, exec, s[18:19]
.LBB4_4818:                             ;   in Loop: Header=BB4_4388 Depth=2
	s_or_b64 exec, exec, s[90:91]
                                        ; implicit-def: $vgpr25
.LBB4_4819:                             ;   in Loop: Header=BB4_4388 Depth=2
	s_andn2_saveexec_b64 s[18:19], s[88:89]
; %bb.4820:                             ;   in Loop: Header=BB4_4388 Depth=2
	v_or_b32_e32 v49, 0x7b, v25
; %bb.4821:                             ;   in Loop: Header=BB4_4388 Depth=2
	s_or_b64 exec, exec, s[18:19]
                                        ; implicit-def: $vgpr0
.LBB4_4822:                             ;   in Loop: Header=BB4_4388 Depth=2
	s_andn2_saveexec_b64 s[18:19], s[78:79]
	s_cbranch_execz .LBB4_4828
; %bb.4823:                             ;   in Loop: Header=BB4_4388 Depth=2
	v_cmp_ne_u64_e32 vcc, 0, v[50:51]
                                        ; implicit-def: $vgpr49
	s_and_saveexec_b64 s[78:79], vcc
	s_xor_b64 s[78:79], exec, s[78:79]
; %bb.4824:                             ;   in Loop: Header=BB4_4388 Depth=2
	v_or_b32_sdwa v49, v0, s54 dst_sel:DWORD dst_unused:UNUSED_PAD src0_sel:BYTE_3 src1_sel:DWORD
                                        ; implicit-def: $vgpr0
; %bb.4825:                             ;   in Loop: Header=BB4_4388 Depth=2
	s_andn2_saveexec_b64 s[78:79], s[78:79]
; %bb.4826:                             ;   in Loop: Header=BB4_4388 Depth=2
	v_cmp_lt_i32_e32 vcc, -1, v0
	v_mov_b32_e32 v0, 0x7c
	v_cndmask_b32_e32 v49, -4, v0, vcc
; %bb.4827:                             ;   in Loop: Header=BB4_4388 Depth=2
	s_or_b64 exec, exec, s[78:79]
.LBB4_4828:                             ;   in Loop: Header=BB4_4388 Depth=2
	s_or_b64 exec, exec, s[18:19]
	v_cmp_ne_u16_e32 vcc, 0, v40
	v_mov_b32_e32 v0, 0
	v_mov_b32_e32 v1, 0
	s_and_saveexec_b64 s[18:19], vcc
	s_cbranch_execz .LBB4_4836
; %bb.4829:                             ;   in Loop: Header=BB4_4388 Depth=2
	v_cmp_ne_u16_e32 vcc, s49, v40
	v_bfrev_b32_e32 v1, 1
	s_and_saveexec_b64 s[78:79], vcc
	s_cbranch_execz .LBB4_4835
; %bb.4830:                             ;   in Loop: Header=BB4_4388 Depth=2
	v_and_b32_e32 v1, 0x7c, v40
	v_and_b32_e32 v2, 3, v40
	v_cmp_ne_u32_e32 vcc, s50, v1
                                        ; implicit-def: $vgpr1
	s_and_saveexec_b64 s[88:89], vcc
	s_xor_b64 s[88:89], exec, s[88:89]
	s_cbranch_execz .LBB4_4832
; %bb.4831:                             ;   in Loop: Header=BB4_4388 Depth=2
	v_ffbh_u32_e32 v25, v2
	v_min_u32_e32 v25, 32, v25
	v_and_b32_e32 v1, 0xff, v40
	v_mov_b32_e32 v41, v51
	v_subrev_u32_e32 v50, 29, v25
	v_bfe_u32 v1, v1, 2, 5
	v_lshlrev_b64 v[41:42], v50, v[40:41]
	v_sub_u32_e32 v25, 30, v25
	v_cmp_eq_u32_e32 vcc, 0, v1
	v_and_b32_e32 v50, 3, v41
	v_cndmask_b32_e32 v1, v1, v25, vcc
	v_and_b32_sdwa v25, sext(v40), s51 dst_sel:DWORD dst_unused:UNUSED_PAD src0_sel:WORD_0 src1_sel:DWORD
	v_cndmask_b32_e32 v2, v2, v50, vcc
	v_lshl_add_u32 v1, v1, 23, v25
	v_lshl_or_b32 v1, v2, 21, v1
	v_add_u32_e32 v1, 0x38000000, v1
                                        ; implicit-def: $vgpr2
                                        ; implicit-def: $vgpr40
.LBB4_4832:                             ;   in Loop: Header=BB4_4388 Depth=2
	s_andn2_saveexec_b64 s[88:89], s[88:89]
; %bb.4833:                             ;   in Loop: Header=BB4_4388 Depth=2
	v_cmp_lt_i16_e32 vcc, -1, v40
	v_cndmask_b32_e32 v1, v5, v36, vcc
	v_cmp_eq_u32_e32 vcc, 0, v2
	v_cndmask_b32_e32 v1, v37, v1, vcc
; %bb.4834:                             ;   in Loop: Header=BB4_4388 Depth=2
	s_or_b64 exec, exec, s[88:89]
.LBB4_4835:                             ;   in Loop: Header=BB4_4388 Depth=2
	s_or_b64 exec, exec, s[78:79]
.LBB4_4836:                             ;   in Loop: Header=BB4_4388 Depth=2
	s_or_b64 exec, exec, s[18:19]
	v_cmp_ne_u16_e32 vcc, 0, v24
	s_and_saveexec_b64 s[18:19], vcc
	s_cbranch_execz .LBB4_4844
; %bb.4837:                             ;   in Loop: Header=BB4_4388 Depth=2
	v_cmp_ne_u16_e32 vcc, s49, v24
	v_bfrev_b32_e32 v0, 1
	s_and_saveexec_b64 s[78:79], vcc
	s_cbranch_execz .LBB4_4843
; %bb.4838:                             ;   in Loop: Header=BB4_4388 Depth=2
	v_and_b32_e32 v0, 0x7c, v24
	v_and_b32_e32 v2, 3, v24
	v_cmp_ne_u32_e32 vcc, s50, v0
                                        ; implicit-def: $vgpr0
	s_and_saveexec_b64 s[88:89], vcc
	s_xor_b64 s[88:89], exec, s[88:89]
	s_cbranch_execz .LBB4_4840
; %bb.4839:                             ;   in Loop: Header=BB4_4388 Depth=2
	v_ffbh_u32_e32 v50, v2
	v_min_u32_e32 v50, 32, v50
	v_and_b32_e32 v0, 0xff, v24
	v_mov_b32_e32 v25, v51
	v_subrev_u32_e32 v55, 29, v50
	v_bfe_u32 v0, v0, 2, 5
	v_lshlrev_b64 v[40:41], v55, v[24:25]
	v_sub_u32_e32 v25, 30, v50
	v_cmp_eq_u32_e32 vcc, 0, v0
	v_and_b32_e32 v50, 3, v40
	v_cndmask_b32_e32 v0, v0, v25, vcc
	v_and_b32_sdwa v24, sext(v24), s51 dst_sel:DWORD dst_unused:UNUSED_PAD src0_sel:WORD_0 src1_sel:DWORD
	v_cndmask_b32_e32 v2, v2, v50, vcc
	v_lshl_add_u32 v0, v0, 23, v24
	v_lshl_or_b32 v0, v2, 21, v0
	v_add_u32_e32 v0, 0x38000000, v0
                                        ; implicit-def: $vgpr2
                                        ; implicit-def: $vgpr24
.LBB4_4840:                             ;   in Loop: Header=BB4_4388 Depth=2
	s_andn2_saveexec_b64 s[88:89], s[88:89]
; %bb.4841:                             ;   in Loop: Header=BB4_4388 Depth=2
	v_cmp_lt_i16_e32 vcc, -1, v24
	v_cndmask_b32_e32 v0, v5, v36, vcc
	v_cmp_eq_u32_e32 vcc, 0, v2
	v_cndmask_b32_e32 v0, v37, v0, vcc
; %bb.4842:                             ;   in Loop: Header=BB4_4388 Depth=2
	s_or_b64 exec, exec, s[88:89]
.LBB4_4843:                             ;   in Loop: Header=BB4_4388 Depth=2
	s_or_b64 exec, exec, s[78:79]
.LBB4_4844:                             ;   in Loop: Header=BB4_4388 Depth=2
	s_or_b64 exec, exec, s[18:19]
	v_mul_f32_e32 v0, v1, v0
	v_and_b32_e32 v1, 0x7f800000, v0
	v_mov_b32_e32 v2, v51
	v_cmp_ne_u64_e32 vcc, s[58:59], v[1:2]
	v_and_b32_e32 v50, 0x7fffff, v0
                                        ; implicit-def: $vgpr25
	s_and_saveexec_b64 s[18:19], vcc
	s_xor_b64 s[78:79], exec, s[18:19]
	s_cbranch_execz .LBB4_4862
; %bb.4845:                             ;   in Loop: Header=BB4_4388 Depth=2
	v_and_b32_e32 v1, 0x7fffffff, v0
	v_mov_b32_e32 v2, v51
	v_cmp_gt_u64_e32 vcc, s[60:61], v[1:2]
	v_and_b32_sdwa v24, v0, s52 dst_sel:DWORD dst_unused:UNUSED_PAD src0_sel:BYTE_3 src1_sel:DWORD
                                        ; implicit-def: $vgpr25
	s_and_saveexec_b64 s[18:19], vcc
	s_xor_b64 s[88:89], exec, s[18:19]
	s_cbranch_execz .LBB4_4859
; %bb.4846:                             ;   in Loop: Header=BB4_4388 Depth=2
	v_cmp_ne_u32_e32 vcc, 0, v0
	v_mov_b32_e32 v25, 0
	s_and_saveexec_b64 s[90:91], vcc
	s_cbranch_execz .LBB4_4858
; %bb.4847:                             ;   in Loop: Header=BB4_4388 Depth=2
	v_bfe_u32 v25, v0, 23, 8
	v_cmp_gt_u32_e64 s[18:19], s53, v25
	v_sub_u32_e32 v0, 0x71, v25
	v_cmp_eq_u32_e32 vcc, 0, v25
	v_cndmask_b32_e64 v0, 0, v0, s[18:19]
	v_mov_b32_e32 v2, 0x70
	v_cndmask_b32_e32 v55, v0, v2, vcc
	v_or_b32_e32 v1, 0x800000, v50
	v_add_u32_e32 v0, 21, v55
	v_cndmask_b32_e32 v50, v1, v50, vcc
	v_lshlrev_b64 v[0:1], v0, -1
	v_add_u32_e32 v2, 20, v55
	v_lshlrev_b64 v[40:41], v2, 1
	v_bfi_b32 v1, v1, 0, 0
	v_bfi_b32 v0, v0, 0, v50
	v_cmp_eq_u64_e64 s[18:19], v[0:1], v[40:41]
	v_lshrrev_b64 v[0:1], v55, v[50:51]
	v_mov_b32_e32 v2, v1
	v_mov_b32_e32 v1, v0
	s_and_saveexec_b64 s[92:93], s[18:19]
; %bb.4848:                             ;   in Loop: Header=BB4_4388 Depth=2
	v_bfe_u32 v1, v0, 21, 1
	v_add_co_u32_e64 v1, s[18:19], v0, v1
	v_add_co_u32_e64 v1, s[18:19], -1, v1
; %bb.4849:                             ;   in Loop: Header=BB4_4388 Depth=2
	s_or_b64 exec, exec, s[92:93]
	v_add_u32_e32 v2, 0xffffff81, v25
	v_mov_b32_e32 v25, 0xffffff82
	v_cndmask_b32_e32 v2, v2, v25, vcc
	v_lshrrev_b32_e32 v25, 23, v0
	v_add3_u32 v55, v55, v2, v25
	v_add_u32_e32 v25, 14, v55
	v_and_b32_e32 v1, 0x1fffff, v1
	v_add_u32_e32 v50, v1, v0
	v_cmp_ne_u32_e32 vcc, 0, v25
                                        ; implicit-def: $vgpr0_vgpr1
                                        ; implicit-def: $vgpr2
	s_and_saveexec_b64 s[18:19], vcc
	s_xor_b64 s[18:19], exec, s[18:19]
; %bb.4850:                             ;   in Loop: Header=BB4_4388 Depth=2
	v_cmp_lt_u64_e32 vcc, s[62:63], v[50:51]
	v_add_u32_e32 v0, 15, v55
	v_cndmask_b32_e32 v2, v25, v0, vcc
	v_cndmask_b32_e64 v0, 0, 1, vcc
	v_lshrrev_b64 v[0:1], v0, v[50:51]
; %bb.4851:                             ;   in Loop: Header=BB4_4388 Depth=2
	s_andn2_saveexec_b64 s[18:19], s[18:19]
; %bb.4852:                             ;   in Loop: Header=BB4_4388 Depth=2
	v_mov_b32_e32 v0, v50
	v_bfe_u32 v2, v50, 23, 1
	v_mov_b32_e32 v1, v51
; %bb.4853:                             ;   in Loop: Header=BB4_4388 Depth=2
	s_or_b64 exec, exec, s[18:19]
	v_lshrrev_b64 v[0:1], 21, v[0:1]
	v_cmp_gt_i32_e32 vcc, 32, v2
	v_cndmask_b32_e32 v1, 0, v1, vcc
	v_cndmask_b32_e32 v0, 3, v0, vcc
	v_cmp_ne_u64_e32 vcc, 0, v[0:1]
	v_cmp_ne_u32_e64 s[18:19], 0, v2
	s_or_b64 s[18:19], s[18:19], vcc
                                        ; implicit-def: $vgpr25
	s_and_saveexec_b64 s[92:93], s[18:19]
	s_xor_b64 s[18:19], exec, s[92:93]
; %bb.4854:                             ;   in Loop: Header=BB4_4388 Depth=2
	v_min_i32_e32 v1, 31, v2
	v_lshl_or_b32 v1, v1, 2, v24
	v_and_or_b32 v25, v0, 3, v1
                                        ; implicit-def: $vgpr24
; %bb.4855:                             ;   in Loop: Header=BB4_4388 Depth=2
	s_andn2_saveexec_b64 s[18:19], s[18:19]
; %bb.4856:                             ;   in Loop: Header=BB4_4388 Depth=2
	v_mov_b32_e32 v25, v24
; %bb.4857:                             ;   in Loop: Header=BB4_4388 Depth=2
	s_or_b64 exec, exec, s[18:19]
.LBB4_4858:                             ;   in Loop: Header=BB4_4388 Depth=2
	s_or_b64 exec, exec, s[90:91]
                                        ; implicit-def: $vgpr24
.LBB4_4859:                             ;   in Loop: Header=BB4_4388 Depth=2
	s_andn2_saveexec_b64 s[18:19], s[88:89]
; %bb.4860:                             ;   in Loop: Header=BB4_4388 Depth=2
	v_or_b32_e32 v25, 0x7b, v24
; %bb.4861:                             ;   in Loop: Header=BB4_4388 Depth=2
	s_or_b64 exec, exec, s[18:19]
                                        ; implicit-def: $vgpr0
.LBB4_4862:                             ;   in Loop: Header=BB4_4388 Depth=2
	s_andn2_saveexec_b64 s[18:19], s[78:79]
	s_cbranch_execz .LBB4_4868
; %bb.4863:                             ;   in Loop: Header=BB4_4388 Depth=2
	v_cmp_ne_u64_e32 vcc, 0, v[50:51]
                                        ; implicit-def: $vgpr25
	s_and_saveexec_b64 s[78:79], vcc
	s_xor_b64 s[78:79], exec, s[78:79]
; %bb.4864:                             ;   in Loop: Header=BB4_4388 Depth=2
	v_or_b32_sdwa v25, v0, s54 dst_sel:DWORD dst_unused:UNUSED_PAD src0_sel:BYTE_3 src1_sel:DWORD
                                        ; implicit-def: $vgpr0
; %bb.4865:                             ;   in Loop: Header=BB4_4388 Depth=2
	s_andn2_saveexec_b64 s[78:79], s[78:79]
; %bb.4866:                             ;   in Loop: Header=BB4_4388 Depth=2
	v_cmp_lt_i32_e32 vcc, -1, v0
	v_mov_b32_e32 v0, 0x7c
	v_cndmask_b32_e32 v25, -4, v0, vcc
; %bb.4867:                             ;   in Loop: Header=BB4_4388 Depth=2
	s_or_b64 exec, exec, s[78:79]
.LBB4_4868:                             ;   in Loop: Header=BB4_4388 Depth=2
	s_or_b64 exec, exec, s[18:19]
	v_cmp_ne_u16_e32 vcc, 0, v23
	v_mov_b32_e32 v0, 0
	v_mov_b32_e32 v1, 0
	s_and_saveexec_b64 s[18:19], vcc
	s_cbranch_execz .LBB4_4876
; %bb.4869:                             ;   in Loop: Header=BB4_4388 Depth=2
	v_cmp_ne_u16_e32 vcc, s49, v23
	v_bfrev_b32_e32 v1, 1
	s_and_saveexec_b64 s[78:79], vcc
	s_cbranch_execz .LBB4_4875
; %bb.4870:                             ;   in Loop: Header=BB4_4388 Depth=2
	v_and_b32_e32 v1, 0x7c, v23
	v_and_b32_e32 v2, 3, v23
	v_cmp_ne_u32_e32 vcc, s50, v1
                                        ; implicit-def: $vgpr1
	s_and_saveexec_b64 s[88:89], vcc
	s_xor_b64 s[88:89], exec, s[88:89]
	s_cbranch_execz .LBB4_4872
; %bb.4871:                             ;   in Loop: Header=BB4_4388 Depth=2
	v_ffbh_u32_e32 v50, v2
	v_min_u32_e32 v50, 32, v50
	v_and_b32_e32 v1, 0xff, v23
	v_mov_b32_e32 v24, v51
	v_subrev_u32_e32 v55, 29, v50
	v_bfe_u32 v1, v1, 2, 5
	v_lshlrev_b64 v[40:41], v55, v[23:24]
	v_sub_u32_e32 v24, 30, v50
	v_cmp_eq_u32_e32 vcc, 0, v1
	v_and_b32_e32 v50, 3, v40
	v_cndmask_b32_e32 v1, v1, v24, vcc
	v_and_b32_sdwa v23, sext(v23), s51 dst_sel:DWORD dst_unused:UNUSED_PAD src0_sel:WORD_0 src1_sel:DWORD
	v_cndmask_b32_e32 v2, v2, v50, vcc
	v_lshl_add_u32 v1, v1, 23, v23
	v_lshl_or_b32 v1, v2, 21, v1
	v_add_u32_e32 v1, 0x38000000, v1
                                        ; implicit-def: $vgpr2
                                        ; implicit-def: $vgpr23
.LBB4_4872:                             ;   in Loop: Header=BB4_4388 Depth=2
	s_andn2_saveexec_b64 s[88:89], s[88:89]
; %bb.4873:                             ;   in Loop: Header=BB4_4388 Depth=2
	v_cmp_lt_i16_e32 vcc, -1, v23
	v_cndmask_b32_e32 v1, v5, v36, vcc
	v_cmp_eq_u32_e32 vcc, 0, v2
	v_cndmask_b32_e32 v1, v37, v1, vcc
; %bb.4874:                             ;   in Loop: Header=BB4_4388 Depth=2
	s_or_b64 exec, exec, s[88:89]
.LBB4_4875:                             ;   in Loop: Header=BB4_4388 Depth=2
	s_or_b64 exec, exec, s[78:79]
.LBB4_4876:                             ;   in Loop: Header=BB4_4388 Depth=2
	s_or_b64 exec, exec, s[18:19]
	v_cmp_ne_u16_e32 vcc, 0, v22
	s_and_saveexec_b64 s[18:19], vcc
	s_cbranch_execz .LBB4_4884
; %bb.4877:                             ;   in Loop: Header=BB4_4388 Depth=2
	v_cmp_ne_u16_e32 vcc, s49, v22
	v_bfrev_b32_e32 v0, 1
	s_and_saveexec_b64 s[78:79], vcc
	s_cbranch_execz .LBB4_4883
; %bb.4878:                             ;   in Loop: Header=BB4_4388 Depth=2
	v_and_b32_e32 v0, 0x7c, v22
	v_and_b32_e32 v2, 3, v22
	v_cmp_ne_u32_e32 vcc, s50, v0
                                        ; implicit-def: $vgpr0
	s_and_saveexec_b64 s[88:89], vcc
	s_xor_b64 s[88:89], exec, s[88:89]
	s_cbranch_execz .LBB4_4880
; %bb.4879:                             ;   in Loop: Header=BB4_4388 Depth=2
	v_ffbh_u32_e32 v24, v2
	v_min_u32_e32 v50, 32, v24
	v_and_b32_e32 v0, 0xff, v22
	v_mov_b32_e32 v23, v51
	v_subrev_u32_e32 v24, 29, v50
	v_bfe_u32 v0, v0, 2, 5
	v_lshlrev_b64 v[23:24], v24, v[22:23]
	v_sub_u32_e32 v24, 30, v50
	v_cmp_eq_u32_e32 vcc, 0, v0
	v_and_b32_e32 v23, 3, v23
	v_cndmask_b32_e32 v0, v0, v24, vcc
	v_and_b32_sdwa v22, sext(v22), s51 dst_sel:DWORD dst_unused:UNUSED_PAD src0_sel:WORD_0 src1_sel:DWORD
	v_cndmask_b32_e32 v2, v2, v23, vcc
	v_lshl_add_u32 v0, v0, 23, v22
	v_lshl_or_b32 v0, v2, 21, v0
	v_add_u32_e32 v0, 0x38000000, v0
                                        ; implicit-def: $vgpr2
                                        ; implicit-def: $vgpr22
.LBB4_4880:                             ;   in Loop: Header=BB4_4388 Depth=2
	s_andn2_saveexec_b64 s[88:89], s[88:89]
; %bb.4881:                             ;   in Loop: Header=BB4_4388 Depth=2
	v_cmp_lt_i16_e32 vcc, -1, v22
	v_cndmask_b32_e32 v0, v5, v36, vcc
	v_cmp_eq_u32_e32 vcc, 0, v2
	v_cndmask_b32_e32 v0, v37, v0, vcc
; %bb.4882:                             ;   in Loop: Header=BB4_4388 Depth=2
	s_or_b64 exec, exec, s[88:89]
.LBB4_4883:                             ;   in Loop: Header=BB4_4388 Depth=2
	s_or_b64 exec, exec, s[78:79]
.LBB4_4884:                             ;   in Loop: Header=BB4_4388 Depth=2
	s_or_b64 exec, exec, s[18:19]
	v_mul_f32_e32 v0, v1, v0
	v_and_b32_e32 v1, 0x7f800000, v0
	v_mov_b32_e32 v2, v51
	v_cmp_ne_u64_e32 vcc, s[58:59], v[1:2]
	v_and_b32_e32 v50, 0x7fffff, v0
                                        ; implicit-def: $vgpr23
	s_and_saveexec_b64 s[18:19], vcc
	s_xor_b64 s[78:79], exec, s[18:19]
	s_cbranch_execz .LBB4_4902
; %bb.4885:                             ;   in Loop: Header=BB4_4388 Depth=2
	v_and_b32_e32 v1, 0x7fffffff, v0
	v_mov_b32_e32 v2, v51
	v_cmp_gt_u64_e32 vcc, s[60:61], v[1:2]
	v_and_b32_sdwa v22, v0, s52 dst_sel:DWORD dst_unused:UNUSED_PAD src0_sel:BYTE_3 src1_sel:DWORD
                                        ; implicit-def: $vgpr23
	s_and_saveexec_b64 s[18:19], vcc
	s_xor_b64 s[88:89], exec, s[18:19]
	s_cbranch_execz .LBB4_4899
; %bb.4886:                             ;   in Loop: Header=BB4_4388 Depth=2
	v_cmp_ne_u32_e32 vcc, 0, v0
	v_mov_b32_e32 v23, 0
	s_and_saveexec_b64 s[90:91], vcc
	s_cbranch_execz .LBB4_4898
; %bb.4887:                             ;   in Loop: Header=BB4_4388 Depth=2
	v_bfe_u32 v23, v0, 23, 8
	v_cmp_gt_u32_e64 s[18:19], s53, v23
	v_sub_u32_e32 v0, 0x71, v23
	v_cmp_eq_u32_e32 vcc, 0, v23
	v_cndmask_b32_e64 v0, 0, v0, s[18:19]
	v_mov_b32_e32 v2, 0x70
	v_cndmask_b32_e32 v24, v0, v2, vcc
	v_or_b32_e32 v1, 0x800000, v50
	v_add_u32_e32 v0, 21, v24
	v_cndmask_b32_e32 v50, v1, v50, vcc
	v_lshlrev_b64 v[0:1], v0, -1
	v_add_u32_e32 v2, 20, v24
	v_lshlrev_b64 v[40:41], v2, 1
	v_bfi_b32 v1, v1, 0, 0
	v_bfi_b32 v0, v0, 0, v50
	v_cmp_eq_u64_e64 s[18:19], v[0:1], v[40:41]
	v_lshrrev_b64 v[0:1], v24, v[50:51]
	v_mov_b32_e32 v2, v1
	v_mov_b32_e32 v1, v0
	s_and_saveexec_b64 s[92:93], s[18:19]
; %bb.4888:                             ;   in Loop: Header=BB4_4388 Depth=2
	v_bfe_u32 v1, v0, 21, 1
	v_add_co_u32_e64 v1, s[18:19], v0, v1
	v_add_co_u32_e64 v1, s[18:19], -1, v1
; %bb.4889:                             ;   in Loop: Header=BB4_4388 Depth=2
	s_or_b64 exec, exec, s[92:93]
	v_add_u32_e32 v2, 0xffffff81, v23
	v_mov_b32_e32 v23, 0xffffff82
	v_cndmask_b32_e32 v2, v2, v23, vcc
	v_lshrrev_b32_e32 v23, 23, v0
	v_add3_u32 v24, v24, v2, v23
	v_add_u32_e32 v23, 14, v24
	v_and_b32_e32 v1, 0x1fffff, v1
	v_add_u32_e32 v50, v1, v0
	v_cmp_ne_u32_e32 vcc, 0, v23
                                        ; implicit-def: $vgpr0_vgpr1
                                        ; implicit-def: $vgpr2
	s_and_saveexec_b64 s[18:19], vcc
	s_xor_b64 s[18:19], exec, s[18:19]
; %bb.4890:                             ;   in Loop: Header=BB4_4388 Depth=2
	v_cmp_lt_u64_e32 vcc, s[62:63], v[50:51]
	v_add_u32_e32 v0, 15, v24
	v_cndmask_b32_e32 v2, v23, v0, vcc
	v_cndmask_b32_e64 v0, 0, 1, vcc
	v_lshrrev_b64 v[0:1], v0, v[50:51]
; %bb.4891:                             ;   in Loop: Header=BB4_4388 Depth=2
	s_andn2_saveexec_b64 s[18:19], s[18:19]
; %bb.4892:                             ;   in Loop: Header=BB4_4388 Depth=2
	v_mov_b32_e32 v0, v50
	v_bfe_u32 v2, v50, 23, 1
	v_mov_b32_e32 v1, v51
; %bb.4893:                             ;   in Loop: Header=BB4_4388 Depth=2
	s_or_b64 exec, exec, s[18:19]
	v_lshrrev_b64 v[0:1], 21, v[0:1]
	v_cmp_gt_i32_e32 vcc, 32, v2
	v_cndmask_b32_e32 v1, 0, v1, vcc
	v_cndmask_b32_e32 v0, 3, v0, vcc
	v_cmp_ne_u64_e32 vcc, 0, v[0:1]
	v_cmp_ne_u32_e64 s[18:19], 0, v2
	s_or_b64 s[18:19], s[18:19], vcc
                                        ; implicit-def: $vgpr23
	s_and_saveexec_b64 s[92:93], s[18:19]
	s_xor_b64 s[18:19], exec, s[92:93]
; %bb.4894:                             ;   in Loop: Header=BB4_4388 Depth=2
	v_min_i32_e32 v1, 31, v2
	v_lshl_or_b32 v1, v1, 2, v22
	v_and_or_b32 v23, v0, 3, v1
                                        ; implicit-def: $vgpr22
; %bb.4895:                             ;   in Loop: Header=BB4_4388 Depth=2
	s_andn2_saveexec_b64 s[18:19], s[18:19]
; %bb.4896:                             ;   in Loop: Header=BB4_4388 Depth=2
	v_mov_b32_e32 v23, v22
; %bb.4897:                             ;   in Loop: Header=BB4_4388 Depth=2
	s_or_b64 exec, exec, s[18:19]
.LBB4_4898:                             ;   in Loop: Header=BB4_4388 Depth=2
	s_or_b64 exec, exec, s[90:91]
                                        ; implicit-def: $vgpr22
.LBB4_4899:                             ;   in Loop: Header=BB4_4388 Depth=2
	s_andn2_saveexec_b64 s[18:19], s[88:89]
; %bb.4900:                             ;   in Loop: Header=BB4_4388 Depth=2
	v_or_b32_e32 v23, 0x7b, v22
; %bb.4901:                             ;   in Loop: Header=BB4_4388 Depth=2
	s_or_b64 exec, exec, s[18:19]
                                        ; implicit-def: $vgpr0
.LBB4_4902:                             ;   in Loop: Header=BB4_4388 Depth=2
	s_andn2_saveexec_b64 s[18:19], s[78:79]
	s_cbranch_execz .LBB4_4908
; %bb.4903:                             ;   in Loop: Header=BB4_4388 Depth=2
	v_cmp_ne_u64_e32 vcc, 0, v[50:51]
                                        ; implicit-def: $vgpr23
	s_and_saveexec_b64 s[78:79], vcc
	s_xor_b64 s[78:79], exec, s[78:79]
; %bb.4904:                             ;   in Loop: Header=BB4_4388 Depth=2
	v_or_b32_sdwa v23, v0, s54 dst_sel:DWORD dst_unused:UNUSED_PAD src0_sel:BYTE_3 src1_sel:DWORD
                                        ; implicit-def: $vgpr0
; %bb.4905:                             ;   in Loop: Header=BB4_4388 Depth=2
	s_andn2_saveexec_b64 s[78:79], s[78:79]
; %bb.4906:                             ;   in Loop: Header=BB4_4388 Depth=2
	v_cmp_lt_i32_e32 vcc, -1, v0
	v_mov_b32_e32 v0, 0x7c
	v_cndmask_b32_e32 v23, -4, v0, vcc
; %bb.4907:                             ;   in Loop: Header=BB4_4388 Depth=2
	s_or_b64 exec, exec, s[78:79]
.LBB4_4908:                             ;   in Loop: Header=BB4_4388 Depth=2
	s_or_b64 exec, exec, s[18:19]
	v_cmp_ne_u16_e32 vcc, 0, v21
	v_mov_b32_e32 v0, 0
	v_mov_b32_e32 v1, 0
	s_and_saveexec_b64 s[18:19], vcc
	s_cbranch_execz .LBB4_4916
; %bb.4909:                             ;   in Loop: Header=BB4_4388 Depth=2
	v_cmp_ne_u16_e32 vcc, s49, v21
	v_bfrev_b32_e32 v1, 1
	s_and_saveexec_b64 s[78:79], vcc
	s_cbranch_execz .LBB4_4915
; %bb.4910:                             ;   in Loop: Header=BB4_4388 Depth=2
	v_and_b32_e32 v1, 0x7c, v21
	v_and_b32_e32 v2, 3, v21
	v_cmp_ne_u32_e32 vcc, s50, v1
                                        ; implicit-def: $vgpr1
	s_and_saveexec_b64 s[88:89], vcc
	s_xor_b64 s[88:89], exec, s[88:89]
	s_cbranch_execz .LBB4_4912
; %bb.4911:                             ;   in Loop: Header=BB4_4388 Depth=2
	v_ffbh_u32_e32 v24, v2
	v_min_u32_e32 v24, 32, v24
	v_and_b32_e32 v1, 0xff, v21
	v_mov_b32_e32 v22, v51
	v_subrev_u32_e32 v50, 29, v24
	v_bfe_u32 v1, v1, 2, 5
	v_lshlrev_b64 v[40:41], v50, v[21:22]
	v_sub_u32_e32 v22, 30, v24
	v_cmp_eq_u32_e32 vcc, 0, v1
	v_and_b32_e32 v24, 3, v40
	v_cndmask_b32_e32 v1, v1, v22, vcc
	v_and_b32_sdwa v21, sext(v21), s51 dst_sel:DWORD dst_unused:UNUSED_PAD src0_sel:WORD_0 src1_sel:DWORD
	v_cndmask_b32_e32 v2, v2, v24, vcc
	v_lshl_add_u32 v1, v1, 23, v21
	v_lshl_or_b32 v1, v2, 21, v1
	v_add_u32_e32 v1, 0x38000000, v1
                                        ; implicit-def: $vgpr2
                                        ; implicit-def: $vgpr21
.LBB4_4912:                             ;   in Loop: Header=BB4_4388 Depth=2
	s_andn2_saveexec_b64 s[88:89], s[88:89]
; %bb.4913:                             ;   in Loop: Header=BB4_4388 Depth=2
	v_cmp_lt_i16_e32 vcc, -1, v21
	v_cndmask_b32_e32 v1, v5, v36, vcc
	v_cmp_eq_u32_e32 vcc, 0, v2
	v_cndmask_b32_e32 v1, v37, v1, vcc
; %bb.4914:                             ;   in Loop: Header=BB4_4388 Depth=2
	s_or_b64 exec, exec, s[88:89]
.LBB4_4915:                             ;   in Loop: Header=BB4_4388 Depth=2
	s_or_b64 exec, exec, s[78:79]
.LBB4_4916:                             ;   in Loop: Header=BB4_4388 Depth=2
	s_or_b64 exec, exec, s[18:19]
	v_cmp_ne_u16_e32 vcc, 0, v20
	s_and_saveexec_b64 s[18:19], vcc
	s_cbranch_execz .LBB4_4924
; %bb.4917:                             ;   in Loop: Header=BB4_4388 Depth=2
	v_cmp_ne_u16_e32 vcc, s49, v20
	v_bfrev_b32_e32 v0, 1
	s_and_saveexec_b64 s[78:79], vcc
	s_cbranch_execz .LBB4_4923
; %bb.4918:                             ;   in Loop: Header=BB4_4388 Depth=2
	v_and_b32_e32 v0, 0x7c, v20
	v_and_b32_e32 v2, 3, v20
	v_cmp_ne_u32_e32 vcc, s50, v0
                                        ; implicit-def: $vgpr0
	s_and_saveexec_b64 s[88:89], vcc
	s_xor_b64 s[88:89], exec, s[88:89]
	s_cbranch_execz .LBB4_4920
; %bb.4919:                             ;   in Loop: Header=BB4_4388 Depth=2
	v_ffbh_u32_e32 v22, v2
	v_min_u32_e32 v24, 32, v22
	v_and_b32_e32 v0, 0xff, v20
	v_mov_b32_e32 v21, v51
	v_subrev_u32_e32 v22, 29, v24
	v_bfe_u32 v0, v0, 2, 5
	v_lshlrev_b64 v[21:22], v22, v[20:21]
	v_sub_u32_e32 v22, 30, v24
	v_cmp_eq_u32_e32 vcc, 0, v0
	v_and_b32_e32 v21, 3, v21
	v_cndmask_b32_e32 v0, v0, v22, vcc
	v_and_b32_sdwa v20, sext(v20), s51 dst_sel:DWORD dst_unused:UNUSED_PAD src0_sel:WORD_0 src1_sel:DWORD
	v_cndmask_b32_e32 v2, v2, v21, vcc
	v_lshl_add_u32 v0, v0, 23, v20
	v_lshl_or_b32 v0, v2, 21, v0
	v_add_u32_e32 v0, 0x38000000, v0
                                        ; implicit-def: $vgpr2
                                        ; implicit-def: $vgpr20
.LBB4_4920:                             ;   in Loop: Header=BB4_4388 Depth=2
	s_andn2_saveexec_b64 s[88:89], s[88:89]
; %bb.4921:                             ;   in Loop: Header=BB4_4388 Depth=2
	v_cmp_lt_i16_e32 vcc, -1, v20
	v_cndmask_b32_e32 v0, v5, v36, vcc
	v_cmp_eq_u32_e32 vcc, 0, v2
	v_cndmask_b32_e32 v0, v37, v0, vcc
; %bb.4922:                             ;   in Loop: Header=BB4_4388 Depth=2
	s_or_b64 exec, exec, s[88:89]
.LBB4_4923:                             ;   in Loop: Header=BB4_4388 Depth=2
	s_or_b64 exec, exec, s[78:79]
.LBB4_4924:                             ;   in Loop: Header=BB4_4388 Depth=2
	s_or_b64 exec, exec, s[18:19]
	v_mul_f32_e32 v0, v1, v0
	v_and_b32_e32 v1, 0x7f800000, v0
	v_mov_b32_e32 v2, v51
	v_cmp_ne_u64_e32 vcc, s[58:59], v[1:2]
	v_and_b32_e32 v50, 0x7fffff, v0
                                        ; implicit-def: $vgpr21
	s_and_saveexec_b64 s[18:19], vcc
	s_xor_b64 s[78:79], exec, s[18:19]
	s_cbranch_execz .LBB4_4942
; %bb.4925:                             ;   in Loop: Header=BB4_4388 Depth=2
	v_and_b32_e32 v1, 0x7fffffff, v0
	v_mov_b32_e32 v2, v51
	v_cmp_gt_u64_e32 vcc, s[60:61], v[1:2]
	v_and_b32_sdwa v20, v0, s52 dst_sel:DWORD dst_unused:UNUSED_PAD src0_sel:BYTE_3 src1_sel:DWORD
                                        ; implicit-def: $vgpr21
	s_and_saveexec_b64 s[18:19], vcc
	s_xor_b64 s[88:89], exec, s[18:19]
	s_cbranch_execz .LBB4_4939
; %bb.4926:                             ;   in Loop: Header=BB4_4388 Depth=2
	v_cmp_ne_u32_e32 vcc, 0, v0
	v_mov_b32_e32 v21, 0
	s_and_saveexec_b64 s[90:91], vcc
	s_cbranch_execz .LBB4_4938
; %bb.4927:                             ;   in Loop: Header=BB4_4388 Depth=2
	v_bfe_u32 v21, v0, 23, 8
	v_cmp_gt_u32_e64 s[18:19], s53, v21
	v_sub_u32_e32 v0, 0x71, v21
	v_cmp_eq_u32_e32 vcc, 0, v21
	v_cndmask_b32_e64 v0, 0, v0, s[18:19]
	v_mov_b32_e32 v2, 0x70
	v_cndmask_b32_e32 v22, v0, v2, vcc
	v_or_b32_e32 v1, 0x800000, v50
	v_add_u32_e32 v0, 21, v22
	v_cndmask_b32_e32 v50, v1, v50, vcc
	v_lshlrev_b64 v[0:1], v0, -1
	v_add_u32_e32 v2, 20, v22
	v_lshlrev_b64 v[40:41], v2, 1
	v_bfi_b32 v1, v1, 0, 0
	v_bfi_b32 v0, v0, 0, v50
	v_cmp_eq_u64_e64 s[18:19], v[0:1], v[40:41]
	v_lshrrev_b64 v[0:1], v22, v[50:51]
	v_mov_b32_e32 v2, v1
	v_mov_b32_e32 v1, v0
	s_and_saveexec_b64 s[92:93], s[18:19]
; %bb.4928:                             ;   in Loop: Header=BB4_4388 Depth=2
	v_bfe_u32 v1, v0, 21, 1
	v_add_co_u32_e64 v1, s[18:19], v0, v1
	v_add_co_u32_e64 v1, s[18:19], -1, v1
; %bb.4929:                             ;   in Loop: Header=BB4_4388 Depth=2
	s_or_b64 exec, exec, s[92:93]
	v_add_u32_e32 v2, 0xffffff81, v21
	v_mov_b32_e32 v21, 0xffffff82
	v_cndmask_b32_e32 v2, v2, v21, vcc
	v_lshrrev_b32_e32 v21, 23, v0
	v_add3_u32 v22, v22, v2, v21
	v_add_u32_e32 v21, 14, v22
	v_and_b32_e32 v1, 0x1fffff, v1
	v_add_u32_e32 v50, v1, v0
	v_cmp_ne_u32_e32 vcc, 0, v21
                                        ; implicit-def: $vgpr0_vgpr1
                                        ; implicit-def: $vgpr2
	s_and_saveexec_b64 s[18:19], vcc
	s_xor_b64 s[18:19], exec, s[18:19]
; %bb.4930:                             ;   in Loop: Header=BB4_4388 Depth=2
	v_cmp_lt_u64_e32 vcc, s[62:63], v[50:51]
	v_add_u32_e32 v0, 15, v22
	v_cndmask_b32_e32 v2, v21, v0, vcc
	v_cndmask_b32_e64 v0, 0, 1, vcc
	v_lshrrev_b64 v[0:1], v0, v[50:51]
; %bb.4931:                             ;   in Loop: Header=BB4_4388 Depth=2
	s_andn2_saveexec_b64 s[18:19], s[18:19]
; %bb.4932:                             ;   in Loop: Header=BB4_4388 Depth=2
	v_mov_b32_e32 v0, v50
	v_bfe_u32 v2, v50, 23, 1
	v_mov_b32_e32 v1, v51
; %bb.4933:                             ;   in Loop: Header=BB4_4388 Depth=2
	s_or_b64 exec, exec, s[18:19]
	v_lshrrev_b64 v[0:1], 21, v[0:1]
	v_cmp_gt_i32_e32 vcc, 32, v2
	v_cndmask_b32_e32 v1, 0, v1, vcc
	v_cndmask_b32_e32 v0, 3, v0, vcc
	v_cmp_ne_u64_e32 vcc, 0, v[0:1]
	v_cmp_ne_u32_e64 s[18:19], 0, v2
	s_or_b64 s[18:19], s[18:19], vcc
                                        ; implicit-def: $vgpr21
	s_and_saveexec_b64 s[92:93], s[18:19]
	s_xor_b64 s[18:19], exec, s[92:93]
; %bb.4934:                             ;   in Loop: Header=BB4_4388 Depth=2
	v_min_i32_e32 v1, 31, v2
	v_lshl_or_b32 v1, v1, 2, v20
	v_and_or_b32 v21, v0, 3, v1
                                        ; implicit-def: $vgpr20
; %bb.4935:                             ;   in Loop: Header=BB4_4388 Depth=2
	s_andn2_saveexec_b64 s[18:19], s[18:19]
; %bb.4936:                             ;   in Loop: Header=BB4_4388 Depth=2
	v_mov_b32_e32 v21, v20
; %bb.4937:                             ;   in Loop: Header=BB4_4388 Depth=2
	s_or_b64 exec, exec, s[18:19]
.LBB4_4938:                             ;   in Loop: Header=BB4_4388 Depth=2
	s_or_b64 exec, exec, s[90:91]
                                        ; implicit-def: $vgpr20
.LBB4_4939:                             ;   in Loop: Header=BB4_4388 Depth=2
	s_andn2_saveexec_b64 s[18:19], s[88:89]
; %bb.4940:                             ;   in Loop: Header=BB4_4388 Depth=2
	v_or_b32_e32 v21, 0x7b, v20
; %bb.4941:                             ;   in Loop: Header=BB4_4388 Depth=2
	s_or_b64 exec, exec, s[18:19]
                                        ; implicit-def: $vgpr0
.LBB4_4942:                             ;   in Loop: Header=BB4_4388 Depth=2
	s_andn2_saveexec_b64 s[18:19], s[78:79]
	s_cbranch_execz .LBB4_4948
; %bb.4943:                             ;   in Loop: Header=BB4_4388 Depth=2
	v_cmp_ne_u64_e32 vcc, 0, v[50:51]
                                        ; implicit-def: $vgpr21
	s_and_saveexec_b64 s[78:79], vcc
	s_xor_b64 s[78:79], exec, s[78:79]
; %bb.4944:                             ;   in Loop: Header=BB4_4388 Depth=2
	v_or_b32_sdwa v21, v0, s54 dst_sel:DWORD dst_unused:UNUSED_PAD src0_sel:BYTE_3 src1_sel:DWORD
                                        ; implicit-def: $vgpr0
; %bb.4945:                             ;   in Loop: Header=BB4_4388 Depth=2
	s_andn2_saveexec_b64 s[78:79], s[78:79]
; %bb.4946:                             ;   in Loop: Header=BB4_4388 Depth=2
	v_cmp_lt_i32_e32 vcc, -1, v0
	v_mov_b32_e32 v0, 0x7c
	v_cndmask_b32_e32 v21, -4, v0, vcc
; %bb.4947:                             ;   in Loop: Header=BB4_4388 Depth=2
	s_or_b64 exec, exec, s[78:79]
.LBB4_4948:                             ;   in Loop: Header=BB4_4388 Depth=2
	s_or_b64 exec, exec, s[18:19]
	v_cmp_ne_u16_e32 vcc, 0, v19
	v_mov_b32_e32 v0, 0
	v_mov_b32_e32 v1, 0
	s_and_saveexec_b64 s[18:19], vcc
	s_cbranch_execz .LBB4_4956
; %bb.4949:                             ;   in Loop: Header=BB4_4388 Depth=2
	v_cmp_ne_u16_e32 vcc, s49, v19
	v_bfrev_b32_e32 v1, 1
	s_and_saveexec_b64 s[78:79], vcc
	s_cbranch_execz .LBB4_4955
; %bb.4950:                             ;   in Loop: Header=BB4_4388 Depth=2
	v_and_b32_e32 v1, 0x7c, v19
	v_and_b32_e32 v2, 3, v19
	v_cmp_ne_u32_e32 vcc, s50, v1
                                        ; implicit-def: $vgpr1
	s_and_saveexec_b64 s[88:89], vcc
	s_xor_b64 s[88:89], exec, s[88:89]
	s_cbranch_execz .LBB4_4952
; %bb.4951:                             ;   in Loop: Header=BB4_4388 Depth=2
	v_ffbh_u32_e32 v22, v2
	v_min_u32_e32 v22, 32, v22
	v_and_b32_e32 v1, 0xff, v19
	v_mov_b32_e32 v20, v51
	v_subrev_u32_e32 v24, 29, v22
	v_bfe_u32 v1, v1, 2, 5
	v_lshlrev_b64 v[40:41], v24, v[19:20]
	v_sub_u32_e32 v20, 30, v22
	v_cmp_eq_u32_e32 vcc, 0, v1
	v_and_b32_e32 v22, 3, v40
	v_cndmask_b32_e32 v1, v1, v20, vcc
	v_and_b32_sdwa v19, sext(v19), s51 dst_sel:DWORD dst_unused:UNUSED_PAD src0_sel:WORD_0 src1_sel:DWORD
	v_cndmask_b32_e32 v2, v2, v22, vcc
	v_lshl_add_u32 v1, v1, 23, v19
	v_lshl_or_b32 v1, v2, 21, v1
	v_add_u32_e32 v1, 0x38000000, v1
                                        ; implicit-def: $vgpr2
                                        ; implicit-def: $vgpr19
.LBB4_4952:                             ;   in Loop: Header=BB4_4388 Depth=2
	s_andn2_saveexec_b64 s[88:89], s[88:89]
; %bb.4953:                             ;   in Loop: Header=BB4_4388 Depth=2
	v_cmp_lt_i16_e32 vcc, -1, v19
	v_cndmask_b32_e32 v1, v5, v36, vcc
	v_cmp_eq_u32_e32 vcc, 0, v2
	v_cndmask_b32_e32 v1, v37, v1, vcc
; %bb.4954:                             ;   in Loop: Header=BB4_4388 Depth=2
	s_or_b64 exec, exec, s[88:89]
.LBB4_4955:                             ;   in Loop: Header=BB4_4388 Depth=2
	s_or_b64 exec, exec, s[78:79]
.LBB4_4956:                             ;   in Loop: Header=BB4_4388 Depth=2
	s_or_b64 exec, exec, s[18:19]
	v_cmp_ne_u16_e32 vcc, 0, v18
	s_and_saveexec_b64 s[18:19], vcc
	s_cbranch_execz .LBB4_4964
; %bb.4957:                             ;   in Loop: Header=BB4_4388 Depth=2
	v_cmp_ne_u16_e32 vcc, s49, v18
	v_bfrev_b32_e32 v0, 1
	s_and_saveexec_b64 s[78:79], vcc
	s_cbranch_execz .LBB4_4963
; %bb.4958:                             ;   in Loop: Header=BB4_4388 Depth=2
	v_and_b32_e32 v0, 0x7c, v18
	v_and_b32_e32 v2, 3, v18
	v_cmp_ne_u32_e32 vcc, s50, v0
                                        ; implicit-def: $vgpr0
	s_and_saveexec_b64 s[88:89], vcc
	s_xor_b64 s[88:89], exec, s[88:89]
	s_cbranch_execz .LBB4_4960
; %bb.4959:                             ;   in Loop: Header=BB4_4388 Depth=2
	v_ffbh_u32_e32 v20, v2
	v_min_u32_e32 v22, 32, v20
	v_and_b32_e32 v0, 0xff, v18
	v_mov_b32_e32 v19, v51
	v_subrev_u32_e32 v20, 29, v22
	v_bfe_u32 v0, v0, 2, 5
	v_lshlrev_b64 v[19:20], v20, v[18:19]
	v_sub_u32_e32 v20, 30, v22
	v_cmp_eq_u32_e32 vcc, 0, v0
	v_and_b32_e32 v19, 3, v19
	v_cndmask_b32_e32 v0, v0, v20, vcc
	v_and_b32_sdwa v18, sext(v18), s51 dst_sel:DWORD dst_unused:UNUSED_PAD src0_sel:WORD_0 src1_sel:DWORD
	v_cndmask_b32_e32 v2, v2, v19, vcc
	v_lshl_add_u32 v0, v0, 23, v18
	v_lshl_or_b32 v0, v2, 21, v0
	v_add_u32_e32 v0, 0x38000000, v0
                                        ; implicit-def: $vgpr2
                                        ; implicit-def: $vgpr18
.LBB4_4960:                             ;   in Loop: Header=BB4_4388 Depth=2
	s_andn2_saveexec_b64 s[88:89], s[88:89]
; %bb.4961:                             ;   in Loop: Header=BB4_4388 Depth=2
	v_cmp_lt_i16_e32 vcc, -1, v18
	v_cndmask_b32_e32 v0, v5, v36, vcc
	v_cmp_eq_u32_e32 vcc, 0, v2
	v_cndmask_b32_e32 v0, v37, v0, vcc
; %bb.4962:                             ;   in Loop: Header=BB4_4388 Depth=2
	s_or_b64 exec, exec, s[88:89]
.LBB4_4963:                             ;   in Loop: Header=BB4_4388 Depth=2
	s_or_b64 exec, exec, s[78:79]
.LBB4_4964:                             ;   in Loop: Header=BB4_4388 Depth=2
	s_or_b64 exec, exec, s[18:19]
	v_mul_f32_e32 v0, v1, v0
	v_and_b32_e32 v1, 0x7f800000, v0
	v_mov_b32_e32 v2, v51
	v_cmp_ne_u64_e32 vcc, s[58:59], v[1:2]
	v_and_b32_e32 v50, 0x7fffff, v0
                                        ; implicit-def: $vgpr19
	s_and_saveexec_b64 s[18:19], vcc
	s_xor_b64 s[78:79], exec, s[18:19]
	s_cbranch_execz .LBB4_4982
; %bb.4965:                             ;   in Loop: Header=BB4_4388 Depth=2
	v_and_b32_e32 v1, 0x7fffffff, v0
	v_mov_b32_e32 v2, v51
	v_cmp_gt_u64_e32 vcc, s[60:61], v[1:2]
	v_and_b32_sdwa v18, v0, s52 dst_sel:DWORD dst_unused:UNUSED_PAD src0_sel:BYTE_3 src1_sel:DWORD
                                        ; implicit-def: $vgpr19
	s_and_saveexec_b64 s[18:19], vcc
	s_xor_b64 s[88:89], exec, s[18:19]
	s_cbranch_execz .LBB4_4979
; %bb.4966:                             ;   in Loop: Header=BB4_4388 Depth=2
	v_cmp_ne_u32_e32 vcc, 0, v0
	v_mov_b32_e32 v19, 0
	s_and_saveexec_b64 s[90:91], vcc
	s_cbranch_execz .LBB4_4978
; %bb.4967:                             ;   in Loop: Header=BB4_4388 Depth=2
	v_bfe_u32 v19, v0, 23, 8
	v_cmp_gt_u32_e64 s[18:19], s53, v19
	v_sub_u32_e32 v0, 0x71, v19
	v_cmp_eq_u32_e32 vcc, 0, v19
	v_cndmask_b32_e64 v0, 0, v0, s[18:19]
	v_mov_b32_e32 v2, 0x70
	v_cndmask_b32_e32 v20, v0, v2, vcc
	v_or_b32_e32 v1, 0x800000, v50
	v_add_u32_e32 v0, 21, v20
	v_cndmask_b32_e32 v50, v1, v50, vcc
	v_lshlrev_b64 v[0:1], v0, -1
	v_add_u32_e32 v2, 20, v20
	v_lshlrev_b64 v[40:41], v2, 1
	v_bfi_b32 v1, v1, 0, 0
	v_bfi_b32 v0, v0, 0, v50
	v_cmp_eq_u64_e64 s[18:19], v[0:1], v[40:41]
	v_lshrrev_b64 v[0:1], v20, v[50:51]
	v_mov_b32_e32 v2, v1
	v_mov_b32_e32 v1, v0
	s_and_saveexec_b64 s[92:93], s[18:19]
; %bb.4968:                             ;   in Loop: Header=BB4_4388 Depth=2
	v_bfe_u32 v1, v0, 21, 1
	v_add_co_u32_e64 v1, s[18:19], v0, v1
	v_add_co_u32_e64 v1, s[18:19], -1, v1
; %bb.4969:                             ;   in Loop: Header=BB4_4388 Depth=2
	s_or_b64 exec, exec, s[92:93]
	v_add_u32_e32 v2, 0xffffff81, v19
	v_mov_b32_e32 v19, 0xffffff82
	v_cndmask_b32_e32 v2, v2, v19, vcc
	v_lshrrev_b32_e32 v19, 23, v0
	v_add3_u32 v20, v20, v2, v19
	v_add_u32_e32 v19, 14, v20
	v_and_b32_e32 v1, 0x1fffff, v1
	v_add_u32_e32 v50, v1, v0
	v_cmp_ne_u32_e32 vcc, 0, v19
                                        ; implicit-def: $vgpr0_vgpr1
                                        ; implicit-def: $vgpr2
	s_and_saveexec_b64 s[18:19], vcc
	s_xor_b64 s[18:19], exec, s[18:19]
; %bb.4970:                             ;   in Loop: Header=BB4_4388 Depth=2
	v_cmp_lt_u64_e32 vcc, s[62:63], v[50:51]
	v_add_u32_e32 v0, 15, v20
	v_cndmask_b32_e32 v2, v19, v0, vcc
	v_cndmask_b32_e64 v0, 0, 1, vcc
	v_lshrrev_b64 v[0:1], v0, v[50:51]
; %bb.4971:                             ;   in Loop: Header=BB4_4388 Depth=2
	s_andn2_saveexec_b64 s[18:19], s[18:19]
; %bb.4972:                             ;   in Loop: Header=BB4_4388 Depth=2
	v_mov_b32_e32 v0, v50
	v_bfe_u32 v2, v50, 23, 1
	v_mov_b32_e32 v1, v51
; %bb.4973:                             ;   in Loop: Header=BB4_4388 Depth=2
	s_or_b64 exec, exec, s[18:19]
	v_lshrrev_b64 v[0:1], 21, v[0:1]
	v_cmp_gt_i32_e32 vcc, 32, v2
	v_cndmask_b32_e32 v1, 0, v1, vcc
	v_cndmask_b32_e32 v0, 3, v0, vcc
	v_cmp_ne_u64_e32 vcc, 0, v[0:1]
	v_cmp_ne_u32_e64 s[18:19], 0, v2
	s_or_b64 s[18:19], s[18:19], vcc
                                        ; implicit-def: $vgpr19
	s_and_saveexec_b64 s[92:93], s[18:19]
	s_xor_b64 s[18:19], exec, s[92:93]
; %bb.4974:                             ;   in Loop: Header=BB4_4388 Depth=2
	v_min_i32_e32 v1, 31, v2
	v_lshl_or_b32 v1, v1, 2, v18
	v_and_or_b32 v19, v0, 3, v1
                                        ; implicit-def: $vgpr18
; %bb.4975:                             ;   in Loop: Header=BB4_4388 Depth=2
	s_andn2_saveexec_b64 s[18:19], s[18:19]
; %bb.4976:                             ;   in Loop: Header=BB4_4388 Depth=2
	v_mov_b32_e32 v19, v18
; %bb.4977:                             ;   in Loop: Header=BB4_4388 Depth=2
	s_or_b64 exec, exec, s[18:19]
.LBB4_4978:                             ;   in Loop: Header=BB4_4388 Depth=2
	s_or_b64 exec, exec, s[90:91]
                                        ; implicit-def: $vgpr18
.LBB4_4979:                             ;   in Loop: Header=BB4_4388 Depth=2
	s_andn2_saveexec_b64 s[18:19], s[88:89]
; %bb.4980:                             ;   in Loop: Header=BB4_4388 Depth=2
	v_or_b32_e32 v19, 0x7b, v18
; %bb.4981:                             ;   in Loop: Header=BB4_4388 Depth=2
	s_or_b64 exec, exec, s[18:19]
                                        ; implicit-def: $vgpr0
.LBB4_4982:                             ;   in Loop: Header=BB4_4388 Depth=2
	s_andn2_saveexec_b64 s[18:19], s[78:79]
	s_cbranch_execz .LBB4_4988
; %bb.4983:                             ;   in Loop: Header=BB4_4388 Depth=2
	v_cmp_ne_u64_e32 vcc, 0, v[50:51]
                                        ; implicit-def: $vgpr19
	s_and_saveexec_b64 s[78:79], vcc
	s_xor_b64 s[78:79], exec, s[78:79]
; %bb.4984:                             ;   in Loop: Header=BB4_4388 Depth=2
	v_or_b32_sdwa v19, v0, s54 dst_sel:DWORD dst_unused:UNUSED_PAD src0_sel:BYTE_3 src1_sel:DWORD
                                        ; implicit-def: $vgpr0
; %bb.4985:                             ;   in Loop: Header=BB4_4388 Depth=2
	s_andn2_saveexec_b64 s[78:79], s[78:79]
; %bb.4986:                             ;   in Loop: Header=BB4_4388 Depth=2
	v_cmp_lt_i32_e32 vcc, -1, v0
	v_mov_b32_e32 v0, 0x7c
	v_cndmask_b32_e32 v19, -4, v0, vcc
; %bb.4987:                             ;   in Loop: Header=BB4_4388 Depth=2
	s_or_b64 exec, exec, s[78:79]
.LBB4_4988:                             ;   in Loop: Header=BB4_4388 Depth=2
	s_or_b64 exec, exec, s[18:19]
	v_cmp_ne_u16_e32 vcc, 0, v17
	v_mov_b32_e32 v0, 0
	v_mov_b32_e32 v1, 0
	s_and_saveexec_b64 s[18:19], vcc
	s_cbranch_execz .LBB4_4996
; %bb.4989:                             ;   in Loop: Header=BB4_4388 Depth=2
	v_cmp_ne_u16_e32 vcc, s49, v17
	v_bfrev_b32_e32 v1, 1
	s_and_saveexec_b64 s[78:79], vcc
	s_cbranch_execz .LBB4_4995
; %bb.4990:                             ;   in Loop: Header=BB4_4388 Depth=2
	v_and_b32_e32 v1, 0x7c, v17
	v_and_b32_e32 v2, 3, v17
	v_cmp_ne_u32_e32 vcc, s50, v1
                                        ; implicit-def: $vgpr1
	s_and_saveexec_b64 s[88:89], vcc
	s_xor_b64 s[88:89], exec, s[88:89]
	s_cbranch_execz .LBB4_4992
; %bb.4991:                             ;   in Loop: Header=BB4_4388 Depth=2
	v_ffbh_u32_e32 v20, v2
	v_min_u32_e32 v20, 32, v20
	v_and_b32_e32 v1, 0xff, v17
	v_mov_b32_e32 v18, v51
	v_subrev_u32_e32 v22, 29, v20
	v_bfe_u32 v1, v1, 2, 5
	v_lshlrev_b64 v[40:41], v22, v[17:18]
	v_sub_u32_e32 v18, 30, v20
	v_cmp_eq_u32_e32 vcc, 0, v1
	v_and_b32_e32 v20, 3, v40
	v_cndmask_b32_e32 v1, v1, v18, vcc
	v_and_b32_sdwa v17, sext(v17), s51 dst_sel:DWORD dst_unused:UNUSED_PAD src0_sel:WORD_0 src1_sel:DWORD
	v_cndmask_b32_e32 v2, v2, v20, vcc
	v_lshl_add_u32 v1, v1, 23, v17
	v_lshl_or_b32 v1, v2, 21, v1
	v_add_u32_e32 v1, 0x38000000, v1
                                        ; implicit-def: $vgpr2
                                        ; implicit-def: $vgpr17
.LBB4_4992:                             ;   in Loop: Header=BB4_4388 Depth=2
	s_andn2_saveexec_b64 s[88:89], s[88:89]
; %bb.4993:                             ;   in Loop: Header=BB4_4388 Depth=2
	v_cmp_lt_i16_e32 vcc, -1, v17
	v_cndmask_b32_e32 v1, v5, v36, vcc
	v_cmp_eq_u32_e32 vcc, 0, v2
	v_cndmask_b32_e32 v1, v37, v1, vcc
; %bb.4994:                             ;   in Loop: Header=BB4_4388 Depth=2
	s_or_b64 exec, exec, s[88:89]
.LBB4_4995:                             ;   in Loop: Header=BB4_4388 Depth=2
	s_or_b64 exec, exec, s[78:79]
.LBB4_4996:                             ;   in Loop: Header=BB4_4388 Depth=2
	s_or_b64 exec, exec, s[18:19]
	v_cmp_ne_u16_e32 vcc, 0, v16
	s_and_saveexec_b64 s[18:19], vcc
	s_cbranch_execz .LBB4_5004
; %bb.4997:                             ;   in Loop: Header=BB4_4388 Depth=2
	v_cmp_ne_u16_e32 vcc, s49, v16
	v_bfrev_b32_e32 v0, 1
	s_and_saveexec_b64 s[78:79], vcc
	s_cbranch_execz .LBB4_5003
; %bb.4998:                             ;   in Loop: Header=BB4_4388 Depth=2
	v_and_b32_e32 v0, 0x7c, v16
	v_and_b32_e32 v2, 3, v16
	v_cmp_ne_u32_e32 vcc, s50, v0
                                        ; implicit-def: $vgpr0
	s_and_saveexec_b64 s[88:89], vcc
	s_xor_b64 s[88:89], exec, s[88:89]
	s_cbranch_execz .LBB4_5000
; %bb.4999:                             ;   in Loop: Header=BB4_4388 Depth=2
	v_ffbh_u32_e32 v18, v2
	v_min_u32_e32 v20, 32, v18
	v_and_b32_e32 v0, 0xff, v16
	v_mov_b32_e32 v17, v51
	v_subrev_u32_e32 v18, 29, v20
	v_bfe_u32 v0, v0, 2, 5
	v_lshlrev_b64 v[17:18], v18, v[16:17]
	v_sub_u32_e32 v18, 30, v20
	v_cmp_eq_u32_e32 vcc, 0, v0
	v_and_b32_e32 v17, 3, v17
	v_cndmask_b32_e32 v0, v0, v18, vcc
	v_and_b32_sdwa v16, sext(v16), s51 dst_sel:DWORD dst_unused:UNUSED_PAD src0_sel:WORD_0 src1_sel:DWORD
	v_cndmask_b32_e32 v2, v2, v17, vcc
	v_lshl_add_u32 v0, v0, 23, v16
	v_lshl_or_b32 v0, v2, 21, v0
	v_add_u32_e32 v0, 0x38000000, v0
                                        ; implicit-def: $vgpr2
                                        ; implicit-def: $vgpr16
.LBB4_5000:                             ;   in Loop: Header=BB4_4388 Depth=2
	s_andn2_saveexec_b64 s[88:89], s[88:89]
; %bb.5001:                             ;   in Loop: Header=BB4_4388 Depth=2
	v_cmp_lt_i16_e32 vcc, -1, v16
	v_cndmask_b32_e32 v0, v5, v36, vcc
	v_cmp_eq_u32_e32 vcc, 0, v2
	v_cndmask_b32_e32 v0, v37, v0, vcc
; %bb.5002:                             ;   in Loop: Header=BB4_4388 Depth=2
	s_or_b64 exec, exec, s[88:89]
.LBB4_5003:                             ;   in Loop: Header=BB4_4388 Depth=2
	s_or_b64 exec, exec, s[78:79]
.LBB4_5004:                             ;   in Loop: Header=BB4_4388 Depth=2
	s_or_b64 exec, exec, s[18:19]
	v_mul_f32_e32 v0, v1, v0
	v_and_b32_e32 v1, 0x7f800000, v0
	v_mov_b32_e32 v2, v51
	v_cmp_ne_u64_e32 vcc, s[58:59], v[1:2]
	v_and_b32_e32 v50, 0x7fffff, v0
                                        ; implicit-def: $vgpr1
	s_and_saveexec_b64 s[18:19], vcc
	s_xor_b64 s[78:79], exec, s[18:19]
	s_cbranch_execz .LBB4_5022
; %bb.5005:                             ;   in Loop: Header=BB4_4388 Depth=2
	v_and_b32_e32 v1, 0x7fffffff, v0
	v_mov_b32_e32 v2, v51
	v_cmp_gt_u64_e32 vcc, s[60:61], v[1:2]
	v_and_b32_sdwa v16, v0, s52 dst_sel:DWORD dst_unused:UNUSED_PAD src0_sel:BYTE_3 src1_sel:DWORD
                                        ; implicit-def: $vgpr1
	s_and_saveexec_b64 s[18:19], vcc
	s_xor_b64 s[88:89], exec, s[18:19]
	s_cbranch_execz .LBB4_5019
; %bb.5006:                             ;   in Loop: Header=BB4_4388 Depth=2
	v_cmp_ne_u32_e32 vcc, 0, v0
	v_mov_b32_e32 v1, 0
	s_and_saveexec_b64 s[90:91], vcc
	s_cbranch_execz .LBB4_5018
; %bb.5007:                             ;   in Loop: Header=BB4_4388 Depth=2
	v_bfe_u32 v17, v0, 23, 8
	v_cmp_gt_u32_e64 s[18:19], s53, v17
	v_sub_u32_e32 v0, 0x71, v17
	v_cmp_eq_u32_e32 vcc, 0, v17
	v_cndmask_b32_e64 v0, 0, v0, s[18:19]
	v_mov_b32_e32 v2, 0x70
	v_cndmask_b32_e32 v18, v0, v2, vcc
	v_or_b32_e32 v1, 0x800000, v50
	v_add_u32_e32 v0, 21, v18
	v_cndmask_b32_e32 v50, v1, v50, vcc
	v_lshlrev_b64 v[0:1], v0, -1
	v_add_u32_e32 v2, 20, v18
	v_lshlrev_b64 v[40:41], v2, 1
	v_bfi_b32 v1, v1, 0, 0
	v_bfi_b32 v0, v0, 0, v50
	v_cmp_eq_u64_e64 s[18:19], v[0:1], v[40:41]
	v_lshrrev_b64 v[0:1], v18, v[50:51]
	v_mov_b32_e32 v2, v1
	v_mov_b32_e32 v1, v0
	s_and_saveexec_b64 s[92:93], s[18:19]
; %bb.5008:                             ;   in Loop: Header=BB4_4388 Depth=2
	v_bfe_u32 v1, v0, 21, 1
	v_add_co_u32_e64 v1, s[18:19], v0, v1
	v_add_co_u32_e64 v1, s[18:19], -1, v1
; %bb.5009:                             ;   in Loop: Header=BB4_4388 Depth=2
	s_or_b64 exec, exec, s[92:93]
	v_add_u32_e32 v2, 0xffffff81, v17
	v_mov_b32_e32 v17, 0xffffff82
	v_cndmask_b32_e32 v2, v2, v17, vcc
	v_lshrrev_b32_e32 v17, 23, v0
	v_add3_u32 v18, v18, v2, v17
	v_add_u32_e32 v17, 14, v18
	v_and_b32_e32 v1, 0x1fffff, v1
	v_add_u32_e32 v50, v1, v0
	v_cmp_ne_u32_e32 vcc, 0, v17
                                        ; implicit-def: $vgpr0_vgpr1
                                        ; implicit-def: $vgpr2
	s_and_saveexec_b64 s[18:19], vcc
	s_xor_b64 s[18:19], exec, s[18:19]
; %bb.5010:                             ;   in Loop: Header=BB4_4388 Depth=2
	v_cmp_lt_u64_e32 vcc, s[62:63], v[50:51]
	v_add_u32_e32 v0, 15, v18
	v_cndmask_b32_e32 v2, v17, v0, vcc
	v_cndmask_b32_e64 v0, 0, 1, vcc
	v_lshrrev_b64 v[0:1], v0, v[50:51]
; %bb.5011:                             ;   in Loop: Header=BB4_4388 Depth=2
	s_andn2_saveexec_b64 s[18:19], s[18:19]
; %bb.5012:                             ;   in Loop: Header=BB4_4388 Depth=2
	v_mov_b32_e32 v0, v50
	v_bfe_u32 v2, v50, 23, 1
	v_mov_b32_e32 v1, v51
; %bb.5013:                             ;   in Loop: Header=BB4_4388 Depth=2
	s_or_b64 exec, exec, s[18:19]
	v_lshrrev_b64 v[0:1], 21, v[0:1]
	v_cmp_gt_i32_e32 vcc, 32, v2
	v_cndmask_b32_e32 v1, 0, v1, vcc
	v_cndmask_b32_e32 v0, 3, v0, vcc
	v_cmp_ne_u64_e32 vcc, 0, v[0:1]
	v_cmp_ne_u32_e64 s[18:19], 0, v2
	s_or_b64 s[18:19], s[18:19], vcc
                                        ; implicit-def: $vgpr1
	s_and_saveexec_b64 s[92:93], s[18:19]
	s_xor_b64 s[18:19], exec, s[92:93]
; %bb.5014:                             ;   in Loop: Header=BB4_4388 Depth=2
	v_min_i32_e32 v1, 31, v2
	v_lshl_or_b32 v1, v1, 2, v16
	v_and_or_b32 v1, v0, 3, v1
                                        ; implicit-def: $vgpr16
; %bb.5015:                             ;   in Loop: Header=BB4_4388 Depth=2
	s_andn2_saveexec_b64 s[18:19], s[18:19]
; %bb.5016:                             ;   in Loop: Header=BB4_4388 Depth=2
	v_mov_b32_e32 v1, v16
; %bb.5017:                             ;   in Loop: Header=BB4_4388 Depth=2
	s_or_b64 exec, exec, s[18:19]
.LBB4_5018:                             ;   in Loop: Header=BB4_4388 Depth=2
	s_or_b64 exec, exec, s[90:91]
                                        ; implicit-def: $vgpr16
.LBB4_5019:                             ;   in Loop: Header=BB4_4388 Depth=2
	s_andn2_saveexec_b64 s[18:19], s[88:89]
; %bb.5020:                             ;   in Loop: Header=BB4_4388 Depth=2
	v_or_b32_e32 v1, 0x7b, v16
; %bb.5021:                             ;   in Loop: Header=BB4_4388 Depth=2
	s_or_b64 exec, exec, s[18:19]
                                        ; implicit-def: $vgpr0
.LBB4_5022:                             ;   in Loop: Header=BB4_4388 Depth=2
	s_andn2_saveexec_b64 s[18:19], s[78:79]
	s_cbranch_execz .LBB4_4387
; %bb.5023:                             ;   in Loop: Header=BB4_4388 Depth=2
	v_cmp_ne_u64_e32 vcc, 0, v[50:51]
                                        ; implicit-def: $vgpr1
	s_and_saveexec_b64 s[78:79], vcc
	s_xor_b64 s[78:79], exec, s[78:79]
; %bb.5024:                             ;   in Loop: Header=BB4_4388 Depth=2
	v_or_b32_sdwa v1, v0, s54 dst_sel:DWORD dst_unused:UNUSED_PAD src0_sel:BYTE_3 src1_sel:DWORD
                                        ; implicit-def: $vgpr0
; %bb.5025:                             ;   in Loop: Header=BB4_4388 Depth=2
	s_andn2_saveexec_b64 s[78:79], s[78:79]
	s_cbranch_execz .LBB4_4386
; %bb.5026:                             ;   in Loop: Header=BB4_4388 Depth=2
	v_cmp_lt_i32_e32 vcc, -1, v0
	v_mov_b32_e32 v0, 0x7c
	v_cndmask_b32_e32 v1, -4, v0, vcc
	s_branch .LBB4_4386
.LBB4_5027:                             ;   in Loop: Header=BB4_2603 Depth=1
	s_or_b64 exec, exec, s[76:77]
	buffer_load_dword v44, off, s[0:3], s33 offset:180 ; 4-byte Folded Reload
	buffer_load_dword v60, off, s[0:3], s33 offset:168 ; 4-byte Folded Reload
	;; [unrolled: 1-line block ×10, first 2 shown]
	v_mov_b32_e32 v43, -1
.LBB4_5028:                             ;   in Loop: Header=BB4_2603 Depth=1
	s_or_b64 exec, exec, s[22:23]
	s_waitcnt vmcnt(0)
	v_and_b32_e32 v0, 0xfffffc00, v11
	v_cmp_ne_u32_e32 vcc, v11, v0
	s_and_b64 exec, exec, vcc
	s_cbranch_execz .LBB4_5072
; %bb.5029:                             ;   in Loop: Header=BB4_2603 Depth=1
	v_add_u32_e32 v1, v12, v4
	v_and_b32_e32 v1, 0xffffffc0, v1
	v_sub_u32_e32 v1, v12, v1
	v_lshlrev_b32_e32 v2, 6, v54
	v_sub_u32_e32 v1, v1, v2
	v_and_b32_e32 v2, 0x3ff, v11
	v_sub_u32_e32 v4, v2, v1
	v_cmp_lt_i32_e32 vcc, 0, v4
	s_and_b64 exec, exec, vcc
	s_cbranch_execz .LBB4_5072
; %bb.5030:                             ;   in Loop: Header=BB4_2603 Depth=1
	s_trap 2
	v_mov_b32_e32 v2, v10
	ds_read_b128 v[10:13], v0
	ds_read_b64 v[14:15], v0
	v_add3_u32 v16, v0, v2, v1
	v_ashrrev_i32_e32 v17, 31, v16
	s_mov_b64 s[22:23], 0
	s_waitcnt lgkmcnt(0)
	v_add_co_u32_e32 v0, vcc, v10, v16
	v_addc_co_u32_e32 v1, vcc, v11, v17, vcc
	v_add_co_u32_e32 v2, vcc, v12, v16
	v_addc_co_u32_e32 v3, vcc, v13, v17, vcc
	;; [unrolled: 2-line block ×3, first 2 shown]
	s_branch .LBB4_5033
.LBB4_5031:                             ;   in Loop: Header=BB4_5033 Depth=2
	s_or_b64 exec, exec, s[76:77]
.LBB4_5032:                             ;   in Loop: Header=BB4_5033 Depth=2
	s_or_b64 exec, exec, s[18:19]
	v_add_co_u32_e32 v0, vcc, v0, v46
	v_addc_co_u32_e32 v1, vcc, 0, v1, vcc
	v_add_co_u32_e32 v2, vcc, v2, v46
	v_addc_co_u32_e32 v3, vcc, 0, v3, vcc
	v_sub_u32_e32 v4, v4, v46
	v_cmp_gt_i32_e32 vcc, 1, v4
	flat_store_byte v[10:11], v13 glc slc
	s_or_b64 s[22:23], vcc, s[22:23]
	v_add_co_u32_e32 v10, vcc, v10, v46
	v_addc_co_u32_e32 v11, vcc, 0, v11, vcc
	s_andn2_b64 exec, exec, s[22:23]
	s_cbranch_execz .LBB4_5072
.LBB4_5033:                             ;   Parent Loop BB4_2603 Depth=1
                                        ; =>  This Inner Loop Header: Depth=2
	flat_load_sbyte v50, v[0:1] glc slc
	flat_load_sbyte v12, v[2:3] glc slc
	v_mov_b32_e32 v13, 0
	v_mov_b32_e32 v14, 0
	s_waitcnt vmcnt(0) lgkmcnt(0)
	v_cmp_ne_u16_e32 vcc, 0, v50
	s_and_saveexec_b64 s[18:19], vcc
	s_cbranch_execz .LBB4_5041
; %bb.5034:                             ;   in Loop: Header=BB4_5033 Depth=2
	v_cmp_ne_u16_e32 vcc, s49, v50
	v_bfrev_b32_e32 v14, 1
	s_and_saveexec_b64 s[76:77], vcc
	s_cbranch_execz .LBB4_5040
; %bb.5035:                             ;   in Loop: Header=BB4_5033 Depth=2
	v_and_b32_e32 v14, 0x7c, v50
	v_and_b32_e32 v15, 3, v50
	v_cmp_ne_u32_e32 vcc, s50, v14
                                        ; implicit-def: $vgpr14
	s_and_saveexec_b64 s[78:79], vcc
	s_xor_b64 s[78:79], exec, s[78:79]
	s_cbranch_execz .LBB4_5037
; %bb.5036:                             ;   in Loop: Header=BB4_5033 Depth=2
	v_ffbh_u32_e32 v16, v15
	v_min_u32_e32 v18, 32, v16
	v_subrev_u32_e32 v16, 29, v18
	v_and_b32_e32 v14, 0xff, v50
	v_lshlrev_b64 v[16:17], v16, v[50:51]
	v_bfe_u32 v14, v14, 2, 5
	v_sub_u32_e32 v17, 30, v18
	v_and_b32_e32 v16, 3, v16
	v_cmp_eq_u32_e32 vcc, 0, v14
	v_cndmask_b32_e32 v14, v14, v17, vcc
	v_cndmask_b32_e32 v15, v15, v16, vcc
	v_and_b32_sdwa v16, sext(v50), s51 dst_sel:DWORD dst_unused:UNUSED_PAD src0_sel:WORD_0 src1_sel:DWORD
	v_lshl_add_u32 v14, v14, 23, v16
	v_lshl_or_b32 v14, v15, 21, v14
	v_add_u32_e32 v14, 0x38000000, v14
                                        ; implicit-def: $vgpr15
.LBB4_5037:                             ;   in Loop: Header=BB4_5033 Depth=2
	s_andn2_saveexec_b64 s[78:79], s[78:79]
; %bb.5038:                             ;   in Loop: Header=BB4_5033 Depth=2
	v_cmp_lt_i16_e32 vcc, -1, v50
	v_cndmask_b32_e32 v14, v5, v36, vcc
	v_cmp_eq_u32_e32 vcc, 0, v15
	v_cndmask_b32_e32 v14, v37, v14, vcc
; %bb.5039:                             ;   in Loop: Header=BB4_5033 Depth=2
	s_or_b64 exec, exec, s[78:79]
.LBB4_5040:                             ;   in Loop: Header=BB4_5033 Depth=2
	s_or_b64 exec, exec, s[76:77]
.LBB4_5041:                             ;   in Loop: Header=BB4_5033 Depth=2
	s_or_b64 exec, exec, s[18:19]
	v_cmp_ne_u16_e32 vcc, 0, v12
	s_and_saveexec_b64 s[18:19], vcc
	s_cbranch_execz .LBB4_5049
; %bb.5042:                             ;   in Loop: Header=BB4_5033 Depth=2
	v_cmp_ne_u16_e32 vcc, s49, v12
	v_bfrev_b32_e32 v13, 1
	s_and_saveexec_b64 s[76:77], vcc
	s_cbranch_execz .LBB4_5048
; %bb.5043:                             ;   in Loop: Header=BB4_5033 Depth=2
	v_and_b32_e32 v13, 0x7c, v12
	v_and_b32_e32 v15, 3, v12
	v_cmp_ne_u32_e32 vcc, s50, v13
                                        ; implicit-def: $vgpr13
	s_and_saveexec_b64 s[78:79], vcc
	s_xor_b64 s[78:79], exec, s[78:79]
	s_cbranch_execz .LBB4_5045
; %bb.5044:                             ;   in Loop: Header=BB4_5033 Depth=2
	v_ffbh_u32_e32 v18, v15
	v_and_b32_e32 v13, 0xff, v12
	v_min_u32_e32 v18, 32, v18
	v_bfe_u32 v16, v13, 2, 5
	v_mov_b32_e32 v13, v51
	v_subrev_u32_e32 v19, 29, v18
	v_and_b32_sdwa v17, sext(v12), s51 dst_sel:DWORD dst_unused:UNUSED_PAD src0_sel:WORD_0 src1_sel:DWORD
	v_lshlrev_b64 v[12:13], v19, v[12:13]
	v_sub_u32_e32 v13, 30, v18
	v_cmp_eq_u32_e32 vcc, 0, v16
	v_and_b32_e32 v12, 3, v12
	v_cndmask_b32_e32 v13, v16, v13, vcc
	v_cndmask_b32_e32 v12, v15, v12, vcc
	v_lshl_add_u32 v13, v13, 23, v17
	v_lshl_or_b32 v12, v12, 21, v13
	v_add_u32_e32 v13, 0x38000000, v12
                                        ; implicit-def: $vgpr12
                                        ; implicit-def: $vgpr15
.LBB4_5045:                             ;   in Loop: Header=BB4_5033 Depth=2
	s_andn2_saveexec_b64 s[78:79], s[78:79]
; %bb.5046:                             ;   in Loop: Header=BB4_5033 Depth=2
	v_cmp_lt_i16_e32 vcc, -1, v12
	v_cndmask_b32_e32 v12, v5, v36, vcc
	v_cmp_eq_u32_e32 vcc, 0, v15
	v_cndmask_b32_e32 v13, v37, v12, vcc
; %bb.5047:                             ;   in Loop: Header=BB4_5033 Depth=2
	s_or_b64 exec, exec, s[78:79]
.LBB4_5048:                             ;   in Loop: Header=BB4_5033 Depth=2
	s_or_b64 exec, exec, s[76:77]
.LBB4_5049:                             ;   in Loop: Header=BB4_5033 Depth=2
	s_or_b64 exec, exec, s[18:19]
	v_mul_f32_e32 v12, v14, v13
	v_and_b32_e32 v13, 0x7f800000, v12
	v_mov_b32_e32 v14, v51
	v_cmp_ne_u64_e32 vcc, s[58:59], v[13:14]
	v_and_b32_e32 v50, 0x7fffff, v12
                                        ; implicit-def: $vgpr13
	s_and_saveexec_b64 s[18:19], vcc
	s_xor_b64 s[76:77], exec, s[18:19]
	s_cbranch_execz .LBB4_5067
; %bb.5050:                             ;   in Loop: Header=BB4_5033 Depth=2
	v_and_b32_e32 v13, 0x7fffffff, v12
	v_mov_b32_e32 v14, v51
	v_cmp_gt_u64_e32 vcc, s[60:61], v[13:14]
	v_and_b32_sdwa v15, v12, s52 dst_sel:DWORD dst_unused:UNUSED_PAD src0_sel:BYTE_3 src1_sel:DWORD
                                        ; implicit-def: $vgpr13
	s_and_saveexec_b64 s[18:19], vcc
	s_xor_b64 s[78:79], exec, s[18:19]
	s_cbranch_execz .LBB4_5064
; %bb.5051:                             ;   in Loop: Header=BB4_5033 Depth=2
	v_cmp_ne_u32_e32 vcc, 0, v12
	v_mov_b32_e32 v13, 0
	s_and_saveexec_b64 s[88:89], vcc
	s_cbranch_execz .LBB4_5063
; %bb.5052:                             ;   in Loop: Header=BB4_5033 Depth=2
	v_bfe_u32 v16, v12, 23, 8
	v_cmp_gt_u32_e64 s[18:19], s53, v16
	v_sub_u32_e32 v12, 0x71, v16
	v_cmp_eq_u32_e32 vcc, 0, v16
	v_cndmask_b32_e64 v12, 0, v12, s[18:19]
	v_mov_b32_e32 v14, 0x70
	v_cndmask_b32_e32 v17, v12, v14, vcc
	v_or_b32_e32 v13, 0x800000, v50
	v_add_u32_e32 v12, 21, v17
	v_cndmask_b32_e32 v50, v13, v50, vcc
	v_lshlrev_b64 v[12:13], v12, -1
	v_add_u32_e32 v14, 20, v17
	v_lshlrev_b64 v[18:19], v14, 1
	v_bfi_b32 v13, v13, 0, 0
	v_bfi_b32 v12, v12, 0, v50
	v_cmp_eq_u64_e64 s[18:19], v[12:13], v[18:19]
	v_lshrrev_b64 v[12:13], v17, v[50:51]
	v_mov_b32_e32 v14, v13
	v_mov_b32_e32 v13, v12
	s_and_saveexec_b64 s[90:91], s[18:19]
; %bb.5053:                             ;   in Loop: Header=BB4_5033 Depth=2
	v_bfe_u32 v13, v12, 21, 1
	v_add_co_u32_e64 v13, s[18:19], v12, v13
	v_add_co_u32_e64 v13, s[18:19], -1, v13
; %bb.5054:                             ;   in Loop: Header=BB4_5033 Depth=2
	s_or_b64 exec, exec, s[90:91]
	v_add_u32_e32 v14, 0xffffff81, v16
	v_mov_b32_e32 v16, 0xffffff82
	v_cndmask_b32_e32 v14, v14, v16, vcc
	v_lshrrev_b32_e32 v16, 23, v12
	v_add3_u32 v17, v17, v14, v16
	v_add_u32_e32 v16, 14, v17
	v_and_b32_e32 v13, 0x1fffff, v13
	v_add_u32_e32 v50, v13, v12
	v_cmp_ne_u32_e32 vcc, 0, v16
                                        ; implicit-def: $vgpr12_vgpr13
                                        ; implicit-def: $vgpr14
	s_and_saveexec_b64 s[18:19], vcc
	s_xor_b64 s[18:19], exec, s[18:19]
; %bb.5055:                             ;   in Loop: Header=BB4_5033 Depth=2
	v_cmp_lt_u64_e32 vcc, s[62:63], v[50:51]
	v_add_u32_e32 v12, 15, v17
	v_cndmask_b32_e32 v14, v16, v12, vcc
	v_cndmask_b32_e64 v12, 0, 1, vcc
	v_lshrrev_b64 v[12:13], v12, v[50:51]
; %bb.5056:                             ;   in Loop: Header=BB4_5033 Depth=2
	s_andn2_saveexec_b64 s[18:19], s[18:19]
; %bb.5057:                             ;   in Loop: Header=BB4_5033 Depth=2
	v_mov_b32_e32 v12, v50
	v_bfe_u32 v14, v50, 23, 1
	v_mov_b32_e32 v13, v51
; %bb.5058:                             ;   in Loop: Header=BB4_5033 Depth=2
	s_or_b64 exec, exec, s[18:19]
	v_lshrrev_b64 v[12:13], 21, v[12:13]
	v_cmp_gt_i32_e32 vcc, 32, v14
	v_cndmask_b32_e32 v13, 0, v13, vcc
	v_cndmask_b32_e32 v12, 3, v12, vcc
	v_cmp_ne_u64_e32 vcc, 0, v[12:13]
	v_cmp_ne_u32_e64 s[18:19], 0, v14
	s_or_b64 s[18:19], s[18:19], vcc
                                        ; implicit-def: $vgpr13
	s_and_saveexec_b64 s[90:91], s[18:19]
	s_xor_b64 s[18:19], exec, s[90:91]
; %bb.5059:                             ;   in Loop: Header=BB4_5033 Depth=2
	v_min_i32_e32 v13, 31, v14
	v_lshl_or_b32 v13, v13, 2, v15
	v_and_or_b32 v13, v12, 3, v13
                                        ; implicit-def: $vgpr15
; %bb.5060:                             ;   in Loop: Header=BB4_5033 Depth=2
	s_andn2_saveexec_b64 s[18:19], s[18:19]
; %bb.5061:                             ;   in Loop: Header=BB4_5033 Depth=2
	v_mov_b32_e32 v13, v15
; %bb.5062:                             ;   in Loop: Header=BB4_5033 Depth=2
	s_or_b64 exec, exec, s[18:19]
.LBB4_5063:                             ;   in Loop: Header=BB4_5033 Depth=2
	s_or_b64 exec, exec, s[88:89]
                                        ; implicit-def: $vgpr15
.LBB4_5064:                             ;   in Loop: Header=BB4_5033 Depth=2
	s_andn2_saveexec_b64 s[18:19], s[78:79]
; %bb.5065:                             ;   in Loop: Header=BB4_5033 Depth=2
	v_or_b32_e32 v13, 0x7b, v15
; %bb.5066:                             ;   in Loop: Header=BB4_5033 Depth=2
	s_or_b64 exec, exec, s[18:19]
                                        ; implicit-def: $vgpr12
.LBB4_5067:                             ;   in Loop: Header=BB4_5033 Depth=2
	s_andn2_saveexec_b64 s[18:19], s[76:77]
	s_cbranch_execz .LBB4_5032
; %bb.5068:                             ;   in Loop: Header=BB4_5033 Depth=2
	v_cmp_ne_u64_e32 vcc, 0, v[50:51]
                                        ; implicit-def: $vgpr13
	s_and_saveexec_b64 s[76:77], vcc
	s_xor_b64 s[76:77], exec, s[76:77]
; %bb.5069:                             ;   in Loop: Header=BB4_5033 Depth=2
	v_or_b32_sdwa v13, v12, s54 dst_sel:DWORD dst_unused:UNUSED_PAD src0_sel:BYTE_3 src1_sel:DWORD
                                        ; implicit-def: $vgpr12
; %bb.5070:                             ;   in Loop: Header=BB4_5033 Depth=2
	s_andn2_saveexec_b64 s[76:77], s[76:77]
	s_cbranch_execz .LBB4_5031
; %bb.5071:                             ;   in Loop: Header=BB4_5033 Depth=2
	v_cmp_lt_i32_e32 vcc, -1, v12
	v_mov_b32_e32 v12, 0x7c
	v_cndmask_b32_e32 v13, -4, v12, vcc
	s_branch .LBB4_5031
.LBB4_5072:                             ;   in Loop: Header=BB4_2603 Depth=1
	s_or_b64 exec, exec, s[20:21]
	buffer_load_dword v0, off, s[0:3], s33 offset:148 ; 4-byte Folded Reload
	buffer_load_dword v54, off, s[0:3], s33 offset:152 ; 4-byte Folded Reload
	;; [unrolled: 1-line block ×3, first 2 shown]
	s_waitcnt vmcnt(0)
	v_cmp_ne_u32_e64 s[18:19], 0, v0
	s_and_saveexec_b64 s[20:21], s[10:11]
	s_cbranch_execz .LBB4_5091
.LBB4_5073:                             ;   in Loop: Header=BB4_2603 Depth=1
	s_and_saveexec_b64 s[22:23], s[42:43]
	s_xor_b64 s[22:23], exec, s[22:23]
	s_cbranch_execz .LBB4_5088
; %bb.5074:                             ;   in Loop: Header=BB4_2603 Depth=1
	s_and_saveexec_b64 s[76:77], s[12:13]
	s_cbranch_execz .LBB4_5087
; %bb.5075:                             ;   in Loop: Header=BB4_2603 Depth=1
	s_mov_b64 s[88:89], exec
	v_mbcnt_lo_u32_b32 v0, s88, 0
	v_mbcnt_hi_u32_b32 v0, s89, v0
	v_cmp_eq_u32_e32 vcc, 0, v0
	s_waitcnt vmcnt(0) lgkmcnt(0)
	buffer_wbinvl1_vol
	s_and_saveexec_b64 s[78:79], vcc
	s_cbranch_execz .LBB4_5077
; %bb.5076:                             ;   in Loop: Header=BB4_2603 Depth=1
	s_bcnt1_i32_b64 s88, s[88:89]
	v_mov_b32_e32 v50, s88
	ds_add_u64 v0, v[50:51]
	s_trap 2
.LBB4_5077:                             ;   in Loop: Header=BB4_2603 Depth=1
	s_or_b64 exec, exec, s[78:79]
	s_trap 2
	ds_read_b64 v[0:1], v0
	s_waitcnt lgkmcnt(0)
	buffer_load_dword v2, off, s[0:3], s33 offset:60 ; 4-byte Folded Reload
	buffer_load_dword v3, off, s[0:3], s33 offset:64 ; 4-byte Folded Reload
	;; [unrolled: 1-line block ×3, first 2 shown]
	s_waitcnt vmcnt(0)
	v_add_co_u32_e32 v2, vcc, v2, v4
	v_addc_co_u32_e32 v3, vcc, 0, v3, vcc
	buffer_store_dword v2, off, s[0:3], s33 offset:60 ; 4-byte Folded Spill
	s_nop 0
	buffer_store_dword v3, off, s[0:3], s33 offset:64 ; 4-byte Folded Spill
	v_cmp_lt_u64_e32 vcc, v[0:1], v[2:3]
	s_and_saveexec_b64 s[78:79], vcc
	s_cbranch_execz .LBB4_5086
; %bb.5078:                             ;   in Loop: Header=BB4_2603 Depth=1
	s_mov_b32 s34, 0
	s_mov_b64 s[88:89], 0
                                        ; implicit-def: $sgpr90_sgpr91
                                        ; implicit-def: $sgpr92_sgpr93
	s_branch .LBB4_5080
.LBB4_5079:                             ;   in Loop: Header=BB4_5080 Depth=2
	s_or_b64 exec, exec, s[30:31]
	s_and_b64 s[94:95], exec, vcc
	s_or_b64 s[88:89], s[94:95], s[88:89]
	s_andn2_b64 s[90:91], s[90:91], exec
	s_and_b64 s[94:95], s[92:93], exec
	s_or_b64 s[90:91], s[90:91], s[94:95]
	s_andn2_b64 exec, exec, s[88:89]
	s_cbranch_execz .LBB4_5084
.LBB4_5080:                             ;   Parent Loop BB4_2603 Depth=1
                                        ; =>  This Inner Loop Header: Depth=2
	s_add_i32 s34, s34, 1
	s_cmpk_lg_i32 s34, 0x2710
	s_cselect_b64 s[94:95], -1, 0
	s_and_b64 vcc, exec, s[94:95]
	s_cbranch_vccz .LBB4_5082
; %bb.5081:                             ;   in Loop: Header=BB4_5080 Depth=2
	s_mov_b64 vcc, -1
	s_or_b64 s[92:93], s[92:93], exec
	s_and_saveexec_b64 s[30:31], s[94:95]
	s_cbranch_execz .LBB4_5079
	s_branch .LBB4_5083
.LBB4_5082:                             ;   in Loop: Header=BB4_5080 Depth=2
	s_trap 2
	ds_read_b64 v[0:1], v0
	s_andn2_b64 s[94:95], s[94:95], exec
	s_mov_b32 s34, 0
	s_waitcnt vmcnt(0) lgkmcnt(0)
	flat_load_dword v0, v[0:1] glc
	s_waitcnt vmcnt(0) lgkmcnt(0)
	buffer_wbinvl1_vol
	v_cmp_eq_u32_e32 vcc, 0, v0
	s_and_b64 vcc, vcc, exec
	s_or_b64 s[94:95], s[94:95], vcc
	s_mov_b64 vcc, -1
	s_or_b64 s[92:93], s[92:93], exec
	s_and_saveexec_b64 s[30:31], s[94:95]
	s_cbranch_execz .LBB4_5079
.LBB4_5083:                             ;   in Loop: Header=BB4_5080 Depth=2
	s_sleep 1
	s_trap 2
	ds_read_b64 v[0:1], v0
	s_waitcnt lgkmcnt(0)
	buffer_load_dword v2, off, s[0:3], s33 offset:60 ; 4-byte Folded Reload
	buffer_load_dword v3, off, s[0:3], s33 offset:64 ; 4-byte Folded Reload
	s_andn2_b64 s[92:93], s[92:93], exec
	s_waitcnt vmcnt(0)
	v_cmp_ge_u64_e32 vcc, v[0:1], v[2:3]
	s_orn2_b64 vcc, vcc, exec
	s_branch .LBB4_5079
.LBB4_5084:                             ;   in Loop: Header=BB4_2603 Depth=1
	s_or_b64 exec, exec, s[88:89]
	s_and_saveexec_b64 s[88:89], s[90:91]
	s_xor_b64 s[88:89], exec, s[88:89]
	s_cbranch_execz .LBB4_5086
; %bb.5085:                             ;   in Loop: Header=BB4_2603 Depth=1
	v_mov_b32_e32 v0, 1
	ds_write_b32 v0, v0
	s_trap 2
.LBB4_5086:                             ;   in Loop: Header=BB4_2603 Depth=1
	s_or_b64 exec, exec, s[78:79]
	;;#ASMSTART
	s_wakeup
	;;#ASMEND
.LBB4_5087:                             ;   in Loop: Header=BB4_2603 Depth=1
	s_or_b64 exec, exec, s[76:77]
.LBB4_5088:                             ;   in Loop: Header=BB4_2603 Depth=1
	s_andn2_saveexec_b64 s[22:23], s[22:23]
	s_cbranch_execz .LBB4_5090
; %bb.5089:                             ;   in Loop: Header=BB4_2603 Depth=1
	s_waitcnt vmcnt(0) lgkmcnt(0)
	buffer_wbinvl1_vol
	s_barrier
.LBB4_5090:                             ;   in Loop: Header=BB4_2603 Depth=1
	s_or_b64 exec, exec, s[22:23]
.LBB4_5091:                             ;   in Loop: Header=BB4_2603 Depth=1
	s_or_b64 exec, exec, s[20:21]
	v_and_b32_e32 v0, 16, v56
	v_cmp_ne_u32_e32 vcc, 0, v0
	s_and_b64 s[20:21], vcc, s[18:19]
	s_and_saveexec_b64 s[18:19], s[20:21]
	s_cbranch_execz .LBB4_5093
; %bb.5092:                             ;   in Loop: Header=BB4_2603 Depth=1
	s_waitcnt vmcnt(0) lgkmcnt(0)
	buffer_wbinvl1_vol
.LBB4_5093:                             ;   in Loop: Header=BB4_2603 Depth=1
	s_or_b64 exec, exec, s[18:19]
	v_and_b32_e32 v0, 32, v56
	v_cmp_ne_u32_e32 vcc, 0, v0
	s_and_saveexec_b64 s[18:19], vcc
	s_cbranch_execz .LBB4_5095
; %bb.5094:                             ;   in Loop: Header=BB4_2603 Depth=1
	v_add_co_u32_e32 v8, vcc, 1, v8
	v_addc_co_u32_e32 v9, vcc, 0, v9, vcc
	flat_store_dwordx2 v[32:33], v[8:9]
.LBB4_5095:                             ;   in Loop: Header=BB4_2603 Depth=1
	s_or_b64 exec, exec, s[18:19]
	buffer_load_dword v4, off, s[0:3], s33 offset:72 ; 4-byte Folded Reload
.LBB4_5096:                             ;   in Loop: Header=BB4_2603 Depth=1
	s_or_b64 exec, exec, s[74:75]
	s_and_saveexec_b64 s[20:21], s[72:73]
	s_cbranch_execz .LBB4_2602
; %bb.5097:                             ;   in Loop: Header=BB4_2603 Depth=1
	v_and_b32_e32 v0, 4, v56
	v_cmp_ne_u32_e32 vcc, 0, v0
	s_and_saveexec_b64 s[22:23], vcc
	s_cbranch_execz .LBB4_5119
; %bb.5098:                             ;   in Loop: Header=BB4_2603 Depth=1
	s_waitcnt lgkmcnt(0)
	v_add_co_u32_e32 v0, vcc, 1, v8
	v_addc_co_u32_e32 v1, vcc, 0, v9, vcc
	v_cmp_lt_u64_e32 vcc, v[38:39], v[0:1]
	s_and_saveexec_b64 s[72:73], vcc
	s_cbranch_execz .LBB4_5110
; %bb.5099:                             ;   in Loop: Header=BB4_2603 Depth=1
	v_and_b32_e32 v2, 64, v56
	s_mov_b32 s36, 0
	v_cmp_eq_u32_e32 vcc, 0, v2
	s_mov_b64 s[74:75], 0
                                        ; implicit-def: $sgpr76_sgpr77
                                        ; implicit-def: $sgpr78_sgpr79
                                        ; implicit-def: $sgpr88_sgpr89
	s_branch .LBB4_5103
.LBB4_5100:                             ;   in Loop: Header=BB4_5103 Depth=2
	s_waitcnt vmcnt(0) lgkmcnt(0)
	v_cmp_ge_u64_e64 s[18:19], v[38:39], v[0:1]
	s_or_b64 s[94:95], s[94:95], exec
	s_orn2_b64 s[92:93], s[18:19], exec
.LBB4_5101:                             ;   in Loop: Header=BB4_5103 Depth=2
	s_or_b64 exec, exec, s[34:35]
	s_andn2_b64 s[18:19], s[88:89], exec
	s_and_b64 s[88:89], s[94:95], exec
	s_or_b64 s[88:89], s[18:19], s[88:89]
	s_andn2_b64 s[18:19], s[78:79], exec
	s_and_b64 s[78:79], s[92:93], exec
	s_or_b64 s[78:79], s[18:19], s[78:79]
.LBB4_5102:                             ;   in Loop: Header=BB4_5103 Depth=2
	s_or_b64 exec, exec, s[90:91]
	s_and_b64 s[18:19], exec, s[78:79]
	s_or_b64 s[74:75], s[18:19], s[74:75]
	s_andn2_b64 s[18:19], s[76:77], exec
	s_and_b64 s[76:77], s[88:89], exec
	s_or_b64 s[76:77], s[18:19], s[76:77]
	s_andn2_b64 exec, exec, s[74:75]
	s_cbranch_execz .LBB4_5107
.LBB4_5103:                             ;   Parent Loop BB4_2603 Depth=1
                                        ; =>  This Inner Loop Header: Depth=2
	s_sleep 1
	s_waitcnt vmcnt(0) lgkmcnt(0)
	flat_load_dwordx2 v[38:39], v[32:33] glc
	s_or_b64 s[88:89], s[88:89], exec
	s_or_b64 s[78:79], s[78:79], exec
                                        ; implicit-def: $vgpr2
	s_and_saveexec_b64 s[90:91], vcc
	s_cbranch_execz .LBB4_5102
; %bb.5104:                             ;   in Loop: Header=BB4_5103 Depth=2
	s_cmpk_lt_i32 s36, 0x270f
	s_cselect_b64 s[30:31], -1, 0
	s_cmpk_gt_i32 s36, 0x270e
	s_mov_b64 s[92:93], -1
	s_cbranch_scc0 .LBB4_5106
; %bb.5105:                             ;   in Loop: Header=BB4_5103 Depth=2
	s_trap 2
	ds_read_b64 v[2:3], v0
	s_andn2_b64 s[30:31], s[30:31], exec
	s_mov_b32 s36, 0
	s_mov_b64 s[94:95], 0
	s_waitcnt vmcnt(0) lgkmcnt(0)
	flat_load_dword v2, v[2:3] glc
	s_waitcnt vmcnt(0) lgkmcnt(0)
	buffer_wbinvl1_vol
	v_cmp_eq_u32_e64 s[18:19], 0, v2
	s_and_b64 s[18:19], s[18:19], exec
	s_or_b64 s[30:31], s[30:31], s[18:19]
	s_and_saveexec_b64 s[34:35], s[30:31]
	s_cbranch_execz .LBB4_5101
	s_branch .LBB4_5100
.LBB4_5106:                             ;   in Loop: Header=BB4_5103 Depth=2
	s_add_i32 s36, s36, 1
	s_mov_b64 s[94:95], -1
                                        ; implicit-def: $vgpr2
	s_and_saveexec_b64 s[34:35], s[30:31]
	s_cbranch_execz .LBB4_5101
	s_branch .LBB4_5100
.LBB4_5107:                             ;   in Loop: Header=BB4_2603 Depth=1
	s_or_b64 exec, exec, s[74:75]
	s_xor_b64 s[18:19], s[76:77], -1
	s_and_saveexec_b64 s[74:75], s[18:19]
	s_xor_b64 s[18:19], exec, s[74:75]
	s_cbranch_execz .LBB4_5109
; %bb.5108:                             ;   in Loop: Header=BB4_2603 Depth=1
	v_or_b32_e32 v56, 64, v56
	s_waitcnt lgkmcnt(0)
	ds_write_b32 v0, v2
	s_trap 2
.LBB4_5109:                             ;   in Loop: Header=BB4_2603 Depth=1
	s_or_b64 exec, exec, s[18:19]
.LBB4_5110:                             ;   in Loop: Header=BB4_2603 Depth=1
	s_or_b64 exec, exec, s[72:73]
	v_and_b32_e32 v2, 0x100, v56
	v_cmp_ne_u32_e32 vcc, 0, v2
	v_and_b32_e32 v10, 7, v8
	s_mov_b64 s[18:19], -1
	;;#ASMSTART
	s_wakeup
	;;#ASMEND
                                        ; implicit-def: $vgpr2_vgpr3
	s_and_saveexec_b64 s[72:73], vcc
	s_cbranch_execz .LBB4_5114
; %bb.5111:                             ;   in Loop: Header=BB4_2603 Depth=1
	v_mad_u64_u32 v[8:9], s[18:19], v10, 24, v[6:7]
	flat_load_dword v2, v[8:9]
	s_waitcnt vmcnt(0) lgkmcnt(0)
	v_cmp_ne_u32_e32 vcc, 1, v2
	v_cmp_eq_u32_e64 s[18:19], 1, v2
                                        ; implicit-def: $vgpr2_vgpr3
	s_and_saveexec_b64 s[74:75], s[18:19]
	s_cbranch_execz .LBB4_5113
; %bb.5112:                             ;   in Loop: Header=BB4_2603 Depth=1
	flat_load_dword v2, v[8:9] offset:4 glc
	s_waitcnt vmcnt(0) lgkmcnt(0)
	v_ashrrev_i32_e32 v3, 31, v2
.LBB4_5113:                             ;   in Loop: Header=BB4_2603 Depth=1
	s_or_b64 exec, exec, s[74:75]
	s_orn2_b64 s[18:19], vcc, exec
.LBB4_5114:                             ;   in Loop: Header=BB4_2603 Depth=1
	s_or_b64 exec, exec, s[72:73]
	s_and_saveexec_b64 s[72:73], s[18:19]
	s_cbranch_execz .LBB4_5116
; %bb.5115:                             ;   in Loop: Header=BB4_2603 Depth=1
	buffer_load_dword v2, off, s[0:3], s33 offset:144 ; 4-byte Folded Reload
	s_waitcnt vmcnt(0)
	v_mad_i64_i32 v[2:3], s[18:19], v10, v2, 0
.LBB4_5116:                             ;   in Loop: Header=BB4_2603 Depth=1
	s_or_b64 exec, exec, s[72:73]
	buffer_load_dword v8, off, s[0:3], s33 offset:104 ; 4-byte Folded Reload
	buffer_load_dword v9, off, s[0:3], s33 offset:108 ; 4-byte Folded Reload
	s_waitcnt vmcnt(0)
	v_add_co_u32_e32 v2, vcc, v8, v2
	v_addc_co_u32_e32 v3, vcc, v9, v3, vcc
	ds_write_b64 v0, v[2:3] offset:728
	v_and_b32_e32 v2, 0x2000, v56
	v_cmp_ne_u32_e32 vcc, 0, v2
	s_and_saveexec_b64 s[18:19], vcc
	s_cbranch_execz .LBB4_5118
; %bb.5117:                             ;   in Loop: Header=BB4_2603 Depth=1
	ds_read_b64 v[2:3], v0 offset:872
	s_waitcnt lgkmcnt(0)
	v_add_co_u32_e32 v2, vcc, 1, v2
	v_addc_co_u32_e32 v3, vcc, 0, v3, vcc
	ds_write_b64 v0, v[2:3] offset:872
.LBB4_5118:                             ;   in Loop: Header=BB4_2603 Depth=1
	s_or_b64 exec, exec, s[18:19]
	v_mov_b32_e32 v9, v1
	v_mov_b32_e32 v8, v0
.LBB4_5119:                             ;   in Loop: Header=BB4_2603 Depth=1
	s_or_b64 exec, exec, s[22:23]
	s_and_saveexec_b64 s[18:19], s[10:11]
	s_cbranch_execz .LBB4_5138
; %bb.5120:                             ;   in Loop: Header=BB4_2603 Depth=1
	s_and_saveexec_b64 s[22:23], s[42:43]
	s_xor_b64 s[22:23], exec, s[22:23]
	s_cbranch_execz .LBB4_5135
; %bb.5121:                             ;   in Loop: Header=BB4_2603 Depth=1
	s_and_saveexec_b64 s[72:73], s[12:13]
	s_cbranch_execz .LBB4_5134
; %bb.5122:                             ;   in Loop: Header=BB4_2603 Depth=1
	s_mov_b64 s[76:77], exec
	v_mbcnt_lo_u32_b32 v0, s76, 0
	v_mbcnt_hi_u32_b32 v0, s77, v0
	v_cmp_eq_u32_e32 vcc, 0, v0
	s_waitcnt vmcnt(0) lgkmcnt(0)
	buffer_wbinvl1_vol
	s_and_saveexec_b64 s[74:75], vcc
	s_cbranch_execz .LBB4_5124
; %bb.5123:                             ;   in Loop: Header=BB4_2603 Depth=1
	s_bcnt1_i32_b64 s76, s[76:77]
	v_mov_b32_e32 v50, s76
	ds_add_u64 v0, v[50:51]
	s_trap 2
.LBB4_5124:                             ;   in Loop: Header=BB4_2603 Depth=1
	s_or_b64 exec, exec, s[74:75]
	s_trap 2
	ds_read_b64 v[0:1], v0
	s_waitcnt lgkmcnt(0)
	buffer_load_dword v2, off, s[0:3], s33 offset:60 ; 4-byte Folded Reload
	buffer_load_dword v3, off, s[0:3], s33 offset:64 ; 4-byte Folded Reload
	;; [unrolled: 1-line block ×3, first 2 shown]
	s_waitcnt vmcnt(0)
	v_add_co_u32_e32 v2, vcc, v2, v10
	v_addc_co_u32_e32 v3, vcc, 0, v3, vcc
	buffer_store_dword v2, off, s[0:3], s33 offset:60 ; 4-byte Folded Spill
	s_nop 0
	buffer_store_dword v3, off, s[0:3], s33 offset:64 ; 4-byte Folded Spill
	v_cmp_lt_u64_e32 vcc, v[0:1], v[2:3]
	s_and_saveexec_b64 s[74:75], vcc
	s_cbranch_execz .LBB4_5133
; %bb.5125:                             ;   in Loop: Header=BB4_2603 Depth=1
	s_mov_b32 s30, 0
	s_mov_b64 s[76:77], 0
                                        ; implicit-def: $sgpr78_sgpr79
                                        ; implicit-def: $sgpr88_sgpr89
	s_branch .LBB4_5127
.LBB4_5126:                             ;   in Loop: Header=BB4_5127 Depth=2
	s_or_b64 exec, exec, s[92:93]
	s_and_b64 s[90:91], exec, s[94:95]
	s_or_b64 s[76:77], s[90:91], s[76:77]
	s_andn2_b64 s[78:79], s[78:79], exec
	s_and_b64 s[90:91], s[88:89], exec
	s_or_b64 s[78:79], s[78:79], s[90:91]
	s_andn2_b64 exec, exec, s[76:77]
	s_cbranch_execz .LBB4_5131
.LBB4_5127:                             ;   Parent Loop BB4_2603 Depth=1
                                        ; =>  This Inner Loop Header: Depth=2
	s_add_i32 s30, s30, 1
	s_cmpk_lg_i32 s30, 0x2710
	s_cselect_b64 s[90:91], -1, 0
	s_and_b64 vcc, exec, s[90:91]
	s_cbranch_vccz .LBB4_5129
; %bb.5128:                             ;   in Loop: Header=BB4_5127 Depth=2
	s_mov_b64 s[94:95], -1
	s_or_b64 s[88:89], s[88:89], exec
	s_and_saveexec_b64 s[92:93], s[90:91]
	s_cbranch_execz .LBB4_5126
	s_branch .LBB4_5130
.LBB4_5129:                             ;   in Loop: Header=BB4_5127 Depth=2
	s_trap 2
	ds_read_b64 v[0:1], v0
	s_andn2_b64 s[90:91], s[90:91], exec
	s_mov_b32 s30, 0
	s_waitcnt vmcnt(0) lgkmcnt(0)
	flat_load_dword v0, v[0:1] glc
	s_waitcnt vmcnt(0) lgkmcnt(0)
	buffer_wbinvl1_vol
	v_cmp_eq_u32_e32 vcc, 0, v0
	s_and_b64 s[92:93], vcc, exec
	s_or_b64 s[90:91], s[90:91], s[92:93]
	s_mov_b64 s[94:95], -1
	s_or_b64 s[88:89], s[88:89], exec
	s_and_saveexec_b64 s[92:93], s[90:91]
	s_cbranch_execz .LBB4_5126
.LBB4_5130:                             ;   in Loop: Header=BB4_5127 Depth=2
	s_sleep 1
	s_trap 2
	ds_read_b64 v[0:1], v0
	s_waitcnt lgkmcnt(0)
	buffer_load_dword v2, off, s[0:3], s33 offset:60 ; 4-byte Folded Reload
	buffer_load_dword v3, off, s[0:3], s33 offset:64 ; 4-byte Folded Reload
	s_andn2_b64 s[88:89], s[88:89], exec
	s_waitcnt vmcnt(0)
	v_cmp_ge_u64_e32 vcc, v[0:1], v[2:3]
	s_orn2_b64 s[94:95], vcc, exec
	s_branch .LBB4_5126
.LBB4_5131:                             ;   in Loop: Header=BB4_2603 Depth=1
	s_or_b64 exec, exec, s[76:77]
	s_and_saveexec_b64 s[76:77], s[78:79]
	s_xor_b64 s[76:77], exec, s[76:77]
	s_cbranch_execz .LBB4_5133
; %bb.5132:                             ;   in Loop: Header=BB4_2603 Depth=1
	v_mov_b32_e32 v0, 1
	ds_write_b32 v0, v0
	s_trap 2
.LBB4_5133:                             ;   in Loop: Header=BB4_2603 Depth=1
	s_or_b64 exec, exec, s[74:75]
	;;#ASMSTART
	s_wakeup
	;;#ASMEND
.LBB4_5134:                             ;   in Loop: Header=BB4_2603 Depth=1
	s_or_b64 exec, exec, s[72:73]
.LBB4_5135:                             ;   in Loop: Header=BB4_2603 Depth=1
	s_andn2_saveexec_b64 s[22:23], s[22:23]
	s_cbranch_execz .LBB4_5137
; %bb.5136:                             ;   in Loop: Header=BB4_2603 Depth=1
	s_waitcnt vmcnt(0) lgkmcnt(0)
	buffer_wbinvl1_vol
	s_barrier
.LBB4_5137:                             ;   in Loop: Header=BB4_2603 Depth=1
	s_or_b64 exec, exec, s[22:23]
.LBB4_5138:                             ;   in Loop: Header=BB4_2603 Depth=1
	s_or_b64 exec, exec, s[18:19]
	s_trap 2
	ds_read_b32 v0, v0
	buffer_load_dword v1, off, s[0:3], s33 offset:128 ; 4-byte Folded Reload
	buffer_load_dword v2, off, s[0:3], s33 offset:132 ; 4-byte Folded Reload
	;; [unrolled: 1-line block ×3, first 2 shown]
	s_waitcnt lgkmcnt(0)
	v_readfirstlane_b32 s18, v0
	s_cmp_eq_u32 s18, 0
	s_cselect_b64 s[18:19], -1, 0
	v_and_b32_e32 v0, 16, v56
	s_waitcnt vmcnt(0)
	v_sub_u32_e32 v1, v1, v4
	v_min_i32_e32 v1, v2, v1
	v_cmp_lt_i32_e32 vcc, 0, v1
	s_and_b64 s[18:19], vcc, s[18:19]
	v_cmp_ne_u32_e32 vcc, 0, v0
	s_and_b64 s[22:23], vcc, s[18:19]
	s_and_saveexec_b64 s[18:19], s[22:23]
	s_cbranch_execz .LBB4_5140
; %bb.5139:                             ;   in Loop: Header=BB4_2603 Depth=1
	buffer_wbinvl1_vol
.LBB4_5140:                             ;   in Loop: Header=BB4_2603 Depth=1
	s_or_b64 exec, exec, s[18:19]
	v_and_b32_e32 v0, 32, v56
	v_cmp_ne_u32_e32 vcc, 0, v0
	s_and_saveexec_b64 s[18:19], vcc
	s_cbranch_execz .LBB4_2601
; %bb.5141:                             ;   in Loop: Header=BB4_2603 Depth=1
	v_add_co_u32_e32 v8, vcc, 1, v8
	v_addc_co_u32_e32 v9, vcc, 0, v9, vcc
	flat_store_dwordx2 v[32:33], v[8:9]
	s_branch .LBB4_2601
.LBB4_5142:
	s_or_b64 exec, exec, s[44:45]
	buffer_load_dword v30, off, s[0:3], s33 offset:204 ; 4-byte Folded Reload
	buffer_load_dword v31, off, s[0:3], s33 offset:208 ; 4-byte Folded Reload
	;; [unrolled: 1-line block ×4, first 2 shown]
.LBB4_5143:
	s_or_b64 exec, exec, s[40:41]
.LBB4_5144:
	s_or_b64 exec, exec, s[24:25]
                                        ; implicit-def: $vgpr0_vgpr1
                                        ; kill: killed $vgpr0_vgpr1
                                        ; implicit-def: $vgpr54_vgpr55
                                        ; implicit-def: $vgpr48_vgpr49
                                        ; implicit-def: $vgpr38_vgpr39
                                        ; implicit-def: $vgpr32_vgpr33
                                        ; implicit-def: $vgpr47
                                        ; implicit-def: $vgpr20
                                        ; implicit-def: $vgpr36
                                        ; implicit-def: $vgpr0
                                        ; kill: killed $vgpr0
                                        ; implicit-def: $vgpr0_vgpr1
                                        ; kill: killed $vgpr0_vgpr1
.LBB4_5145:
	s_andn2_saveexec_b64 s[22:23], s[28:29]
	s_cbranch_execz .LBB4_5319
; %bb.5146:
	s_waitcnt vmcnt(0)
	v_mov_b32_e32 v45, 0
	v_cmp_ne_u64_e32 vcc, 0, v[48:49]
	v_mov_b32_e32 v46, 0
	s_and_saveexec_b64 s[24:25], vcc
	s_cbranch_execz .LBB4_5318
; %bb.5147:
	v_and_b32_e32 v0, 63, v60
	v_cmp_eq_u32_e64 s[12:13], 0, v0
	v_ashrrev_i32_e32 v0, 31, v47
	v_lshrrev_b32_e32 v0, 26, v0
	v_add_u32_e32 v0, v47, v0
	v_and_b32_e32 v1, 0xffffffc0, v0
	v_ashrrev_i32_e32 v19, 6, v0
	s_trap 2
	buffer_store_dword v61, off, s[0:3], s33 offset:172 ; 4-byte Folded Spill
	buffer_store_dword v60, off, s[0:3], s33 offset:168 ; 4-byte Folded Spill
	v_sub_u32_e32 v5, v47, v1
	v_lshlrev_b32_e32 v0, 12, v19
	v_cmp_lt_i32_e64 s[16:17], v5, v20
	v_lshl_add_u32 v20, v5, 4, v0
	buffer_load_dword v0, off, s[0:3], s33 offset:136 ; 4-byte Folded Reload
	buffer_load_dword v1, off, s[0:3], s33 offset:140 ; 4-byte Folded Reload
	s_ashr_i32 s6, s48, 31
	s_lshr_b32 s6, s6, 24
	s_add_i32 s48, s48, s6
	v_cmp_eq_u32_e32 vcc, 64, v44
	v_lshrrev_b32_e32 v4, 6, v44
	v_mov_b32_e32 v10, 0
	v_mov_b32_e32 v45, 0
	v_mov_b32_e32 v60, v55
	v_mov_b32_e32 v58, v37
	s_ashr_i32 s94, s48, 8
	v_cmp_ge_i32_e64 s[6:7], v47, v44
	v_cmp_ne_u32_e64 s[10:11], 64, v44
	v_cmp_ne_u32_sdwa s[28:29], v44, v61 src0_sel:DWORD src1_sel:WORD_0
	v_mov_b32_e32 v3, 0
	v_cmp_gt_i32_e64 s[14:15], 1, v5
	v_ashrrev_i32_e32 v21, 31, v20
	v_lshlrev_b32_e32 v22, 12, v4
	v_lshlrev_b32_e32 v23, 10, v4
	v_and_b32_e32 v24, 0x3fc0, v44
	s_mov_b64 s[40:41], 0
	v_mov_b32_e32 v11, 0
	v_mov_b32_e32 v46, 0
	;; [unrolled: 1-line block ×3, first 2 shown]
	s_xor_b64 s[42:43], vcc, -1
	s_mov_b32 s95, 0x3ffffc00
	v_mov_b32_e32 v59, v54
	v_mov_b32_e32 v57, v36
	s_waitcnt vmcnt(0)
	v_cmp_ne_u64_e64 s[18:19], 0, v[0:1]
	v_mov_b32_e32 v0, v48
	v_mov_b32_e32 v1, v49
	buffer_store_dword v0, off, s[0:3], s33 offset:88 ; 4-byte Folded Spill
	s_nop 0
	buffer_store_dword v1, off, s[0:3], s33 offset:92 ; 4-byte Folded Spill
	buffer_store_dword v2, off, s[0:3], s33 offset:96 ; 4-byte Folded Spill
	;; [unrolled: 1-line block ×3, first 2 shown]
	s_branch .LBB4_5151
.LBB4_5148:                             ;   in Loop: Header=BB4_5151 Depth=1
	s_or_b64 exec, exec, s[44:45]
	v_add_co_u32_e32 v8, vcc, 1, v8
	v_addc_co_u32_e32 v9, vcc, 0, v9, vcc
	flat_store_dwordx2 v[32:33], v[8:9]
.LBB4_5149:                             ;   in Loop: Header=BB4_5151 Depth=1
	s_or_b64 exec, exec, s[20:21]
.LBB4_5150:                             ;   in Loop: Header=BB4_5151 Depth=1
	s_or_b64 exec, exec, s[46:47]
	v_add_co_u32_e32 v10, vcc, v10, v36
	v_addc_co_u32_e32 v11, vcc, 0, v11, vcc
	s_waitcnt vmcnt(0)
	v_cmp_ge_u64_e32 vcc, v[10:11], v[48:49]
	s_or_b64 s[40:41], vcc, s[40:41]
	s_andn2_b64 exec, exec, s[40:41]
	s_cbranch_execz .LBB4_5317
.LBB4_5151:                             ; =>This Loop Header: Depth=1
                                        ;     Child Loop BB4_5160 Depth 2
                                        ;     Child Loop BB4_5184 Depth 2
                                        ;     Child Loop BB4_5203 Depth 2
                                        ;     Child Loop BB4_5225 Depth 2
                                        ;     Child Loop BB4_5230 Depth 2
                                        ;     Child Loop BB4_5238 Depth 2
                                        ;     Child Loop BB4_5243 Depth 2
                                        ;     Child Loop BB4_5252 Depth 2
                                        ;     Child Loop BB4_5277 Depth 2
                                        ;     Child Loop BB4_5301 Depth 2
	v_sub_co_u32_e32 v0, vcc, v48, v10
	v_subb_co_u32_e32 v1, vcc, v49, v11, vcc
	v_cmp_lt_u64_e32 vcc, v[36:37], v[0:1]
	v_cndmask_b32_e64 v13, v1, 0, vcc
	v_cndmask_b32_e32 v12, v0, v36, vcc
	v_cmp_eq_u64_e32 vcc, 0, v[12:13]
	v_add_u32_e32 v0, 15, v12
	v_and_b32_e32 v0, 0x7ffffff0, v0
	s_or_b64 s[44:45], s[6:7], vcc
	v_max_i32_e32 v2, s94, v0
	s_xor_b64 s[20:21], s[44:45], -1
	v_mov_b32_e32 v0, 0
	s_and_saveexec_b64 s[46:47], s[20:21]
	s_cbranch_execz .LBB4_5270
; %bb.5152:                             ;   in Loop: Header=BB4_5151 Depth=1
	s_and_saveexec_b64 s[20:21], s[4:5]
	s_cbranch_execz .LBB4_5154
; %bb.5153:                             ;   in Loop: Header=BB4_5151 Depth=1
	s_trap 2
	ds_read_b64 v[0:1], v0
	s_waitcnt lgkmcnt(0)
	v_add_co_u32_e32 v0, vcc, v0, v54
	v_addc_co_u32_e32 v1, vcc, v1, v55, vcc
	v_add_co_u32_e32 v0, vcc, v0, v10
	v_addc_co_u32_e32 v1, vcc, v1, v11, vcc
	ds_write_b64 v0, v[0:1]
	v_mov_b32_e32 v0, v3
	v_mov_b32_e32 v1, v3
	ds_write_b64 v0, v[0:1]
.LBB4_5154:                             ;   in Loop: Header=BB4_5151 Depth=1
	s_or_b64 exec, exec, s[20:21]
	v_and_b32_e32 v0, 8, v56
	v_min_u32_e32 v2, v2, v12
	v_cmp_ne_u32_e32 vcc, 0, v0
	s_and_saveexec_b64 s[56:57], vcc
	s_cbranch_execz .LBB4_5176
; %bb.5155:                             ;   in Loop: Header=BB4_5151 Depth=1
	v_add_co_u32_e32 v13, vcc, 8, v38
	v_addc_co_u32_e32 v14, vcc, 0, v39, vcc
	s_waitcnt lgkmcnt(0)
	v_add_co_u32_e32 v0, vcc, 1, v8
	v_addc_co_u32_e32 v1, vcc, 0, v9, vcc
	v_cmp_lt_u64_e32 vcc, v[13:14], v[0:1]
	s_and_saveexec_b64 s[58:59], vcc
	s_cbranch_execz .LBB4_5167
; %bb.5156:                             ;   in Loop: Header=BB4_5151 Depth=1
	v_and_b32_e32 v9, 64, v56
	s_mov_b32 s30, 0
	v_cmp_eq_u32_e32 vcc, 0, v9
	s_mov_b64 s[60:61], 0
                                        ; implicit-def: $sgpr62_sgpr63
                                        ; implicit-def: $sgpr72_sgpr73
                                        ; implicit-def: $sgpr74_sgpr75
	s_branch .LBB4_5160
.LBB4_5157:                             ;   in Loop: Header=BB4_5160 Depth=2
	s_waitcnt vmcnt(0) lgkmcnt(0)
	v_add_co_u32_e64 v13, s[20:21], 8, v38
	v_addc_co_u32_e64 v14, s[20:21], 0, v39, s[20:21]
	v_cmp_ge_u64_e64 s[20:21], v[13:14], v[0:1]
	s_or_b64 s[88:89], s[88:89], exec
	s_orn2_b64 s[78:79], s[20:21], exec
.LBB4_5158:                             ;   in Loop: Header=BB4_5160 Depth=2
	s_or_b64 exec, exec, s[92:93]
	s_andn2_b64 s[20:21], s[74:75], exec
	s_and_b64 s[74:75], s[88:89], exec
	s_or_b64 s[74:75], s[20:21], s[74:75]
	s_andn2_b64 s[20:21], s[72:73], exec
	s_and_b64 s[72:73], s[78:79], exec
	s_or_b64 s[72:73], s[20:21], s[72:73]
.LBB4_5159:                             ;   in Loop: Header=BB4_5160 Depth=2
	s_or_b64 exec, exec, s[76:77]
	s_and_b64 s[20:21], exec, s[72:73]
	s_or_b64 s[60:61], s[20:21], s[60:61]
	s_andn2_b64 s[20:21], s[62:63], exec
	s_and_b64 s[62:63], s[74:75], exec
	s_or_b64 s[62:63], s[20:21], s[62:63]
	s_andn2_b64 exec, exec, s[60:61]
	s_cbranch_execz .LBB4_5164
.LBB4_5160:                             ;   Parent Loop BB4_5151 Depth=1
                                        ; =>  This Inner Loop Header: Depth=2
	s_sleep 1
	s_waitcnt vmcnt(0) lgkmcnt(0)
	flat_load_dwordx2 v[38:39], v[32:33] glc
	s_or_b64 s[74:75], s[74:75], exec
	s_or_b64 s[72:73], s[72:73], exec
                                        ; implicit-def: $vgpr9
	s_and_saveexec_b64 s[76:77], vcc
	s_cbranch_execz .LBB4_5159
; %bb.5161:                             ;   in Loop: Header=BB4_5160 Depth=2
	s_cmpk_lt_i32 s30, 0x270f
	s_cselect_b64 s[90:91], -1, 0
	s_cmpk_gt_i32 s30, 0x270e
	s_mov_b64 s[78:79], -1
	s_cbranch_scc0 .LBB4_5163
; %bb.5162:                             ;   in Loop: Header=BB4_5160 Depth=2
	s_trap 2
	ds_read_b64 v[13:14], v0
	s_andn2_b64 s[90:91], s[90:91], exec
	s_mov_b32 s30, 0
	s_mov_b64 s[88:89], 0
	s_waitcnt vmcnt(0) lgkmcnt(0)
	flat_load_dword v9, v[13:14] glc
	s_waitcnt vmcnt(0) lgkmcnt(0)
	buffer_wbinvl1_vol
	v_cmp_eq_u32_e64 s[20:21], 0, v9
	s_and_b64 s[20:21], s[20:21], exec
	s_or_b64 s[90:91], s[90:91], s[20:21]
	s_and_saveexec_b64 s[92:93], s[90:91]
	s_cbranch_execz .LBB4_5158
	s_branch .LBB4_5157
.LBB4_5163:                             ;   in Loop: Header=BB4_5160 Depth=2
	s_add_i32 s30, s30, 1
	s_mov_b64 s[88:89], -1
                                        ; implicit-def: $vgpr9
	s_and_saveexec_b64 s[92:93], s[90:91]
	s_cbranch_execz .LBB4_5158
	s_branch .LBB4_5157
.LBB4_5164:                             ;   in Loop: Header=BB4_5151 Depth=1
	s_or_b64 exec, exec, s[60:61]
	s_xor_b64 s[20:21], s[62:63], -1
	s_and_saveexec_b64 s[60:61], s[20:21]
	s_xor_b64 s[20:21], exec, s[60:61]
	s_cbranch_execz .LBB4_5166
; %bb.5165:                             ;   in Loop: Header=BB4_5151 Depth=1
	v_or_b32_e32 v56, 64, v56
	s_waitcnt lgkmcnt(0)
	ds_write_b32 v0, v9
	s_trap 2
.LBB4_5166:                             ;   in Loop: Header=BB4_5151 Depth=1
	s_or_b64 exec, exec, s[20:21]
.LBB4_5167:                             ;   in Loop: Header=BB4_5151 Depth=1
	s_or_b64 exec, exec, s[58:59]
	v_and_b32_e32 v9, 0x100, v56
	v_cmp_ne_u32_e32 vcc, 0, v9
	v_and_b32_e32 v15, 7, v8
	s_mov_b64 s[20:21], -1
	;;#ASMSTART
	s_wakeup
	;;#ASMEND
                                        ; implicit-def: $vgpr8_vgpr9
	s_and_saveexec_b64 s[58:59], vcc
	s_cbranch_execz .LBB4_5171
; %bb.5168:                             ;   in Loop: Header=BB4_5151 Depth=1
	v_mad_u64_u32 v[13:14], s[20:21], v15, 24, v[6:7]
	flat_load_dword v8, v[13:14]
	s_nop 0
	flat_store_dwordx2 v[13:14], v[2:3] offset:8
	s_waitcnt vmcnt(0) lgkmcnt(0)
	v_cmp_ne_u32_e32 vcc, 1, v8
	v_cmp_eq_u32_e64 s[20:21], 1, v8
                                        ; implicit-def: $vgpr8_vgpr9
	s_and_saveexec_b64 s[60:61], s[20:21]
	s_cbranch_execz .LBB4_5170
; %bb.5169:                             ;   in Loop: Header=BB4_5151 Depth=1
	flat_load_dword v8, v[13:14] offset:4 glc
	s_waitcnt vmcnt(0) lgkmcnt(0)
	v_ashrrev_i32_e32 v9, 31, v8
.LBB4_5170:                             ;   in Loop: Header=BB4_5151 Depth=1
	s_or_b64 exec, exec, s[60:61]
	s_orn2_b64 s[20:21], vcc, exec
.LBB4_5171:                             ;   in Loop: Header=BB4_5151 Depth=1
	s_or_b64 exec, exec, s[58:59]
	s_and_saveexec_b64 s[58:59], s[20:21]
	s_cbranch_execz .LBB4_5173
; %bb.5172:                             ;   in Loop: Header=BB4_5151 Depth=1
	buffer_load_dword v8, off, s[0:3], s33 offset:144 ; 4-byte Folded Reload
	s_waitcnt vmcnt(0)
	v_mad_i64_i32 v[8:9], s[20:21], v15, v8, 0
.LBB4_5173:                             ;   in Loop: Header=BB4_5151 Depth=1
	s_or_b64 exec, exec, s[58:59]
	buffer_load_dword v13, off, s[0:3], s33 offset:104 ; 4-byte Folded Reload
	buffer_load_dword v14, off, s[0:3], s33 offset:108 ; 4-byte Folded Reload
	s_waitcnt vmcnt(0)
	v_add_co_u32_e32 v8, vcc, v13, v8
	v_addc_co_u32_e32 v9, vcc, v14, v9, vcc
	ds_write_b64 v0, v[8:9] offset:784
	v_and_b32_e32 v8, 0x2000, v56
	v_cmp_ne_u32_e32 vcc, 0, v8
	s_and_saveexec_b64 s[20:21], vcc
	s_cbranch_execz .LBB4_5175
; %bb.5174:                             ;   in Loop: Header=BB4_5151 Depth=1
	ds_read_b64 v[8:9], v0 offset:872
	s_waitcnt lgkmcnt(0)
	v_add_co_u32_e32 v8, vcc, 1, v8
	v_addc_co_u32_e32 v9, vcc, 0, v9, vcc
	ds_write_b64 v0, v[8:9] offset:872
.LBB4_5175:                             ;   in Loop: Header=BB4_5151 Depth=1
	s_or_b64 exec, exec, s[20:21]
	v_mov_b32_e32 v9, v1
	v_mov_b32_e32 v8, v0
.LBB4_5176:                             ;   in Loop: Header=BB4_5151 Depth=1
	s_or_b64 exec, exec, s[56:57]
	s_and_saveexec_b64 s[20:21], s[10:11]
	s_cbranch_execz .LBB4_5195
; %bb.5177:                             ;   in Loop: Header=BB4_5151 Depth=1
	s_and_saveexec_b64 s[56:57], s[28:29]
	s_xor_b64 s[56:57], exec, s[56:57]
	s_cbranch_execz .LBB4_5192
; %bb.5178:                             ;   in Loop: Header=BB4_5151 Depth=1
	s_and_saveexec_b64 s[58:59], s[12:13]
	s_cbranch_execz .LBB4_5191
; %bb.5179:                             ;   in Loop: Header=BB4_5151 Depth=1
	s_mov_b64 s[62:63], exec
	v_mbcnt_lo_u32_b32 v0, s62, 0
	v_mbcnt_hi_u32_b32 v0, s63, v0
	v_cmp_eq_u32_e32 vcc, 0, v0
	s_waitcnt vmcnt(0) lgkmcnt(0)
	buffer_wbinvl1_vol
	s_and_saveexec_b64 s[60:61], vcc
	s_cbranch_execz .LBB4_5181
; %bb.5180:                             ;   in Loop: Header=BB4_5151 Depth=1
	s_bcnt1_i32_b64 s62, s[62:63]
	v_mov_b32_e32 v0, s62
	v_mov_b32_e32 v1, v3
	ds_add_u64 v0, v[0:1]
	s_trap 2
.LBB4_5181:                             ;   in Loop: Header=BB4_5151 Depth=1
	s_or_b64 exec, exec, s[60:61]
	s_trap 2
	ds_read_b64 v[0:1], v0
	s_waitcnt lgkmcnt(0)
	v_add_co_u32_e32 v45, vcc, v45, v4
	v_addc_co_u32_e32 v46, vcc, 0, v46, vcc
	v_cmp_lt_u64_e32 vcc, v[0:1], v[45:46]
	s_and_saveexec_b64 s[60:61], vcc
	s_cbranch_execz .LBB4_5190
; %bb.5182:                             ;   in Loop: Header=BB4_5151 Depth=1
	s_mov_b32 s90, 0
	s_mov_b64 s[62:63], 0
                                        ; implicit-def: $sgpr72_sgpr73
                                        ; implicit-def: $sgpr74_sgpr75
	s_branch .LBB4_5184
.LBB4_5183:                             ;   in Loop: Header=BB4_5184 Depth=2
	s_or_b64 exec, exec, s[78:79]
	s_and_b64 s[76:77], exec, s[88:89]
	s_or_b64 s[62:63], s[76:77], s[62:63]
	s_andn2_b64 s[72:73], s[72:73], exec
	s_and_b64 s[76:77], s[74:75], exec
	s_or_b64 s[72:73], s[72:73], s[76:77]
	s_andn2_b64 exec, exec, s[62:63]
	s_cbranch_execz .LBB4_5188
.LBB4_5184:                             ;   Parent Loop BB4_5151 Depth=1
                                        ; =>  This Inner Loop Header: Depth=2
	s_add_i32 s90, s90, 1
	s_cmpk_lg_i32 s90, 0x2710
	s_cselect_b64 s[76:77], -1, 0
	s_and_b64 vcc, exec, s[76:77]
	s_cbranch_vccz .LBB4_5186
; %bb.5185:                             ;   in Loop: Header=BB4_5184 Depth=2
	s_mov_b64 s[88:89], -1
	s_or_b64 s[74:75], s[74:75], exec
	s_and_saveexec_b64 s[78:79], s[76:77]
	s_cbranch_execz .LBB4_5183
	s_branch .LBB4_5187
.LBB4_5186:                             ;   in Loop: Header=BB4_5184 Depth=2
	s_trap 2
	ds_read_b64 v[0:1], v0
	s_andn2_b64 s[76:77], s[76:77], exec
	s_mov_b32 s90, 0
	s_waitcnt lgkmcnt(0)
	flat_load_dword v0, v[0:1] glc
	s_waitcnt vmcnt(0) lgkmcnt(0)
	buffer_wbinvl1_vol
	v_cmp_eq_u32_e32 vcc, 0, v0
	s_and_b64 s[78:79], vcc, exec
	s_or_b64 s[76:77], s[76:77], s[78:79]
	s_mov_b64 s[88:89], -1
	s_or_b64 s[74:75], s[74:75], exec
	s_and_saveexec_b64 s[78:79], s[76:77]
	s_cbranch_execz .LBB4_5183
.LBB4_5187:                             ;   in Loop: Header=BB4_5184 Depth=2
	s_sleep 1
	s_trap 2
	ds_read_b64 v[0:1], v0
	s_waitcnt lgkmcnt(0)
	s_andn2_b64 s[74:75], s[74:75], exec
	v_cmp_ge_u64_e32 vcc, v[0:1], v[45:46]
	s_orn2_b64 s[88:89], vcc, exec
	s_branch .LBB4_5183
.LBB4_5188:                             ;   in Loop: Header=BB4_5151 Depth=1
	s_or_b64 exec, exec, s[62:63]
	s_and_saveexec_b64 s[62:63], s[72:73]
	s_xor_b64 s[62:63], exec, s[62:63]
	s_cbranch_execz .LBB4_5190
; %bb.5189:                             ;   in Loop: Header=BB4_5151 Depth=1
	ds_write_b32 v0, v25
	s_trap 2
.LBB4_5190:                             ;   in Loop: Header=BB4_5151 Depth=1
	s_or_b64 exec, exec, s[60:61]
	;;#ASMSTART
	s_wakeup
	;;#ASMEND
.LBB4_5191:                             ;   in Loop: Header=BB4_5151 Depth=1
	s_or_b64 exec, exec, s[58:59]
.LBB4_5192:                             ;   in Loop: Header=BB4_5151 Depth=1
	s_andn2_saveexec_b64 s[56:57], s[56:57]
	s_cbranch_execz .LBB4_5194
; %bb.5193:                             ;   in Loop: Header=BB4_5151 Depth=1
	s_waitcnt vmcnt(0) lgkmcnt(0)
	buffer_wbinvl1_vol
	s_barrier
.LBB4_5194:                             ;   in Loop: Header=BB4_5151 Depth=1
	s_or_b64 exec, exec, s[56:57]
.LBB4_5195:                             ;   in Loop: Header=BB4_5151 Depth=1
	s_or_b64 exec, exec, s[20:21]
	s_trap 2
	ds_read_b32 v15, v0
	v_and_b32_e32 v0, 0x4000, v56
	v_cmp_ne_u32_e32 vcc, 0, v0
	s_and_b64 s[56:57], s[42:43], vcc
	s_and_saveexec_b64 s[20:21], s[56:57]
	s_cbranch_execz .LBB4_5214
; %bb.5196:                             ;   in Loop: Header=BB4_5151 Depth=1
	s_and_saveexec_b64 s[56:57], s[28:29]
	s_xor_b64 s[56:57], exec, s[56:57]
	s_cbranch_execz .LBB4_5211
; %bb.5197:                             ;   in Loop: Header=BB4_5151 Depth=1
	s_and_saveexec_b64 s[58:59], s[12:13]
	s_cbranch_execz .LBB4_5210
; %bb.5198:                             ;   in Loop: Header=BB4_5151 Depth=1
	s_mov_b64 s[62:63], exec
	v_mbcnt_lo_u32_b32 v0, s62, 0
	v_mbcnt_hi_u32_b32 v0, s63, v0
	v_cmp_eq_u32_e32 vcc, 0, v0
	s_waitcnt vmcnt(0) lgkmcnt(0)
	buffer_wbinvl1_vol
	s_and_saveexec_b64 s[60:61], vcc
	s_cbranch_execz .LBB4_5200
; %bb.5199:                             ;   in Loop: Header=BB4_5151 Depth=1
	s_bcnt1_i32_b64 s62, s[62:63]
	v_mov_b32_e32 v0, s62
	v_mov_b32_e32 v1, v3
	ds_add_u64 v0, v[0:1]
	s_trap 2
.LBB4_5200:                             ;   in Loop: Header=BB4_5151 Depth=1
	s_or_b64 exec, exec, s[60:61]
	s_trap 2
	ds_read_b64 v[0:1], v0
	s_waitcnt lgkmcnt(0)
	v_add_co_u32_e32 v45, vcc, v45, v4
	v_addc_co_u32_e32 v46, vcc, 0, v46, vcc
	v_cmp_lt_u64_e32 vcc, v[0:1], v[45:46]
	s_and_saveexec_b64 s[60:61], vcc
	s_cbranch_execz .LBB4_5209
; %bb.5201:                             ;   in Loop: Header=BB4_5151 Depth=1
	s_mov_b32 s90, 0
	s_mov_b64 s[62:63], 0
                                        ; implicit-def: $sgpr72_sgpr73
                                        ; implicit-def: $sgpr74_sgpr75
	s_branch .LBB4_5203
.LBB4_5202:                             ;   in Loop: Header=BB4_5203 Depth=2
	s_or_b64 exec, exec, s[78:79]
	s_and_b64 s[76:77], exec, s[88:89]
	s_or_b64 s[62:63], s[76:77], s[62:63]
	s_andn2_b64 s[72:73], s[72:73], exec
	s_and_b64 s[76:77], s[74:75], exec
	s_or_b64 s[72:73], s[72:73], s[76:77]
	s_andn2_b64 exec, exec, s[62:63]
	s_cbranch_execz .LBB4_5207
.LBB4_5203:                             ;   Parent Loop BB4_5151 Depth=1
                                        ; =>  This Inner Loop Header: Depth=2
	s_add_i32 s90, s90, 1
	s_cmpk_lg_i32 s90, 0x2710
	s_cselect_b64 s[76:77], -1, 0
	s_and_b64 vcc, exec, s[76:77]
	s_cbranch_vccz .LBB4_5205
; %bb.5204:                             ;   in Loop: Header=BB4_5203 Depth=2
	s_mov_b64 s[88:89], -1
	s_or_b64 s[74:75], s[74:75], exec
	s_and_saveexec_b64 s[78:79], s[76:77]
	s_cbranch_execz .LBB4_5202
	s_branch .LBB4_5206
.LBB4_5205:                             ;   in Loop: Header=BB4_5203 Depth=2
	s_trap 2
	ds_read_b64 v[0:1], v0
	s_andn2_b64 s[76:77], s[76:77], exec
	s_mov_b32 s90, 0
	s_waitcnt lgkmcnt(0)
	flat_load_dword v0, v[0:1] glc
	s_waitcnt vmcnt(0) lgkmcnt(0)
	buffer_wbinvl1_vol
	v_cmp_eq_u32_e32 vcc, 0, v0
	s_and_b64 s[78:79], vcc, exec
	s_or_b64 s[76:77], s[76:77], s[78:79]
	s_mov_b64 s[88:89], -1
	s_or_b64 s[74:75], s[74:75], exec
	s_and_saveexec_b64 s[78:79], s[76:77]
	s_cbranch_execz .LBB4_5202
.LBB4_5206:                             ;   in Loop: Header=BB4_5203 Depth=2
	s_sleep 1
	s_trap 2
	ds_read_b64 v[0:1], v0
	s_waitcnt lgkmcnt(0)
	s_andn2_b64 s[74:75], s[74:75], exec
	v_cmp_ge_u64_e32 vcc, v[0:1], v[45:46]
	s_orn2_b64 s[88:89], vcc, exec
	s_branch .LBB4_5202
.LBB4_5207:                             ;   in Loop: Header=BB4_5151 Depth=1
	s_or_b64 exec, exec, s[62:63]
	s_and_saveexec_b64 s[62:63], s[72:73]
	s_xor_b64 s[62:63], exec, s[62:63]
	s_cbranch_execz .LBB4_5209
; %bb.5208:                             ;   in Loop: Header=BB4_5151 Depth=1
	ds_write_b32 v0, v25
	s_trap 2
.LBB4_5209:                             ;   in Loop: Header=BB4_5151 Depth=1
	s_or_b64 exec, exec, s[60:61]
	;;#ASMSTART
	s_wakeup
	;;#ASMEND
.LBB4_5210:                             ;   in Loop: Header=BB4_5151 Depth=1
	s_or_b64 exec, exec, s[58:59]
.LBB4_5211:                             ;   in Loop: Header=BB4_5151 Depth=1
	s_andn2_saveexec_b64 s[56:57], s[56:57]
	s_cbranch_execz .LBB4_5213
; %bb.5212:                             ;   in Loop: Header=BB4_5151 Depth=1
	s_waitcnt vmcnt(0) lgkmcnt(0)
	buffer_wbinvl1_vol
	s_barrier
.LBB4_5213:                             ;   in Loop: Header=BB4_5151 Depth=1
	s_or_b64 exec, exec, s[56:57]
.LBB4_5214:                             ;   in Loop: Header=BB4_5151 Depth=1
	s_or_b64 exec, exec, s[20:21]
	s_trap 2
	ds_read_b64 v[0:1], v0
	s_waitcnt lgkmcnt(0)
	v_cmp_eq_u64_e32 vcc, 0, v[0:1]
	s_cbranch_vccnz .LBB4_5222
; %bb.5215:                             ;   in Loop: Header=BB4_5151 Depth=1
	s_trap 2
	ds_read_b64 v[13:14], v0
	s_waitcnt lgkmcnt(0)
	v_cmp_eq_u64_e32 vcc, 0, v[13:14]
	s_cbranch_vccnz .LBB4_5222
; %bb.5216:                             ;   in Loop: Header=BB4_5151 Depth=1
	s_mov_b64 s[20:21], -1
	s_and_saveexec_b64 s[56:57], s[14:15]
	s_cbranch_execz .LBB4_5218
; %bb.5217:                             ;   in Loop: Header=BB4_5151 Depth=1
	ds_read_b32 v16, v0 offset:720
	s_waitcnt lgkmcnt(0)
	v_and_b32_e32 v16, 15, v16
	v_cmp_eq_u32_e32 vcc, 0, v16
	s_orn2_b64 s[20:21], vcc, exec
.LBB4_5218:                             ;   in Loop: Header=BB4_5151 Depth=1
	s_or_b64 exec, exec, s[56:57]
	s_and_saveexec_b64 s[56:57], s[16:17]
	s_cbranch_execz .LBB4_5220
; %bb.5219:                             ;   in Loop: Header=BB4_5151 Depth=1
	ds_read_b32 v16, v0 offset:784
	s_waitcnt lgkmcnt(0)
	v_and_b32_e32 v16, 15, v16
	v_cmp_eq_u32_e32 vcc, 0, v16
	s_and_b64 s[58:59], s[20:21], vcc
	s_andn2_b64 s[20:21], s[20:21], exec
	s_and_b64 s[58:59], s[58:59], exec
	s_or_b64 s[20:21], s[20:21], s[58:59]
.LBB4_5220:                             ;   in Loop: Header=BB4_5151 Depth=1
	s_or_b64 exec, exec, s[56:57]
	v_cmp_eq_u32_e32 vcc, 0, v15
	s_xor_b64 s[20:21], s[20:21], -1
	v_cndmask_b32_e32 v26, 0, v2, vcc
	v_cndmask_b32_e64 v15, 0, 1, s[20:21]
	s_mov_b64 s[58:59], -1
	v_cmp_ne_u32_e32 vcc, 0, v15
	v_mov_b32_e32 v15, 0
	v_mov_b32_e32 v16, v26
	;; [unrolled: 1-line block ×4, first 2 shown]
	s_cbranch_vccz .LBB4_5223
; %bb.5221:                             ;   in Loop: Header=BB4_5151 Depth=1
	s_and_saveexec_b64 s[20:21], s[58:59]
	s_cbranch_execnz .LBB4_5236
	s_branch .LBB4_5244
.LBB4_5222:                             ;   in Loop: Header=BB4_5151 Depth=1
	s_mov_b64 s[20:21], 0
	s_and_saveexec_b64 s[56:57], s[10:11]
	s_cbranch_execnz .LBB4_5245
	s_branch .LBB4_5263
.LBB4_5223:                             ;   in Loop: Header=BB4_5151 Depth=1
	v_lshrrev_b32_e32 v15, 12, v26
	v_sub_u32_e32 v27, v15, v19
	v_cmp_lt_i32_e32 vcc, 0, v27
	s_and_saveexec_b64 s[20:21], vcc
	s_cbranch_execz .LBB4_5227
; %bb.5224:                             ;   in Loop: Header=BB4_5151 Depth=1
	v_mov_b32_e32 v43, v31
	v_mov_b32_e32 v16, v14
	;; [unrolled: 1-line block ×4, first 2 shown]
	s_mov_b64 s[56:57], 0
	v_mov_b32_e32 v15, v13
	v_mov_b32_e32 v17, v0
.LBB4_5225:                             ;   Parent Loop BB4_5151 Depth=1
                                        ; =>  This Inner Loop Header: Depth=2
	v_add_co_u32_e32 v52, vcc, v20, v17
	v_addc_co_u32_e32 v53, vcc, v21, v18, vcc
	global_load_dwordx4 v[28:31], v[52:53], off glc slc
	global_load_dwordx4 v[34:37], v[52:53], off offset:1024 glc slc
	global_load_dwordx4 v[48:51], v[52:53], off offset:2048 glc slc
	s_nop 0
	global_load_dwordx4 v[52:55], v[52:53], off offset:3072 glc slc
	v_add_co_u32_e32 v40, vcc, v20, v15
	v_addc_co_u32_e32 v41, vcc, v21, v16, vcc
	v_add_co_u32_e32 v17, vcc, v17, v22
	v_addc_co_u32_e32 v18, vcc, 0, v18, vcc
	v_add_co_u32_e32 v15, vcc, v15, v22
	v_sub_u32_e32 v27, v27, v4
	v_addc_co_u32_e32 v16, vcc, 0, v16, vcc
	v_cmp_gt_i32_e32 vcc, 1, v27
	s_or_b64 s[56:57], vcc, s[56:57]
	s_waitcnt vmcnt(3)
	global_store_dwordx4 v[40:41], v[28:31], off glc slc
	s_waitcnt vmcnt(3)
	global_store_dwordx4 v[40:41], v[34:37], off offset:1024 glc slc
	s_waitcnt vmcnt(3)
	global_store_dwordx4 v[40:41], v[48:51], off offset:2048 glc slc
	;; [unrolled: 2-line block ×3, first 2 shown]
	s_andn2_b64 exec, exec, s[56:57]
	s_cbranch_execnz .LBB4_5225
; %bb.5226:                             ;   in Loop: Header=BB4_5151 Depth=1
	s_or_b64 exec, exec, s[56:57]
	buffer_load_dword v48, off, s[0:3], s33 offset:88 ; 4-byte Folded Reload
	buffer_load_dword v49, off, s[0:3], s33 offset:92 ; 4-byte Folded Reload
	;; [unrolled: 1-line block ×4, first 2 shown]
	v_mov_b32_e32 v54, v59
	v_mov_b32_e32 v30, v42
	;; [unrolled: 1-line block ×6, first 2 shown]
.LBB4_5227:                             ;   in Loop: Header=BB4_5151 Depth=1
	s_or_b64 exec, exec, s[20:21]
	v_and_b32_e32 v29, 0x3ffff000, v26
	v_cmp_ne_u32_e32 vcc, v26, v29
	s_mov_b64 s[58:59], 0
	v_mov_b32_e32 v15, 0
                                        ; implicit-def: $vgpr16
                                        ; implicit-def: $vgpr17
                                        ; implicit-def: $vgpr28
	s_and_saveexec_b64 s[56:57], vcc
	s_cbranch_execz .LBB4_5235
; %bb.5228:                             ;   in Loop: Header=BB4_5151 Depth=1
	v_lshlrev_b32_e32 v16, 6, v27
	v_sub_u32_e32 v16, v5, v16
	v_ashrrev_i32_e32 v17, 31, v16
	v_lshrrev_b32_e32 v17, 26, v17
	v_add_u32_e32 v17, v16, v17
	v_ashrrev_i32_e32 v27, 6, v17
	v_and_b32_e32 v17, 0xffffffc0, v17
	v_sub_u32_e32 v18, v16, v17
	v_lshlrev_b32_e32 v16, 4, v18
	v_and_b32_e32 v15, 0xfff, v26
	v_lshl_add_u32 v17, v27, 10, v16
	v_sub_u32_e32 v16, v15, v17
	v_and_b32_e32 v15, 0x3ff, v26
	v_bfe_u32 v28, v26, 10, 2
	v_cmp_lt_u32_e32 vcc, 15, v15
	v_addc_co_u32_e64 v28, s[20:21], 0, v28, vcc
	v_sub_u32_e32 v27, v28, v27
	v_cmp_lt_i32_e64 s[20:21], 15, v16
	s_and_saveexec_b64 s[58:59], s[20:21]
	s_cbranch_execz .LBB4_5232
; %bb.5229:                             ;   in Loop: Header=BB4_5151 Depth=1
	s_waitcnt vmcnt(0)
	v_mov_b32_e32 v51, v31
	v_add_u32_e32 v17, v17, v29
	v_mov_b32_e32 v50, v30
	v_ashrrev_i32_e32 v28, 31, v17
	s_mov_b64 s[60:61], 0
.LBB4_5230:                             ;   Parent Loop BB4_5151 Depth=1
                                        ; =>  This Inner Loop Header: Depth=2
	v_add_co_u32_e64 v29, s[20:21], v0, v17
	v_addc_co_u32_e64 v30, s[20:21], v1, v28, s[20:21]
	global_load_dwordx4 v[34:37], v[29:30], off glc slc
	v_add_co_u32_e64 v29, s[20:21], v13, v17
	v_addc_co_u32_e64 v30, s[20:21], v14, v28, s[20:21]
	v_add_co_u32_e64 v17, s[20:21], v17, v23
	v_sub_u32_e32 v16, v16, v23
	v_addc_co_u32_e64 v28, s[20:21], 0, v28, s[20:21]
	v_cmp_gt_i32_e64 s[20:21], 16, v16
	v_sub_u32_e32 v27, v27, v4
	s_or_b64 s[60:61], s[20:21], s[60:61]
	s_waitcnt vmcnt(0)
	global_store_dwordx4 v[29:30], v[34:37], off glc slc
	s_andn2_b64 exec, exec, s[60:61]
	s_cbranch_execnz .LBB4_5230
; %bb.5231:                             ;   in Loop: Header=BB4_5151 Depth=1
	s_or_b64 exec, exec, s[60:61]
	v_mov_b32_e32 v30, v50
	v_mov_b32_e32 v36, v57
	;; [unrolled: 1-line block ×4, first 2 shown]
.LBB4_5232:                             ;   in Loop: Header=BB4_5151 Depth=1
	s_or_b64 exec, exec, s[58:59]
	v_and_b32_e32 v16, 15, v26
	v_cndmask_b32_e32 v16, v15, v16, vcc
	v_mov_b32_e32 v15, 0
	v_cmp_ne_u32_e64 s[20:21], 0, v16
	s_mov_b64 s[58:59], 0
                                        ; implicit-def: $vgpr17
                                        ; implicit-def: $vgpr28
	s_and_saveexec_b64 s[60:61], s[20:21]
	s_cbranch_execz .LBB4_5234
; %bb.5233:                             ;   in Loop: Header=BB4_5151 Depth=1
	v_and_b32_e32 v15, 0x3f0, v26
	v_cndmask_b32_e32 v15, 0, v15, vcc
	v_cmp_lt_i32_e32 vcc, 0, v27
	v_cndmask_b32_e32 v17, 0, v4, vcc
	v_sub_u32_e32 v17, v17, v27
	v_lshl_add_u32 v17, v17, 6, v18
	v_ashrrev_i32_e32 v18, 31, v17
	v_lshrrev_b32_e32 v18, 26, v18
	v_add_u32_e32 v18, v17, v18
	s_mov_b64 s[58:59], exec
	v_and_or_b32 v15, v26, s95, v15
	v_ashrrev_i32_e32 v28, 6, v18
.LBB4_5234:                             ;   in Loop: Header=BB4_5151 Depth=1
	s_or_b64 exec, exec, s[60:61]
	s_and_b64 s[58:59], s[58:59], exec
.LBB4_5235:                             ;   in Loop: Header=BB4_5151 Depth=1
	s_or_b64 exec, exec, s[56:57]
	s_and_saveexec_b64 s[20:21], s[58:59]
	s_cbranch_execz .LBB4_5244
.LBB4_5236:                             ;   in Loop: Header=BB4_5151 Depth=1
	v_lshrrev_b32_e32 v18, 10, v16
	v_sub_u32_e32 v18, v18, v28
	v_ashrrev_i32_e32 v27, 31, v17
	v_cmp_lt_i32_e32 vcc, 0, v18
	v_lshrrev_b32_e32 v27, 26, v27
	s_and_saveexec_b64 s[56:57], vcc
	s_cbranch_execz .LBB4_5240
; %bb.5237:                             ;   in Loop: Header=BB4_5151 Depth=1
	v_add_u32_e32 v29, v17, v27
	v_and_b32_e32 v29, 0xffffffc0, v29
	v_sub_u32_e32 v29, v17, v29
	v_lshlrev_b32_e32 v28, 10, v28
	v_mov_b32_e32 v62, v31
	v_add3_u32 v28, v15, v29, v28
	v_mov_b32_e32 v61, v30
	v_ashrrev_i32_e32 v29, 31, v28
	s_mov_b64 s[58:59], 0
.LBB4_5238:                             ;   Parent Loop BB4_5151 Depth=1
                                        ; =>  This Inner Loop Header: Depth=2
	v_add_co_u32_e32 v30, vcc, v28, v0
	v_addc_co_u32_e32 v31, vcc, v29, v1, vcc
	flat_load_ubyte v34, v[30:31] glc slc
	flat_load_ubyte v35, v[30:31] offset:64 glc slc
	flat_load_ubyte v36, v[30:31] offset:128 glc slc
	;; [unrolled: 1-line block ×3, first 2 shown]
	s_waitcnt vmcnt(0)
	flat_load_ubyte v48, v[30:31] offset:256 glc slc
	flat_load_ubyte v49, v[30:31] offset:320 glc slc
	flat_load_ubyte v50, v[30:31] offset:384 glc slc
	flat_load_ubyte v51, v[30:31] offset:448 glc slc
	flat_load_ubyte v52, v[30:31] offset:512 glc slc
	flat_load_ubyte v53, v[30:31] offset:576 glc slc
	flat_load_ubyte v54, v[30:31] offset:640 glc slc
	flat_load_ubyte v55, v[30:31] offset:704 glc slc
	flat_load_ubyte v40, v[30:31] offset:768 glc slc
	flat_load_ubyte v41, v[30:31] offset:832 glc slc
	flat_load_ubyte v42, v[30:31] offset:896 glc slc
	flat_load_ubyte v43, v[30:31] offset:960 glc slc
	v_add_co_u32_e32 v30, vcc, v28, v13
	v_addc_co_u32_e32 v31, vcc, v29, v14, vcc
	v_add_co_u32_e32 v0, vcc, v0, v23
	v_addc_co_u32_e32 v1, vcc, 0, v1, vcc
	v_add_co_u32_e32 v13, vcc, v13, v23
	v_sub_u32_e32 v18, v18, v4
	v_addc_co_u32_e32 v14, vcc, 0, v14, vcc
	v_cmp_gt_i32_e32 vcc, 1, v18
	s_or_b64 s[58:59], vcc, s[58:59]
	s_waitcnt lgkmcnt(0)
	flat_store_byte v[30:31], v34 glc slc
	flat_store_byte v[30:31], v35 offset:64 glc slc
	flat_store_byte v[30:31], v36 offset:128 glc slc
	;; [unrolled: 1-line block ×3, first 2 shown]
	s_waitcnt vmcnt(0)
	flat_store_byte v[30:31], v48 offset:256 glc slc
	flat_store_byte v[30:31], v49 offset:320 glc slc
	flat_store_byte v[30:31], v50 offset:384 glc slc
	flat_store_byte v[30:31], v51 offset:448 glc slc
	flat_store_byte v[30:31], v52 offset:512 glc slc
	flat_store_byte v[30:31], v53 offset:576 glc slc
	flat_store_byte v[30:31], v54 offset:640 glc slc
	flat_store_byte v[30:31], v55 offset:704 glc slc
	flat_store_byte v[30:31], v40 offset:768 glc slc
	flat_store_byte v[30:31], v41 offset:832 glc slc
	flat_store_byte v[30:31], v42 offset:896 glc slc
	flat_store_byte v[30:31], v43 offset:960 glc slc
	s_andn2_b64 exec, exec, s[58:59]
	s_cbranch_execnz .LBB4_5238
; %bb.5239:                             ;   in Loop: Header=BB4_5151 Depth=1
	s_or_b64 exec, exec, s[58:59]
	buffer_load_dword v48, off, s[0:3], s33 offset:88 ; 4-byte Folded Reload
	buffer_load_dword v49, off, s[0:3], s33 offset:92 ; 4-byte Folded Reload
	;; [unrolled: 1-line block ×4, first 2 shown]
	v_mov_b32_e32 v54, v59
	v_mov_b32_e32 v30, v61
	;; [unrolled: 1-line block ×6, first 2 shown]
.LBB4_5240:                             ;   in Loop: Header=BB4_5151 Depth=1
	s_or_b64 exec, exec, s[56:57]
	v_and_b32_e32 v14, 0xfffffc00, v16
	v_cmp_ne_u32_e32 vcc, v16, v14
	s_and_b64 exec, exec, vcc
	s_cbranch_execz .LBB4_5244
; %bb.5241:                             ;   in Loop: Header=BB4_5151 Depth=1
	v_add_u32_e32 v0, v17, v27
	v_and_b32_e32 v0, 0xffffffc0, v0
	v_sub_u32_e32 v0, v17, v0
	v_lshlrev_b32_e32 v1, 6, v18
	v_sub_u32_e32 v17, v0, v1
	v_and_b32_e32 v0, 0x3ff, v16
	v_sub_u32_e32 v13, v0, v17
	v_cmp_lt_i32_e32 vcc, 0, v13
	s_and_b64 exec, exec, vcc
	s_cbranch_execz .LBB4_5244
; %bb.5242:                             ;   in Loop: Header=BB4_5151 Depth=1
	s_trap 2
	ds_read_b64 v[0:1], v0
	v_add3_u32 v14, v14, v15, v17
	v_ashrrev_i32_e32 v15, 31, v14
	s_mov_b64 s[56:57], 0
.LBB4_5243:                             ;   Parent Loop BB4_5151 Depth=1
                                        ; =>  This Inner Loop Header: Depth=2
	s_waitcnt lgkmcnt(0)
	v_add_co_u32_e32 v16, vcc, v0, v14
	v_addc_co_u32_e32 v17, vcc, v1, v15, vcc
	flat_load_ubyte v18, v[16:17] glc slc
	v_add_co_u32_e32 v14, vcc, v14, v24
	v_sub_u32_e32 v13, v13, v24
	v_addc_co_u32_e32 v15, vcc, 0, v15, vcc
	v_cmp_gt_i32_e32 vcc, 1, v13
	s_or_b64 s[56:57], vcc, s[56:57]
	s_waitcnt vmcnt(0) lgkmcnt(0)
	flat_store_byte v[16:17], v18 glc slc
	s_andn2_b64 exec, exec, s[56:57]
	s_cbranch_execnz .LBB4_5243
.LBB4_5244:                             ;   in Loop: Header=BB4_5151 Depth=1
	s_or_b64 exec, exec, s[20:21]
	v_cmp_ne_u32_e64 s[20:21], 0, v26
	s_and_saveexec_b64 s[56:57], s[10:11]
	s_cbranch_execz .LBB4_5263
.LBB4_5245:                             ;   in Loop: Header=BB4_5151 Depth=1
	s_and_saveexec_b64 s[58:59], s[28:29]
	s_xor_b64 s[58:59], exec, s[58:59]
	s_cbranch_execz .LBB4_5260
; %bb.5246:                             ;   in Loop: Header=BB4_5151 Depth=1
	s_and_saveexec_b64 s[60:61], s[12:13]
	s_cbranch_execz .LBB4_5259
; %bb.5247:                             ;   in Loop: Header=BB4_5151 Depth=1
	s_mov_b64 s[72:73], exec
	v_mbcnt_lo_u32_b32 v0, s72, 0
	v_mbcnt_hi_u32_b32 v0, s73, v0
	v_cmp_eq_u32_e32 vcc, 0, v0
	s_waitcnt vmcnt(0) lgkmcnt(0)
	buffer_wbinvl1_vol
	s_and_saveexec_b64 s[62:63], vcc
	s_cbranch_execz .LBB4_5249
; %bb.5248:                             ;   in Loop: Header=BB4_5151 Depth=1
	s_bcnt1_i32_b64 s72, s[72:73]
	v_mov_b32_e32 v0, s72
	v_mov_b32_e32 v1, v3
	ds_add_u64 v0, v[0:1]
	s_trap 2
.LBB4_5249:                             ;   in Loop: Header=BB4_5151 Depth=1
	s_or_b64 exec, exec, s[62:63]
	s_trap 2
	ds_read_b64 v[0:1], v0
	s_waitcnt lgkmcnt(0)
	v_add_co_u32_e32 v45, vcc, v45, v4
	v_addc_co_u32_e32 v46, vcc, 0, v46, vcc
	v_cmp_lt_u64_e32 vcc, v[0:1], v[45:46]
	s_and_saveexec_b64 s[62:63], vcc
	s_cbranch_execz .LBB4_5258
; %bb.5250:                             ;   in Loop: Header=BB4_5151 Depth=1
	s_mov_b32 s92, 0
	s_mov_b64 s[72:73], 0
                                        ; implicit-def: $sgpr74_sgpr75
                                        ; implicit-def: $sgpr76_sgpr77
	s_branch .LBB4_5252
.LBB4_5251:                             ;   in Loop: Header=BB4_5252 Depth=2
	s_or_b64 exec, exec, s[88:89]
	s_and_b64 s[78:79], exec, s[90:91]
	s_or_b64 s[72:73], s[78:79], s[72:73]
	s_andn2_b64 s[74:75], s[74:75], exec
	s_and_b64 s[78:79], s[76:77], exec
	s_or_b64 s[74:75], s[74:75], s[78:79]
	s_andn2_b64 exec, exec, s[72:73]
	s_cbranch_execz .LBB4_5256
.LBB4_5252:                             ;   Parent Loop BB4_5151 Depth=1
                                        ; =>  This Inner Loop Header: Depth=2
	s_add_i32 s92, s92, 1
	s_cmpk_lg_i32 s92, 0x2710
	s_cselect_b64 s[78:79], -1, 0
	s_and_b64 vcc, exec, s[78:79]
	s_cbranch_vccz .LBB4_5254
; %bb.5253:                             ;   in Loop: Header=BB4_5252 Depth=2
	s_mov_b64 s[90:91], -1
	s_or_b64 s[76:77], s[76:77], exec
	s_and_saveexec_b64 s[88:89], s[78:79]
	s_cbranch_execz .LBB4_5251
	s_branch .LBB4_5255
.LBB4_5254:                             ;   in Loop: Header=BB4_5252 Depth=2
	s_trap 2
	ds_read_b64 v[0:1], v0
	s_andn2_b64 s[78:79], s[78:79], exec
	s_mov_b32 s92, 0
	s_waitcnt lgkmcnt(0)
	flat_load_dword v0, v[0:1] glc
	s_waitcnt vmcnt(0) lgkmcnt(0)
	buffer_wbinvl1_vol
	v_cmp_eq_u32_e32 vcc, 0, v0
	s_and_b64 s[88:89], vcc, exec
	s_or_b64 s[78:79], s[78:79], s[88:89]
	s_mov_b64 s[90:91], -1
	s_or_b64 s[76:77], s[76:77], exec
	s_and_saveexec_b64 s[88:89], s[78:79]
	s_cbranch_execz .LBB4_5251
.LBB4_5255:                             ;   in Loop: Header=BB4_5252 Depth=2
	s_sleep 1
	s_trap 2
	ds_read_b64 v[0:1], v0
	s_waitcnt lgkmcnt(0)
	s_andn2_b64 s[76:77], s[76:77], exec
	v_cmp_ge_u64_e32 vcc, v[0:1], v[45:46]
	s_orn2_b64 s[90:91], vcc, exec
	s_branch .LBB4_5251
.LBB4_5256:                             ;   in Loop: Header=BB4_5151 Depth=1
	s_or_b64 exec, exec, s[72:73]
	s_and_saveexec_b64 s[72:73], s[74:75]
	s_xor_b64 s[72:73], exec, s[72:73]
	s_cbranch_execz .LBB4_5258
; %bb.5257:                             ;   in Loop: Header=BB4_5151 Depth=1
	ds_write_b32 v0, v25
	s_trap 2
.LBB4_5258:                             ;   in Loop: Header=BB4_5151 Depth=1
	s_or_b64 exec, exec, s[62:63]
	;;#ASMSTART
	s_wakeup
	;;#ASMEND
.LBB4_5259:                             ;   in Loop: Header=BB4_5151 Depth=1
	s_or_b64 exec, exec, s[60:61]
.LBB4_5260:                             ;   in Loop: Header=BB4_5151 Depth=1
	s_andn2_saveexec_b64 s[58:59], s[58:59]
	s_cbranch_execz .LBB4_5262
; %bb.5261:                             ;   in Loop: Header=BB4_5151 Depth=1
	s_waitcnt vmcnt(0) lgkmcnt(0)
	buffer_wbinvl1_vol
	s_barrier
.LBB4_5262:                             ;   in Loop: Header=BB4_5151 Depth=1
	s_or_b64 exec, exec, s[58:59]
.LBB4_5263:                             ;   in Loop: Header=BB4_5151 Depth=1
	s_or_b64 exec, exec, s[56:57]
	v_and_b32_e32 v0, 16, v56
	v_cmp_ne_u32_e32 vcc, 0, v0
	s_and_b64 s[56:57], vcc, s[20:21]
	s_and_saveexec_b64 s[20:21], s[56:57]
	s_cbranch_execz .LBB4_5265
; %bb.5264:                             ;   in Loop: Header=BB4_5151 Depth=1
	s_waitcnt vmcnt(0) lgkmcnt(0)
	buffer_wbinvl1_vol
.LBB4_5265:                             ;   in Loop: Header=BB4_5151 Depth=1
	s_or_b64 exec, exec, s[20:21]
	v_cmp_ne_u32_e32 vcc, 0, v0
	s_and_saveexec_b64 s[20:21], vcc
	s_cbranch_execz .LBB4_5269
; %bb.5266:                             ;   in Loop: Header=BB4_5151 Depth=1
	s_and_saveexec_b64 s[56:57], s[18:19]
	s_cbranch_execz .LBB4_5268
; %bb.5267:                             ;   in Loop: Header=BB4_5151 Depth=1
	buffer_load_dword v0, off, s[0:3], s33 offset:136 ; 4-byte Folded Reload
	buffer_load_dword v1, off, s[0:3], s33 offset:140 ; 4-byte Folded Reload
	s_waitcnt vmcnt(0)
	flat_store_dword v[0:1], v25
.LBB4_5268:                             ;   in Loop: Header=BB4_5151 Depth=1
	s_or_b64 exec, exec, s[56:57]
	v_add_co_u32_e32 v8, vcc, 1, v8
	v_addc_co_u32_e32 v9, vcc, 0, v9, vcc
	flat_store_dwordx2 v[32:33], v[8:9]
.LBB4_5269:                             ;   in Loop: Header=BB4_5151 Depth=1
	s_or_b64 exec, exec, s[20:21]
	v_mov_b32_e32 v0, v2
.LBB4_5270:                             ;   in Loop: Header=BB4_5151 Depth=1
	s_or_b64 exec, exec, s[46:47]
	s_and_saveexec_b64 s[46:47], s[44:45]
	s_cbranch_execz .LBB4_5150
; %bb.5271:                             ;   in Loop: Header=BB4_5151 Depth=1
	v_sub_u32_e32 v0, v12, v0
	v_and_b32_e32 v1, 8, v56
	v_min_i32_e32 v0, v2, v0
	v_cmp_ne_u32_e32 vcc, 0, v1
	s_and_saveexec_b64 s[44:45], vcc
	s_cbranch_execz .LBB4_5293
; %bb.5272:                             ;   in Loop: Header=BB4_5151 Depth=1
	v_add_co_u32_e32 v1, vcc, 8, v38
	v_addc_co_u32_e32 v2, vcc, 0, v39, vcc
	s_waitcnt lgkmcnt(0)
	v_add_co_u32_e32 v12, vcc, 1, v8
	v_addc_co_u32_e32 v13, vcc, 0, v9, vcc
	v_cmp_lt_u64_e32 vcc, v[1:2], v[12:13]
	s_and_saveexec_b64 s[56:57], vcc
	s_cbranch_execz .LBB4_5284
; %bb.5273:                             ;   in Loop: Header=BB4_5151 Depth=1
	v_and_b32_e32 v1, 64, v56
	s_mov_b32 s92, 0
	v_cmp_eq_u32_e32 vcc, 0, v1
	s_mov_b64 s[58:59], 0
                                        ; implicit-def: $sgpr60_sgpr61
                                        ; implicit-def: $sgpr62_sgpr63
                                        ; implicit-def: $sgpr72_sgpr73
	s_branch .LBB4_5277
.LBB4_5274:                             ;   in Loop: Header=BB4_5277 Depth=2
	s_waitcnt vmcnt(0) lgkmcnt(0)
	v_add_co_u32_e64 v14, s[20:21], 8, v38
	v_addc_co_u32_e64 v15, s[20:21], 0, v39, s[20:21]
	v_cmp_ge_u64_e64 s[20:21], v[14:15], v[12:13]
	s_or_b64 s[78:79], s[78:79], exec
	s_orn2_b64 s[76:77], s[20:21], exec
.LBB4_5275:                             ;   in Loop: Header=BB4_5277 Depth=2
	s_or_b64 exec, exec, s[90:91]
	s_andn2_b64 s[20:21], s[72:73], exec
	s_and_b64 s[72:73], s[78:79], exec
	s_or_b64 s[72:73], s[20:21], s[72:73]
	s_andn2_b64 s[20:21], s[62:63], exec
	s_and_b64 s[62:63], s[76:77], exec
	s_or_b64 s[62:63], s[20:21], s[62:63]
.LBB4_5276:                             ;   in Loop: Header=BB4_5277 Depth=2
	s_or_b64 exec, exec, s[74:75]
	s_and_b64 s[20:21], exec, s[62:63]
	s_or_b64 s[58:59], s[20:21], s[58:59]
	s_andn2_b64 s[20:21], s[60:61], exec
	s_and_b64 s[60:61], s[72:73], exec
	s_or_b64 s[60:61], s[20:21], s[60:61]
	s_andn2_b64 exec, exec, s[58:59]
	s_cbranch_execz .LBB4_5281
.LBB4_5277:                             ;   Parent Loop BB4_5151 Depth=1
                                        ; =>  This Inner Loop Header: Depth=2
	s_sleep 1
	s_waitcnt vmcnt(0) lgkmcnt(0)
	flat_load_dwordx2 v[38:39], v[32:33] glc
	s_or_b64 s[72:73], s[72:73], exec
	s_or_b64 s[62:63], s[62:63], exec
                                        ; implicit-def: $vgpr1
	s_and_saveexec_b64 s[74:75], vcc
	s_cbranch_execz .LBB4_5276
; %bb.5278:                             ;   in Loop: Header=BB4_5277 Depth=2
	s_cmpk_lt_i32 s92, 0x270f
	s_cselect_b64 s[88:89], -1, 0
	s_cmpk_gt_i32 s92, 0x270e
	s_mov_b64 s[76:77], -1
	s_cbranch_scc0 .LBB4_5280
; %bb.5279:                             ;   in Loop: Header=BB4_5277 Depth=2
	s_trap 2
	ds_read_b64 v[1:2], v0
	s_andn2_b64 s[88:89], s[88:89], exec
	s_mov_b32 s92, 0
	s_mov_b64 s[78:79], 0
	s_waitcnt vmcnt(0) lgkmcnt(0)
	flat_load_dword v1, v[1:2] glc
	s_waitcnt vmcnt(0) lgkmcnt(0)
	buffer_wbinvl1_vol
	v_cmp_eq_u32_e64 s[20:21], 0, v1
	s_and_b64 s[20:21], s[20:21], exec
	s_or_b64 s[88:89], s[88:89], s[20:21]
	s_and_saveexec_b64 s[90:91], s[88:89]
	s_cbranch_execz .LBB4_5275
	s_branch .LBB4_5274
.LBB4_5280:                             ;   in Loop: Header=BB4_5277 Depth=2
	s_add_i32 s92, s92, 1
	s_mov_b64 s[78:79], -1
                                        ; implicit-def: $vgpr1
	s_and_saveexec_b64 s[90:91], s[88:89]
	s_cbranch_execz .LBB4_5275
	s_branch .LBB4_5274
.LBB4_5281:                             ;   in Loop: Header=BB4_5151 Depth=1
	s_or_b64 exec, exec, s[58:59]
	s_xor_b64 s[20:21], s[60:61], -1
	s_and_saveexec_b64 s[58:59], s[20:21]
	s_xor_b64 s[20:21], exec, s[58:59]
	s_cbranch_execz .LBB4_5283
; %bb.5282:                             ;   in Loop: Header=BB4_5151 Depth=1
	v_or_b32_e32 v56, 64, v56
	s_waitcnt lgkmcnt(0)
	ds_write_b32 v0, v1
	s_trap 2
.LBB4_5283:                             ;   in Loop: Header=BB4_5151 Depth=1
	s_or_b64 exec, exec, s[20:21]
.LBB4_5284:                             ;   in Loop: Header=BB4_5151 Depth=1
	s_or_b64 exec, exec, s[56:57]
	v_and_b32_e32 v1, 0x100, v56
	v_cmp_ne_u32_e32 vcc, 0, v1
	v_and_b32_e32 v14, 7, v8
	s_mov_b64 s[20:21], -1
	;;#ASMSTART
	s_wakeup
	;;#ASMEND
                                        ; implicit-def: $vgpr1_vgpr2
	s_and_saveexec_b64 s[56:57], vcc
	s_cbranch_execz .LBB4_5288
; %bb.5285:                             ;   in Loop: Header=BB4_5151 Depth=1
	v_mad_u64_u32 v[8:9], s[20:21], v14, 24, v[6:7]
	v_ashrrev_i32_e32 v1, 31, v0
	flat_load_dword v2, v[8:9]
	s_nop 0
	flat_store_dwordx2 v[8:9], v[0:1] offset:8
	s_waitcnt vmcnt(0) lgkmcnt(0)
	v_cmp_ne_u32_e32 vcc, 1, v2
	v_cmp_eq_u32_e64 s[20:21], 1, v2
                                        ; implicit-def: $vgpr1_vgpr2
	s_and_saveexec_b64 s[58:59], s[20:21]
	s_cbranch_execz .LBB4_5287
; %bb.5286:                             ;   in Loop: Header=BB4_5151 Depth=1
	flat_load_dword v1, v[8:9] offset:4 glc
	s_waitcnt vmcnt(0) lgkmcnt(0)
	v_ashrrev_i32_e32 v2, 31, v1
.LBB4_5287:                             ;   in Loop: Header=BB4_5151 Depth=1
	s_or_b64 exec, exec, s[58:59]
	s_orn2_b64 s[20:21], vcc, exec
.LBB4_5288:                             ;   in Loop: Header=BB4_5151 Depth=1
	s_or_b64 exec, exec, s[56:57]
	s_and_saveexec_b64 s[56:57], s[20:21]
	s_cbranch_execz .LBB4_5290
; %bb.5289:                             ;   in Loop: Header=BB4_5151 Depth=1
	buffer_load_dword v1, off, s[0:3], s33 offset:144 ; 4-byte Folded Reload
	s_waitcnt vmcnt(0)
	v_mad_i64_i32 v[1:2], s[20:21], v14, v1, 0
.LBB4_5290:                             ;   in Loop: Header=BB4_5151 Depth=1
	s_or_b64 exec, exec, s[56:57]
	buffer_load_dword v8, off, s[0:3], s33 offset:104 ; 4-byte Folded Reload
	buffer_load_dword v9, off, s[0:3], s33 offset:108 ; 4-byte Folded Reload
	s_waitcnt vmcnt(0)
	v_add_co_u32_e32 v1, vcc, v8, v1
	v_addc_co_u32_e32 v2, vcc, v9, v2, vcc
	ds_write_b64 v0, v[1:2] offset:784
	v_and_b32_e32 v1, 0x2000, v56
	v_cmp_ne_u32_e32 vcc, 0, v1
	s_and_saveexec_b64 s[20:21], vcc
	s_cbranch_execz .LBB4_5292
; %bb.5291:                             ;   in Loop: Header=BB4_5151 Depth=1
	ds_read_b64 v[1:2], v0 offset:872
	s_waitcnt lgkmcnt(0)
	v_add_co_u32_e32 v1, vcc, 1, v1
	v_addc_co_u32_e32 v2, vcc, 0, v2, vcc
	ds_write_b64 v0, v[1:2] offset:872
.LBB4_5292:                             ;   in Loop: Header=BB4_5151 Depth=1
	s_or_b64 exec, exec, s[20:21]
	v_mov_b32_e32 v8, v12
	v_mov_b32_e32 v9, v13
.LBB4_5293:                             ;   in Loop: Header=BB4_5151 Depth=1
	s_or_b64 exec, exec, s[44:45]
	s_and_saveexec_b64 s[20:21], s[10:11]
	s_cbranch_execz .LBB4_5312
; %bb.5294:                             ;   in Loop: Header=BB4_5151 Depth=1
	s_and_saveexec_b64 s[44:45], s[28:29]
	s_xor_b64 s[44:45], exec, s[44:45]
	s_cbranch_execz .LBB4_5309
; %bb.5295:                             ;   in Loop: Header=BB4_5151 Depth=1
	s_and_saveexec_b64 s[56:57], s[12:13]
	s_cbranch_execz .LBB4_5308
; %bb.5296:                             ;   in Loop: Header=BB4_5151 Depth=1
	s_mov_b64 s[60:61], exec
	v_mbcnt_lo_u32_b32 v1, s60, 0
	v_mbcnt_hi_u32_b32 v1, s61, v1
	v_cmp_eq_u32_e32 vcc, 0, v1
	s_waitcnt vmcnt(0) lgkmcnt(0)
	buffer_wbinvl1_vol
	s_and_saveexec_b64 s[58:59], vcc
	s_cbranch_execz .LBB4_5298
; %bb.5297:                             ;   in Loop: Header=BB4_5151 Depth=1
	s_bcnt1_i32_b64 s60, s[60:61]
	v_mov_b32_e32 v2, s60
	ds_add_u64 v0, v[2:3]
	s_trap 2
.LBB4_5298:                             ;   in Loop: Header=BB4_5151 Depth=1
	s_or_b64 exec, exec, s[58:59]
	s_trap 2
	ds_read_b64 v[1:2], v0
	s_waitcnt lgkmcnt(0)
	v_add_co_u32_e32 v45, vcc, v45, v4
	v_addc_co_u32_e32 v46, vcc, 0, v46, vcc
	v_cmp_lt_u64_e32 vcc, v[1:2], v[45:46]
	s_and_saveexec_b64 s[58:59], vcc
	s_cbranch_execz .LBB4_5307
; %bb.5299:                             ;   in Loop: Header=BB4_5151 Depth=1
	s_mov_b32 s88, 0
	s_mov_b64 s[60:61], 0
                                        ; implicit-def: $sgpr62_sgpr63
                                        ; implicit-def: $sgpr72_sgpr73
	s_branch .LBB4_5301
.LBB4_5300:                             ;   in Loop: Header=BB4_5301 Depth=2
	s_or_b64 exec, exec, s[76:77]
	s_and_b64 s[74:75], exec, s[78:79]
	s_or_b64 s[60:61], s[74:75], s[60:61]
	s_andn2_b64 s[62:63], s[62:63], exec
	s_and_b64 s[74:75], s[72:73], exec
	s_or_b64 s[62:63], s[62:63], s[74:75]
	s_andn2_b64 exec, exec, s[60:61]
	s_cbranch_execz .LBB4_5305
.LBB4_5301:                             ;   Parent Loop BB4_5151 Depth=1
                                        ; =>  This Inner Loop Header: Depth=2
	s_add_i32 s88, s88, 1
	s_cmpk_lg_i32 s88, 0x2710
	s_cselect_b64 s[74:75], -1, 0
	s_and_b64 vcc, exec, s[74:75]
	s_cbranch_vccz .LBB4_5303
; %bb.5302:                             ;   in Loop: Header=BB4_5301 Depth=2
	s_mov_b64 s[78:79], -1
	s_or_b64 s[72:73], s[72:73], exec
	s_and_saveexec_b64 s[76:77], s[74:75]
	s_cbranch_execz .LBB4_5300
	s_branch .LBB4_5304
.LBB4_5303:                             ;   in Loop: Header=BB4_5301 Depth=2
	s_trap 2
	ds_read_b64 v[1:2], v0
	s_andn2_b64 s[74:75], s[74:75], exec
	s_mov_b32 s88, 0
	s_waitcnt lgkmcnt(0)
	flat_load_dword v1, v[1:2] glc
	s_waitcnt vmcnt(0) lgkmcnt(0)
	buffer_wbinvl1_vol
	v_cmp_eq_u32_e32 vcc, 0, v1
	s_and_b64 s[76:77], vcc, exec
	s_or_b64 s[74:75], s[74:75], s[76:77]
	s_mov_b64 s[78:79], -1
	s_or_b64 s[72:73], s[72:73], exec
	s_and_saveexec_b64 s[76:77], s[74:75]
	s_cbranch_execz .LBB4_5300
.LBB4_5304:                             ;   in Loop: Header=BB4_5301 Depth=2
	s_sleep 1
	s_trap 2
	ds_read_b64 v[1:2], v0
	s_waitcnt lgkmcnt(0)
	s_andn2_b64 s[72:73], s[72:73], exec
	v_cmp_ge_u64_e32 vcc, v[1:2], v[45:46]
	s_orn2_b64 s[78:79], vcc, exec
	s_branch .LBB4_5300
.LBB4_5305:                             ;   in Loop: Header=BB4_5151 Depth=1
	s_or_b64 exec, exec, s[60:61]
	s_and_saveexec_b64 s[60:61], s[62:63]
	s_xor_b64 s[60:61], exec, s[60:61]
	s_cbranch_execz .LBB4_5307
; %bb.5306:                             ;   in Loop: Header=BB4_5151 Depth=1
	ds_write_b32 v0, v25
	s_trap 2
.LBB4_5307:                             ;   in Loop: Header=BB4_5151 Depth=1
	s_or_b64 exec, exec, s[58:59]
	;;#ASMSTART
	s_wakeup
	;;#ASMEND
.LBB4_5308:                             ;   in Loop: Header=BB4_5151 Depth=1
	s_or_b64 exec, exec, s[56:57]
.LBB4_5309:                             ;   in Loop: Header=BB4_5151 Depth=1
	s_andn2_saveexec_b64 s[44:45], s[44:45]
	s_cbranch_execz .LBB4_5311
; %bb.5310:                             ;   in Loop: Header=BB4_5151 Depth=1
	s_waitcnt vmcnt(0) lgkmcnt(0)
	buffer_wbinvl1_vol
	s_barrier
.LBB4_5311:                             ;   in Loop: Header=BB4_5151 Depth=1
	s_or_b64 exec, exec, s[44:45]
.LBB4_5312:                             ;   in Loop: Header=BB4_5151 Depth=1
	s_or_b64 exec, exec, s[20:21]
	s_trap 2
	ds_read_b32 v1, v0
	v_cmp_lt_i32_e32 vcc, 0, v0
	v_and_b32_e32 v0, 16, v56
	s_waitcnt lgkmcnt(0)
	v_readfirstlane_b32 s20, v1
	s_cmp_eq_u32 s20, 0
	s_cselect_b64 s[20:21], -1, 0
	s_and_b64 s[20:21], vcc, s[20:21]
	v_cmp_ne_u32_e32 vcc, 0, v0
	s_and_b64 s[44:45], vcc, s[20:21]
	s_and_saveexec_b64 s[20:21], s[44:45]
	s_cbranch_execz .LBB4_5314
; %bb.5313:                             ;   in Loop: Header=BB4_5151 Depth=1
	s_waitcnt vmcnt(0)
	buffer_wbinvl1_vol
.LBB4_5314:                             ;   in Loop: Header=BB4_5151 Depth=1
	s_or_b64 exec, exec, s[20:21]
	v_cmp_ne_u32_e32 vcc, 0, v0
	s_and_saveexec_b64 s[20:21], vcc
	s_cbranch_execz .LBB4_5149
; %bb.5315:                             ;   in Loop: Header=BB4_5151 Depth=1
	s_and_saveexec_b64 s[44:45], s[18:19]
	s_cbranch_execz .LBB4_5148
; %bb.5316:                             ;   in Loop: Header=BB4_5151 Depth=1
	buffer_load_dword v0, off, s[0:3], s33 offset:136 ; 4-byte Folded Reload
	buffer_load_dword v1, off, s[0:3], s33 offset:140 ; 4-byte Folded Reload
	s_waitcnt vmcnt(0)
	flat_store_dword v[0:1], v25
	s_branch .LBB4_5148
.LBB4_5317:
	s_or_b64 exec, exec, s[40:41]
	buffer_load_dword v60, off, s[0:3], s33 offset:168 ; 4-byte Folded Reload
	buffer_load_dword v61, off, s[0:3], s33 offset:172 ; 4-byte Folded Reload
.LBB4_5318:
	s_or_b64 exec, exec, s[24:25]
.LBB4_5319:
	s_or_b64 exec, exec, s[22:23]
	v_and_b32_e32 v0, 0x800, v56
	v_cmp_eq_u32_e32 vcc, 0, v0
	s_and_saveexec_b64 s[6:7], vcc
	s_cbranch_execz .LBB4_5352
; %bb.5320:
	v_and_b32_e32 v0, 48, v56
	v_cmp_ne_u32_e32 vcc, 0, v0
	s_and_saveexec_b64 s[4:5], vcc
	s_cbranch_execz .LBB4_5322
; %bb.5321:
	s_waitcnt vmcnt(0) lgkmcnt(0)
	flat_store_dwordx2 v[30:31], v[8:9] offset:104
.LBB4_5322:
	s_or_b64 exec, exec, s[4:5]
	s_movk_i32 s4, 0x88
	v_and_b32_e32 v0, 0x88, v56
	v_cmp_eq_u32_e32 vcc, s4, v0
	s_and_saveexec_b64 s[10:11], vcc
	s_cbranch_execz .LBB4_5332
; %bb.5323:
	s_waitcnt vmcnt(0) lgkmcnt(0)
	v_add_u32_e32 v0, -1, v8
	v_and_b32_e32 v0, 7, v0
	v_mad_u64_u32 v[0:1], s[4:5], v0, 24, v[6:7]
	v_and_b32_e32 v4, 64, v56
	v_cmp_eq_u32_e64 s[4:5], 0, v4
	flat_load_dwordx2 v[2:3], v[0:1] offset:8 glc
	s_waitcnt vmcnt(0)
	s_mov_b32 s22, 0
	s_waitcnt lgkmcnt(0)
	v_cmp_ne_u64_e32 vcc, -1, v[2:3]
	s_and_b64 s[4:5], vcc, s[4:5]
	s_and_b64 exec, exec, s[4:5]
	s_cbranch_execz .LBB4_5332
; %bb.5324:
	s_mov_b64 s[4:5], 0
                                        ; implicit-def: $sgpr12_sgpr13
                                        ; implicit-def: $sgpr14_sgpr15
	s_branch .LBB4_5327
.LBB4_5325:                             ;   in Loop: Header=BB4_5327 Depth=1
	flat_load_dwordx2 v[3:4], v[0:1] offset:8 glc
	s_waitcnt vmcnt(0)
	s_andn2_b64 s[14:15], s[14:15], exec
	s_waitcnt lgkmcnt(0)
	v_cmp_eq_u64_e32 vcc, -1, v[3:4]
	s_orn2_b64 s[18:19], vcc, exec
.LBB4_5326:                             ;   in Loop: Header=BB4_5327 Depth=1
	s_or_b64 exec, exec, s[20:21]
	s_and_b64 s[16:17], exec, s[18:19]
	s_or_b64 s[4:5], s[16:17], s[4:5]
	s_andn2_b64 s[12:13], s[12:13], exec
	s_and_b64 s[16:17], s[14:15], exec
	s_or_b64 s[12:13], s[12:13], s[16:17]
	s_andn2_b64 exec, exec, s[4:5]
	s_cbranch_execz .LBB4_5330
.LBB4_5327:                             ; =>This Inner Loop Header: Depth=1
	s_cmpk_lt_i32 s22, 0x270f
	s_cselect_b64 s[16:17], -1, 0
	s_and_b64 vcc, exec, s[16:17]
	s_cbranch_vccnz .LBB4_5329
; %bb.5328:                             ;   in Loop: Header=BB4_5327 Depth=1
	s_trap 2
	ds_read_b64 v[2:3], v0
	s_andn2_b64 s[16:17], s[16:17], exec
	s_mov_b32 s22, 0
	s_waitcnt lgkmcnt(0)
	flat_load_dword v2, v[2:3] glc
	s_waitcnt vmcnt(0) lgkmcnt(0)
	buffer_wbinvl1_vol
	v_cmp_eq_u32_e32 vcc, 0, v2
	s_and_b64 s[18:19], vcc, exec
	s_or_b64 s[16:17], s[16:17], s[18:19]
	s_mov_b64 s[18:19], -1
	s_or_b64 s[14:15], s[14:15], exec
	s_and_saveexec_b64 s[20:21], s[16:17]
	s_cbranch_execz .LBB4_5326
	s_branch .LBB4_5325
.LBB4_5329:                             ;   in Loop: Header=BB4_5327 Depth=1
	s_add_i32 s22, s22, 1
                                        ; implicit-def: $vgpr2
	s_mov_b64 s[18:19], -1
	s_or_b64 s[14:15], s[14:15], exec
	s_and_saveexec_b64 s[20:21], s[16:17]
	s_cbranch_execz .LBB4_5326
	s_branch .LBB4_5325
.LBB4_5330:
	s_or_b64 exec, exec, s[4:5]
	s_and_saveexec_b64 s[4:5], s[12:13]
	s_xor_b64 s[4:5], exec, s[4:5]
	s_cbranch_execz .LBB4_5332
; %bb.5331:
	ds_write_b32 v0, v2
	s_trap 2
.LBB4_5332:
	s_or_b64 exec, exec, s[10:11]
	v_and_b32_e32 v0, 0x2000, v56
	v_cmp_ne_u32_e32 vcc, 0, v0
	s_and_saveexec_b64 s[4:5], vcc
	s_cbranch_execz .LBB4_5334
; %bb.5333:
	s_trap 2
	ds_read_b64 v[0:1], v0
	buffer_load_dword v2, off, s[0:3], s33 offset:196 ; 4-byte Folded Reload
	buffer_load_dword v3, off, s[0:3], s33 offset:200 ; 4-byte Folded Reload
	s_waitcnt vmcnt(0) lgkmcnt(0)
	flat_store_dwordx2 v[2:3], v[0:1] offset:16
.LBB4_5334:
	s_or_b64 exec, exec, s[4:5]
	v_cmp_ne_u32_e32 vcc, 64, v44
	s_and_b64 exec, exec, vcc
	s_cbranch_execz .LBB4_5352
; %bb.5335:
	s_waitcnt vmcnt(0)
	v_cmp_ne_u32_sdwa s[4:5], v44, v61 src0_sel:DWORD src1_sel:WORD_0
	s_and_saveexec_b64 s[10:11], s[4:5]
	s_xor_b64 s[4:5], exec, s[10:11]
	s_cbranch_execz .LBB4_5350
; %bb.5336:
	v_and_b32_e32 v0, 63, v60
	v_cmp_eq_u32_e32 vcc, 0, v0
	s_and_saveexec_b64 s[10:11], vcc
	s_cbranch_execz .LBB4_5349
; %bb.5337:
	s_mov_b64 s[14:15], exec
	v_mbcnt_lo_u32_b32 v0, s14, 0
	v_mbcnt_hi_u32_b32 v0, s15, v0
	v_cmp_eq_u32_e32 vcc, 0, v0
	s_waitcnt lgkmcnt(0)
	buffer_wbinvl1_vol
	s_and_saveexec_b64 s[12:13], vcc
	s_cbranch_execz .LBB4_5339
; %bb.5338:
	s_bcnt1_i32_b64 s14, s[14:15]
	v_mov_b32_e32 v0, s14
	v_mov_b32_e32 v1, 0
	ds_add_u64 v0, v[0:1]
	s_trap 2
.LBB4_5339:
	s_or_b64 exec, exec, s[12:13]
	v_lshrrev_b32_e32 v0, 6, v44
	s_trap 2
	ds_read_b64 v[2:3], v0
	s_waitcnt lgkmcnt(0)
	v_add_co_u32_e32 v0, vcc, v45, v0
	v_addc_co_u32_e32 v1, vcc, 0, v46, vcc
	v_cmp_lt_u64_e32 vcc, v[2:3], v[0:1]
	s_and_saveexec_b64 s[12:13], vcc
	s_cbranch_execz .LBB4_5348
; %bb.5340:
	s_mov_b32 s28, 0
	s_mov_b64 s[14:15], 0
                                        ; implicit-def: $sgpr16_sgpr17
                                        ; implicit-def: $sgpr18_sgpr19
	s_branch .LBB4_5342
.LBB4_5341:                             ;   in Loop: Header=BB4_5342 Depth=1
	s_or_b64 exec, exec, s[22:23]
	s_and_b64 s[20:21], exec, s[24:25]
	s_or_b64 s[14:15], s[20:21], s[14:15]
	s_andn2_b64 s[16:17], s[16:17], exec
	s_and_b64 s[20:21], s[18:19], exec
	s_or_b64 s[16:17], s[16:17], s[20:21]
	s_andn2_b64 exec, exec, s[14:15]
	s_cbranch_execz .LBB4_5346
.LBB4_5342:                             ; =>This Inner Loop Header: Depth=1
	s_add_i32 s28, s28, 1
	s_cmpk_lg_i32 s28, 0x2710
	s_cselect_b64 s[20:21], -1, 0
	s_and_b64 vcc, exec, s[20:21]
	s_cbranch_vccz .LBB4_5344
; %bb.5343:                             ;   in Loop: Header=BB4_5342 Depth=1
	s_mov_b64 s[24:25], -1
	s_or_b64 s[18:19], s[18:19], exec
	s_and_saveexec_b64 s[22:23], s[20:21]
	s_cbranch_execz .LBB4_5341
	s_branch .LBB4_5345
.LBB4_5344:                             ;   in Loop: Header=BB4_5342 Depth=1
	s_trap 2
	ds_read_b64 v[2:3], v0
	s_andn2_b64 s[20:21], s[20:21], exec
	s_mov_b32 s28, 0
	s_waitcnt lgkmcnt(0)
	flat_load_dword v2, v[2:3] glc
	s_waitcnt vmcnt(0) lgkmcnt(0)
	buffer_wbinvl1_vol
	v_cmp_eq_u32_e32 vcc, 0, v2
	s_and_b64 s[22:23], vcc, exec
	s_or_b64 s[20:21], s[20:21], s[22:23]
	s_mov_b64 s[24:25], -1
	s_or_b64 s[18:19], s[18:19], exec
	s_and_saveexec_b64 s[22:23], s[20:21]
	s_cbranch_execz .LBB4_5341
.LBB4_5345:                             ;   in Loop: Header=BB4_5342 Depth=1
	s_sleep 1
	s_trap 2
	ds_read_b64 v[2:3], v0
	s_waitcnt lgkmcnt(0)
	s_andn2_b64 s[18:19], s[18:19], exec
	v_cmp_ge_u64_e32 vcc, v[2:3], v[0:1]
	s_orn2_b64 s[24:25], vcc, exec
	s_branch .LBB4_5341
.LBB4_5346:
	s_or_b64 exec, exec, s[14:15]
	s_and_saveexec_b64 s[14:15], s[16:17]
	s_xor_b64 s[14:15], exec, s[14:15]
	s_cbranch_execz .LBB4_5348
; %bb.5347:
	v_mov_b32_e32 v0, 1
	ds_write_b32 v0, v0
	s_trap 2
.LBB4_5348:
	s_or_b64 exec, exec, s[12:13]
	;;#ASMSTART
	s_wakeup
	;;#ASMEND
.LBB4_5349:
	s_or_b64 exec, exec, s[10:11]
.LBB4_5350:
	s_andn2_saveexec_b64 s[4:5], s[4:5]
	s_cbranch_execz .LBB4_5352
; %bb.5351:
	s_waitcnt lgkmcnt(0)
	buffer_wbinvl1_vol
	s_barrier
.LBB4_5352:
	s_or_b64 exec, exec, s[6:7]
.LBB4_5353:
	s_andn2_saveexec_b64 s[26:27], s[26:27]
	s_cbranch_execz .LBB4_5355
; %bb.5354:
	s_getpc_b64 s[4:5]
	s_add_u32 s4, s4, __PRETTY_FUNCTION__._ZN10PrimitivesI14__hip_fp8_e5m28FuncProdIS0_E12FanSymmetricILi1EELi0E11ProtoSimpleILi1ELi1ELi0ELi2ELi0ELi0EELi0ELb0ELi0ELi0ELi0EEC2EiiPKiS9_PKvPvmhhhP15ncclDevWorkCollP14ncclDevWorkP2pii@rel32@lo+4
	s_addc_u32 s5, s5, __PRETTY_FUNCTION__._ZN10PrimitivesI14__hip_fp8_e5m28FuncProdIS0_E12FanSymmetricILi1EELi0E11ProtoSimpleILi1ELi1ELi0ELi2ELi0ELi0EELi0ELb0ELi0ELi0ELi0EEC2EiiPKiS9_PKvPvmhhhP15ncclDevWorkCollP14ncclDevWorkP2pii@rel32@hi+12
	s_getpc_b64 s[6:7]
	s_add_u32 s6, s6, __assert_fail@rel32@lo+4
	s_addc_u32 s7, s7, __assert_fail@rel32@hi+12
	v_mov_b32_e32 v0, s4
	v_mov_b32_e32 v1, s5
	s_swappc_b64 s[30:31], s[6:7]
	; divergent unreachable
.LBB4_5355:
	s_or_b64 exec, exec, s[26:27]
	buffer_load_dword v62, off, s[0:3], s33 ; 4-byte Folded Reload
	buffer_load_dword v61, off, s[0:3], s33 offset:4 ; 4-byte Folded Reload
	buffer_load_dword v60, off, s[0:3], s33 offset:8 ; 4-byte Folded Reload
	buffer_load_dword v59, off, s[0:3], s33 offset:12 ; 4-byte Folded Reload
	buffer_load_dword v58, off, s[0:3], s33 offset:16 ; 4-byte Folded Reload
	buffer_load_dword v57, off, s[0:3], s33 offset:20 ; 4-byte Folded Reload
	buffer_load_dword v56, off, s[0:3], s33 offset:24 ; 4-byte Folded Reload
	buffer_load_dword v47, off, s[0:3], s33 offset:28 ; 4-byte Folded Reload
	buffer_load_dword v46, off, s[0:3], s33 offset:32 ; 4-byte Folded Reload
	buffer_load_dword v45, off, s[0:3], s33 offset:36 ; 4-byte Folded Reload
	buffer_load_dword v44, off, s[0:3], s33 offset:40 ; 4-byte Folded Reload
	buffer_load_dword v43, off, s[0:3], s33 offset:44 ; 4-byte Folded Reload
	buffer_load_dword v42, off, s[0:3], s33 offset:48 ; 4-byte Folded Reload
	buffer_load_dword v41, off, s[0:3], s33 offset:52 ; 4-byte Folded Reload
	buffer_load_dword v40, off, s[0:3], s33 offset:56 ; 4-byte Folded Reload
	v_readlane_b32 s30, v63, 20
	v_readlane_b32 s31, v63, 21
	;; [unrolled: 1-line block ×22, first 2 shown]
	s_mov_b32 s32, s33
	v_readlane_b32 s4, v63, 22
	s_or_saveexec_b64 s[6:7], -1
	buffer_load_dword v63, off, s[0:3], s33 offset:244 ; 4-byte Folded Reload
	s_mov_b64 exec, s[6:7]
	s_mov_b32 s33, s4
	s_waitcnt vmcnt(0) lgkmcnt(0)
	s_setpc_b64 s[30:31]
.Lfunc_end4:
	.size	_ZN12_GLOBAL__N_17runRingI14__hip_fp8_e5m28FuncProdIS1_E11ProtoSimpleILi1ELi1ELi0ELi2ELi0ELi0EELi0ELi2ELi0EEEviiP15ncclDevWorkColl, .Lfunc_end4-_ZN12_GLOBAL__N_17runRingI14__hip_fp8_e5m28FuncProdIS1_E11ProtoSimpleILi1ELi1ELi0ELi2ELi0ELi0EELi0ELi2ELi0EEEviiP15ncclDevWorkColl
                                        ; -- End function
	.set .L_ZN12_GLOBAL__N_17runRingI14__hip_fp8_e5m28FuncProdIS1_E11ProtoSimpleILi1ELi1ELi0ELi2ELi0ELi0EELi0ELi2ELi0EEEviiP15ncclDevWorkColl.num_vgpr, max(64, .L__assert_fail.num_vgpr)
	.set .L_ZN12_GLOBAL__N_17runRingI14__hip_fp8_e5m28FuncProdIS1_E11ProtoSimpleILi1ELi1ELi0ELi2ELi0ELi0EELi0ELi2ELi0EEEviiP15ncclDevWorkColl.num_agpr, max(0, .L__assert_fail.num_agpr)
	.set .L_ZN12_GLOBAL__N_17runRingI14__hip_fp8_e5m28FuncProdIS1_E11ProtoSimpleILi1ELi1ELi0ELi2ELi0ELi0EELi0ELi2ELi0EEEviiP15ncclDevWorkColl.numbered_sgpr, max(96, .L__assert_fail.numbered_sgpr)
	.set .L_ZN12_GLOBAL__N_17runRingI14__hip_fp8_e5m28FuncProdIS1_E11ProtoSimpleILi1ELi1ELi0ELi2ELi0ELi0EELi0ELi2ELi0EEEviiP15ncclDevWorkColl.num_named_barrier, max(0, .L__assert_fail.num_named_barrier)
	.set .L_ZN12_GLOBAL__N_17runRingI14__hip_fp8_e5m28FuncProdIS1_E11ProtoSimpleILi1ELi1ELi0ELi2ELi0ELi0EELi0ELi2ELi0EEEviiP15ncclDevWorkColl.private_seg_size, 256+max(.L__assert_fail.private_seg_size)
	.set .L_ZN12_GLOBAL__N_17runRingI14__hip_fp8_e5m28FuncProdIS1_E11ProtoSimpleILi1ELi1ELi0ELi2ELi0ELi0EELi0ELi2ELi0EEEviiP15ncclDevWorkColl.uses_vcc, or(1, .L__assert_fail.uses_vcc)
	.set .L_ZN12_GLOBAL__N_17runRingI14__hip_fp8_e5m28FuncProdIS1_E11ProtoSimpleILi1ELi1ELi0ELi2ELi0ELi0EELi0ELi2ELi0EEEviiP15ncclDevWorkColl.uses_flat_scratch, or(0, .L__assert_fail.uses_flat_scratch)
	.set .L_ZN12_GLOBAL__N_17runRingI14__hip_fp8_e5m28FuncProdIS1_E11ProtoSimpleILi1ELi1ELi0ELi2ELi0ELi0EELi0ELi2ELi0EEEviiP15ncclDevWorkColl.has_dyn_sized_stack, or(0, .L__assert_fail.has_dyn_sized_stack)
	.set .L_ZN12_GLOBAL__N_17runRingI14__hip_fp8_e5m28FuncProdIS1_E11ProtoSimpleILi1ELi1ELi0ELi2ELi0ELi0EELi0ELi2ELi0EEEviiP15ncclDevWorkColl.has_recursion, or(1, .L__assert_fail.has_recursion)
	.set .L_ZN12_GLOBAL__N_17runRingI14__hip_fp8_e5m28FuncProdIS1_E11ProtoSimpleILi1ELi1ELi0ELi2ELi0ELi0EELi0ELi2ELi0EEEviiP15ncclDevWorkColl.has_indirect_call, or(0, .L__assert_fail.has_indirect_call)
	.section	.AMDGPU.csdata,"",@progbits
; Function info:
; codeLenInByte = 144108
; TotalNumSgprs: 100
; NumVgprs: 64
; ScratchSize: 320
; MemoryBound: 1
	.text
	.p2align	2                               ; -- Begin function _Z48ncclDevFunc_Reduce_RING_SIMPLE_Prod_f8e5m2_0_0_2v
	.type	_Z48ncclDevFunc_Reduce_RING_SIMPLE_Prod_f8e5m2_0_0_2v,@function
_Z48ncclDevFunc_Reduce_RING_SIMPLE_Prod_f8e5m2_0_0_2v: ; @_Z48ncclDevFunc_Reduce_RING_SIMPLE_Prod_f8e5m2_0_0_2v
; %bb.0:
	s_waitcnt vmcnt(0) expcnt(0) lgkmcnt(0)
	s_mov_b32 s4, s33
	s_mov_b32 s33, s32
	s_or_saveexec_b64 s[6:7], -1
	buffer_store_dword v43, off, s[0:3], s33 offset:16 ; 4-byte Folded Spill
	s_mov_b64 exec, s[6:7]
	v_writelane_b32 v43, s4, 30
	s_addk_i32 s32, 0x800
	buffer_store_dword v40, off, s[0:3], s33 offset:12 ; 4-byte Folded Spill
	buffer_store_dword v41, off, s[0:3], s33 offset:8 ; 4-byte Folded Spill
	;; [unrolled: 1-line block ×3, first 2 shown]
	buffer_store_dword v63, off, s[0:3], s33 ; 4-byte Folded Spill
	v_writelane_b32 v43, s34, 0
	v_writelane_b32 v43, s35, 1
	;; [unrolled: 1-line block ×30, first 2 shown]
	s_trap 2
	ds_read_b32 v0, v0
	v_mov_b32_e32 v40, v31
	s_mov_b32 s82, s12
	s_mov_b64 s[80:81], s[8:9]
	s_waitcnt lgkmcnt(0)
	v_cmp_gt_i32_e32 vcc, 1, v0
	s_cbranch_vccnz .LBB5_8
; %bb.1:
	s_mov_b32 s83, 0
	v_and_b32_e32 v41, 0x3ff, v40
	v_mov_b32_e32 v42, 6
	s_branch .LBB5_3
.LBB5_2:                                ;   in Loop: Header=BB5_3 Depth=1
	s_or_b64 exec, exec, s[84:85]
	s_trap 2
	ds_read_b32 v0, v0
	s_add_i32 s83, s83, 1
	s_waitcnt lgkmcnt(0)
	v_cmp_lt_i32_e32 vcc, s83, v0
	s_cbranch_vccz .LBB5_8
.LBB5_3:                                ; =>This Inner Loop Header: Depth=1
	s_trap 2
	ds_read_b32 v0, v0
	s_cmp_eq_u32 s83, 0
	s_cbranch_scc1 .LBB5_6
; %bb.4:                                ;   in Loop: Header=BB5_3 Depth=1
	s_trap 2
	s_waitcnt lgkmcnt(0)
	ds_read_b32 v1, v0
	s_waitcnt lgkmcnt(0)
	v_xor_b32_e32 v1, v1, v0
	v_and_b32_e32 v1, 0xff0000, v1
	v_cmp_eq_u32_e32 vcc, 0, v1
	s_cbranch_vccnz .LBB5_6
; %bb.5:                                ;   in Loop: Header=BB5_3 Depth=1
	s_waitcnt vmcnt(0)
	s_barrier
	ds_read_b32 v0, v0
.LBB5_6:                                ;   in Loop: Header=BB5_3 Depth=1
	s_waitcnt lgkmcnt(0)
	v_lshlrev_b32_sdwa v1, v42, v0 dst_sel:DWORD dst_unused:UNUSED_PAD src0_sel:DWORD src1_sel:BYTE_2
	v_cmp_lt_u32_e32 vcc, v41, v1
	s_and_saveexec_b64 s[84:85], vcc
	s_cbranch_execz .LBB5_2
; %bb.7:                                ;   in Loop: Header=BB5_3 Depth=1
	s_mov_b64 s[4:5], src_shared_base
	s_getpc_b64 s[6:7]
	s_add_u32 s6, s6, _ZN12_GLOBAL__N_17runRingI14__hip_fp8_e5m28FuncProdIS1_E11ProtoSimpleILi1ELi1ELi0ELi2ELi0ELi0EELi0ELi2ELi0EEEviiP15ncclDevWorkColl@rel32@lo+4
	s_addc_u32 s7, s7, _ZN12_GLOBAL__N_17runRingI14__hip_fp8_e5m28FuncProdIS1_E11ProtoSimpleILi1ELi1ELi0ELi2ELi0ELi0EELi0ELi2ELi0EEEviiP15ncclDevWorkColl@rel32@hi+12
	s_mov_b64 s[8:9], s[80:81]
	s_mov_b32 s12, s82
	v_mov_b32_e32 v31, v40
	v_mov_b32_e32 v0, v41
	;; [unrolled: 1-line block ×3, first 2 shown]
	s_swappc_b64 s[30:31], s[6:7]
	s_branch .LBB5_2
.LBB5_8:
	buffer_load_dword v63, off, s[0:3], s33 ; 4-byte Folded Reload
	buffer_load_dword v42, off, s[0:3], s33 offset:4 ; 4-byte Folded Reload
	buffer_load_dword v41, off, s[0:3], s33 offset:8 ; 4-byte Folded Reload
	;; [unrolled: 1-line block ×3, first 2 shown]
	v_readlane_b32 s30, v43, 28
	v_readlane_b32 s31, v43, 29
	;; [unrolled: 1-line block ×30, first 2 shown]
	s_mov_b32 s32, s33
	v_readlane_b32 s4, v43, 30
	s_or_saveexec_b64 s[6:7], -1
	buffer_load_dword v43, off, s[0:3], s33 offset:16 ; 4-byte Folded Reload
	s_mov_b64 exec, s[6:7]
	s_mov_b32 s33, s4
	s_waitcnt vmcnt(0)
	s_setpc_b64 s[30:31]
.Lfunc_end5:
	.size	_Z48ncclDevFunc_Reduce_RING_SIMPLE_Prod_f8e5m2_0_0_2v, .Lfunc_end5-_Z48ncclDevFunc_Reduce_RING_SIMPLE_Prod_f8e5m2_0_0_2v
                                        ; -- End function
	.set .L_Z48ncclDevFunc_Reduce_RING_SIMPLE_Prod_f8e5m2_0_0_2v.num_vgpr, max(64, .L_ZN12_GLOBAL__N_17runRingI14__hip_fp8_e5m28FuncProdIS1_E11ProtoSimpleILi1ELi1ELi0ELi2ELi0ELi0EELi0ELi2ELi0EEEviiP15ncclDevWorkColl.num_vgpr)
	.set .L_Z48ncclDevFunc_Reduce_RING_SIMPLE_Prod_f8e5m2_0_0_2v.num_agpr, max(0, .L_ZN12_GLOBAL__N_17runRingI14__hip_fp8_e5m28FuncProdIS1_E11ProtoSimpleILi1ELi1ELi0ELi2ELi0ELi0EELi0ELi2ELi0EEEviiP15ncclDevWorkColl.num_agpr)
	.set .L_Z48ncclDevFunc_Reduce_RING_SIMPLE_Prod_f8e5m2_0_0_2v.numbered_sgpr, max(86, .L_ZN12_GLOBAL__N_17runRingI14__hip_fp8_e5m28FuncProdIS1_E11ProtoSimpleILi1ELi1ELi0ELi2ELi0ELi0EELi0ELi2ELi0EEEviiP15ncclDevWorkColl.numbered_sgpr)
	.set .L_Z48ncclDevFunc_Reduce_RING_SIMPLE_Prod_f8e5m2_0_0_2v.num_named_barrier, max(0, .L_ZN12_GLOBAL__N_17runRingI14__hip_fp8_e5m28FuncProdIS1_E11ProtoSimpleILi1ELi1ELi0ELi2ELi0ELi0EELi0ELi2ELi0EEEviiP15ncclDevWorkColl.num_named_barrier)
	.set .L_Z48ncclDevFunc_Reduce_RING_SIMPLE_Prod_f8e5m2_0_0_2v.private_seg_size, 32+max(.L_ZN12_GLOBAL__N_17runRingI14__hip_fp8_e5m28FuncProdIS1_E11ProtoSimpleILi1ELi1ELi0ELi2ELi0ELi0EELi0ELi2ELi0EEEviiP15ncclDevWorkColl.private_seg_size)
	.set .L_Z48ncclDevFunc_Reduce_RING_SIMPLE_Prod_f8e5m2_0_0_2v.uses_vcc, or(1, .L_ZN12_GLOBAL__N_17runRingI14__hip_fp8_e5m28FuncProdIS1_E11ProtoSimpleILi1ELi1ELi0ELi2ELi0ELi0EELi0ELi2ELi0EEEviiP15ncclDevWorkColl.uses_vcc)
	.set .L_Z48ncclDevFunc_Reduce_RING_SIMPLE_Prod_f8e5m2_0_0_2v.uses_flat_scratch, or(0, .L_ZN12_GLOBAL__N_17runRingI14__hip_fp8_e5m28FuncProdIS1_E11ProtoSimpleILi1ELi1ELi0ELi2ELi0ELi0EELi0ELi2ELi0EEEviiP15ncclDevWorkColl.uses_flat_scratch)
	.set .L_Z48ncclDevFunc_Reduce_RING_SIMPLE_Prod_f8e5m2_0_0_2v.has_dyn_sized_stack, or(0, .L_ZN12_GLOBAL__N_17runRingI14__hip_fp8_e5m28FuncProdIS1_E11ProtoSimpleILi1ELi1ELi0ELi2ELi0ELi0EELi0ELi2ELi0EEEviiP15ncclDevWorkColl.has_dyn_sized_stack)
	.set .L_Z48ncclDevFunc_Reduce_RING_SIMPLE_Prod_f8e5m2_0_0_2v.has_recursion, or(1, .L_ZN12_GLOBAL__N_17runRingI14__hip_fp8_e5m28FuncProdIS1_E11ProtoSimpleILi1ELi1ELi0ELi2ELi0ELi0EELi0ELi2ELi0EEEviiP15ncclDevWorkColl.has_recursion)
	.set .L_Z48ncclDevFunc_Reduce_RING_SIMPLE_Prod_f8e5m2_0_0_2v.has_indirect_call, or(0, .L_ZN12_GLOBAL__N_17runRingI14__hip_fp8_e5m28FuncProdIS1_E11ProtoSimpleILi1ELi1ELi0ELi2ELi0ELi0EELi0ELi2ELi0EEEviiP15ncclDevWorkColl.has_indirect_call)
	.section	.AMDGPU.csdata,"",@progbits
; Function info:
; codeLenInByte = 864
; TotalNumSgprs: 100
; NumVgprs: 64
; ScratchSize: 352
; MemoryBound: 0
	.text
	.p2align	2                               ; -- Begin function _ZN12_GLOBAL__N_17runRingI14__hip_fp8_e5m28FuncProdIS1_E11ProtoSimpleILi1ELi1ELi0ELi4ELi0ELi0EELi0ELi4ELi0EEEviiP15ncclDevWorkColl
	.type	_ZN12_GLOBAL__N_17runRingI14__hip_fp8_e5m28FuncProdIS1_E11ProtoSimpleILi1ELi1ELi0ELi4ELi0ELi0EELi0ELi4ELi0EEEviiP15ncclDevWorkColl,@function
_ZN12_GLOBAL__N_17runRingI14__hip_fp8_e5m28FuncProdIS1_E11ProtoSimpleILi1ELi1ELi0ELi4ELi0ELi0EELi0ELi4ELi0EEEviiP15ncclDevWorkColl: ; @_ZN12_GLOBAL__N_17runRingI14__hip_fp8_e5m28FuncProdIS1_E11ProtoSimpleILi1ELi1ELi0ELi4ELi0ELi0EELi0ELi4ELi0EEEviiP15ncclDevWorkColl
; %bb.0:
	s_waitcnt vmcnt(0) expcnt(0) lgkmcnt(0)
	s_mov_b32 s4, s33
	s_mov_b32 s33, s32
	s_or_saveexec_b64 s[6:7], -1
	buffer_store_dword v63, off, s[0:3], s33 offset:452 ; 4-byte Folded Spill
	s_mov_b64 exec, s[6:7]
	v_writelane_b32 v63, s4, 22
	s_addk_i32 s32, 0x7400
	buffer_store_dword v40, off, s[0:3], s33 offset:56 ; 4-byte Folded Spill
	buffer_store_dword v41, off, s[0:3], s33 offset:52 ; 4-byte Folded Spill
	;; [unrolled: 1-line block ×14, first 2 shown]
	buffer_store_dword v62, off, s[0:3], s33 ; 4-byte Folded Spill
	v_writelane_b32 v63, s34, 0
	v_writelane_b32 v63, s35, 1
	;; [unrolled: 1-line block ×22, first 2 shown]
	v_mov_b32_e32 v27, v1
	v_mov_b32_e32 v48, v0
	s_trap 2
	ds_read_b64 v[0:1], v0
                                        ; implicit-def: $vgpr50_vgpr51
                                        ; implicit-def: $vgpr28_vgpr29
	s_waitcnt lgkmcnt(0)
	v_ashrrev_i32_e32 v5, 31, v1
	v_mov_b32_e32 v4, v1
	v_lshlrev_b64 v[4:5], 2, v[4:5]
	ds_read_b32 v10, v0
	v_add_co_u32_e32 v4, vcc, v0, v4
	v_addc_co_u32_e32 v1, vcc, v1, v5, vcc
	v_add_co_u32_e32 v6, vcc, -4, v4
	flat_load_ushort v5, v[2:3] offset:8
	flat_load_dwordx2 v[8:9], v[2:3]
	v_addc_co_u32_e32 v7, vcc, -1, v1, vcc
	flat_load_dword v16, v[6:7]
                                        ; implicit-def: $vgpr6_vgpr7
	s_waitcnt vmcnt(0) lgkmcnt(0)
	v_mov_b32_e32 v4, v9
	v_cmp_ne_u32_sdwa s[4:5], v10, v8 src0_sel:DWORD src1_sel:BYTE_0
	s_and_saveexec_b64 s[6:7], s[4:5]
	s_xor_b64 s[4:5], exec, s[6:7]
	s_cbranch_execz .LBB6_6
; %bb.1:
	v_not_b32_sdwa v1, v8 dst_sel:DWORD dst_unused:UNUSED_PAD src0_sel:BYTE_0
	v_cmp_ne_u32_sdwa s[6:7], v10, v8 src0_sel:DWORD src1_sel:BYTE_1
                                        ; implicit-def: $vgpr6_vgpr7
                                        ; implicit-def: $vgpr50_vgpr51
                                        ; implicit-def: $vgpr28_vgpr29
	s_and_saveexec_b64 s[10:11], s[6:7]
	s_xor_b64 s[6:7], exec, s[10:11]
	s_cbranch_execz .LBB6_3
; %bb.2:
	flat_load_dwordx4 v[6:9], v[2:3] offset:72
	flat_load_dwordx2 v[11:12], v[2:3] offset:96
	v_add_u32_e32 v1, v10, v1
	v_ashrrev_i32_e32 v10, 31, v1
	s_waitcnt vmcnt(0) lgkmcnt(0)
	v_mul_lo_u32 v10, v8, v10
	v_mad_u64_u32 v[28:29], s[10:11], v8, v1, v[6:7]
	v_mul_lo_u32 v1, v9, v1
	v_mov_b32_e32 v51, v9
	v_lshrrev_b64 v[6:7], 12, v[11:12]
	v_mov_b32_e32 v50, v8
	v_add3_u32 v29, v1, v29, v10
                                        ; implicit-def: $vgpr8
                                        ; implicit-def: $vgpr1
.LBB6_3:
	s_andn2_saveexec_b64 s[6:7], s[6:7]
	s_cbranch_execz .LBB6_5
; %bb.4:
	flat_load_dwordx4 v[9:12], v[2:3] offset:72
	flat_load_dwordx4 v[50:53], v[2:3] offset:88
	v_add_u32_sdwa v1, v8, v1 dst_sel:DWORD dst_unused:UNUSED_PAD src0_sel:BYTE_1 src1_sel:DWORD
	v_ashrrev_i32_e32 v6, 31, v1
	s_waitcnt vmcnt(0) lgkmcnt(0)
	v_mul_lo_u32 v6, v11, v6
	v_mad_u64_u32 v[28:29], s[10:11], v11, v1, v[9:10]
	v_mul_lo_u32 v1, v12, v1
	v_add3_u32 v29, v1, v29, v6
	v_lshrrev_b32_e32 v6, 1, v53
.LBB6_5:
	s_or_b64 exec, exec, s[6:7]
.LBB6_6:
	s_andn2_saveexec_b64 s[4:5], s[4:5]
	s_cbranch_execz .LBB6_8
; %bb.7:
	flat_load_dwordx2 v[6:7], v[2:3] offset:96
	flat_load_dwordx2 v[50:51], v[2:3] offset:72
	v_mov_b32_e32 v28, 0
	v_mov_b32_e32 v29, 0
	s_waitcnt vmcnt(0) lgkmcnt(0)
	v_lshlrev_b64 v[6:7], 9, v[6:7]
.LBB6_8:
	s_or_b64 exec, exec, s[4:5]
	s_trap 2
	ds_read_b64 v[7:8], v0
	s_waitcnt lgkmcnt(0)
	v_cmp_ne_u32_e32 vcc, -1, v7
	v_cndmask_b32_e64 v9, 0, 1, vcc
	v_cmp_ne_u32_e32 vcc, -1, v8
	v_addc_co_u32_e64 v1, s[4:5], 0, v9, vcc
	v_lshlrev_b32_e32 v7, 1, v1
	v_cmp_le_u32_e64 s[4:5], v7, v27
	s_and_saveexec_b64 s[6:7], s[4:5]
	s_xor_b64 s[26:27], exec, s[6:7]
	s_cbranch_execnz .LBB6_9
; %bb.8944:
	s_getpc_b64 s[70:71]
.Lpost_getpc2:
	s_add_u32 s70, s70, (.LBB6_8941-.Lpost_getpc2)&4294967295
	s_addc_u32 s71, s71, (.LBB6_8941-.Lpost_getpc2)>>32
	s_setpc_b64 s[70:71]
.LBB6_9:
	flat_load_dwordx4 v[10:13], v[2:3] offset:16
	flat_load_dwordx2 v[7:8], v[2:3] offset:104
	s_trap 2
	s_load_dword s4, s[8:9], 0x0
	v_mov_b32_e32 v2, 0
	v_mov_b32_e32 v49, 4
	s_waitcnt lgkmcnt(0)
	s_cmp_lt_u32 s12, s4
	s_cselect_b32 s4, 12, 18
	s_add_u32 s4, s8, s4
	s_addc_u32 s5, s9, 0
	global_load_ushort v2, v2, s[4:5]
	v_cmp_ge_i32_e64 s[4:5], v48, v9
	s_waitcnt vmcnt(0)
	buffer_store_dword v2, off, s[0:3], s33 offset:364 ; 4-byte Folded Spill
	ds_read_b32 v2, v0
	s_waitcnt lgkmcnt(0)
	v_readfirstlane_b32 s48, v2
	s_and_saveexec_b64 s[6:7], s[4:5]
	s_cbranch_execz .LBB6_19
; %bb.10:
	v_cmp_ge_u32_e64 s[4:5], v48, v1
                                        ; implicit-def: $vgpr49
	s_and_saveexec_b64 s[10:11], s[4:5]
	s_xor_b64 s[4:5], exec, s[10:11]
	s_cbranch_execz .LBB6_16
; %bb.11:
	v_cndmask_b32_e64 v2, 0, 1, vcc
	v_sub_u32_e32 v2, v27, v2
	v_cmp_ge_u32_e32 vcc, v48, v2
	s_and_saveexec_b64 s[10:11], vcc
	s_xor_b64 s[10:11], exec, s[10:11]
; %bb.12:
                                        ; implicit-def: $vgpr1
; %bb.13:
	s_or_saveexec_b64 s[10:11], s[10:11]
	v_mov_b32_e32 v49, 16
	s_xor_b64 exec, exec, s[10:11]
; %bb.14:
	v_sub_u32_e32 v1, v27, v1
	v_cmp_lt_i32_e32 vcc, v48, v1
	v_cndmask_b32_e64 v49, 32, 0, vcc
; %bb.15:
	s_or_b64 exec, exec, s[10:11]
.LBB6_16:
	s_andn2_saveexec_b64 s[4:5], s[4:5]
; %bb.17:
	v_mov_b32_e32 v49, 8
; %bb.18:
	s_or_b64 exec, exec, s[4:5]
.LBB6_19:
	s_or_b64 exec, exec, s[6:7]
	v_and_b32_e32 v1, 36, v49
	v_cmp_ne_u32_e32 vcc, 0, v1
	v_mov_b32_e32 v1, -1
	s_and_saveexec_b64 s[4:5], vcc
	s_cbranch_execz .LBB6_21
; %bb.20:
	s_trap 2
	ds_read_b32 v1, v0
.LBB6_21:
	s_or_b64 exec, exec, s[4:5]
	v_and_b32_e32 v2, 24, v49
	v_cmp_ne_u32_e64 s[4:5], 0, v2
	s_and_saveexec_b64 s[6:7], s[4:5]
	s_cbranch_execz .LBB6_23
; %bb.22:
	s_trap 2
	s_waitcnt lgkmcnt(0)
	ds_read_b32 v1, v0
.LBB6_23:
	s_or_b64 exec, exec, s[6:7]
	v_mov_b32_e32 v14, 0
	v_mov_b32_e32 v15, 0
	v_lshrrev_b64 v[2:3], 31, v[4:5]
	buffer_store_dword v14, off, s[0:3], s33 offset:312 ; 4-byte Folded Spill
	s_nop 0
	buffer_store_dword v15, off, s[0:3], s33 offset:316 ; 4-byte Folded Spill
	v_mov_b32_e32 v52, 0
                                        ; implicit-def: $vgpr14_vgpr15
	v_and_b32_e32 v3, 3, v2
	v_mov_b32_e32 v53, 0
	s_waitcnt lgkmcnt(0)
	v_ashrrev_i32_e32 v2, 31, v1
                                        ; kill: killed $vgpr14_vgpr15
                                        ; implicit-def: $vgpr14_vgpr15
                                        ; implicit-def: $vgpr5
                                        ; kill: killed $vgpr5
                                        ; kill: killed $vgpr14_vgpr15
                                        ; implicit-def: $vgpr14_vgpr15
                                        ; kill: killed $vgpr14_vgpr15
                                        ; implicit-def: $vgpr57_vgpr58
	s_and_saveexec_b64 s[4:5], vcc
	s_cbranch_execz .LBB6_33
; %bb.24:
	s_trap 2
	ds_read_b64 v[14:15], v0
	v_lshlrev_b64 v[17:18], 3, v[1:2]
	v_and_b32_e32 v5, 0xffff, v3
	s_movk_i32 s6, 0xa8
	s_waitcnt lgkmcnt(0)
	v_add_co_u32_e32 v14, vcc, v14, v17
	v_addc_co_u32_e32 v15, vcc, v15, v18, vcc
	flat_load_dwordx2 v[14:15], v[14:15]
                                        ; implicit-def: $vgpr17_vgpr18
                                        ; kill: killed $vgpr17_vgpr18
	s_waitcnt vmcnt(0) lgkmcnt(0)
	v_mad_u64_u32 v[14:15], s[6:7], v5, s6, v[14:15]
	flat_load_dword v5, v[14:15] offset:640
	s_waitcnt vmcnt(0) lgkmcnt(0)
	v_cmp_eq_u32_e32 vcc, 1, v5
	s_and_saveexec_b64 s[6:7], vcc
	s_cbranch_execz .LBB6_26
; %bb.25:
	flat_load_dwordx2 v[19:20], v[14:15] offset:648
	v_or_b32_e32 v49, 0x2000, v49
	s_waitcnt vmcnt(0) lgkmcnt(0)
	flat_load_dwordx2 v[17:18], v[19:20]
	s_trap 2
	s_waitcnt vmcnt(0) lgkmcnt(0)
	ds_write_b64 v0, v[17:18]
	flat_load_dwordx2 v[17:18], v[19:20] offset:8
	s_waitcnt vmcnt(0) lgkmcnt(0)
	ds_write_b64 v0, v[17:18]
	buffer_store_dword v19, off, s[0:3], s33 offset:412 ; 4-byte Folded Spill
	s_nop 0
	buffer_store_dword v20, off, s[0:3], s33 offset:416 ; 4-byte Folded Spill
	flat_load_dwordx2 v[17:18], v[19:20] offset:16
	s_waitcnt vmcnt(0) lgkmcnt(0)
	ds_write_b64 v0, v[17:18]
.LBB6_26:
	s_or_b64 exec, exec, s[6:7]
	flat_load_dwordx2 v[54:55], v[14:15] offset:608
	v_and_b32_e32 v5, 32, v49
	v_cmp_ne_u32_e32 vcc, 0, v5
                                        ; implicit-def: $vgpr57_vgpr58
	s_and_saveexec_b64 s[6:7], vcc
	s_cbranch_execz .LBB6_28
; %bb.27:
	flat_load_dwordx2 v[57:58], v[14:15] offset:560
	s_waitcnt vmcnt(0) lgkmcnt(0)
	flat_store_dwordx2 v[57:58], v[54:55]
.LBB6_28:
	s_or_b64 exec, exec, s[6:7]
	v_add_co_u32_e32 v17, vcc, 0x1f8, v14
	v_addc_co_u32_e32 v18, vcc, 0, v15, vcc
	buffer_store_dword v17, off, s[0:3], s33 offset:312 ; 4-byte Folded Spill
	s_nop 0
	buffer_store_dword v18, off, s[0:3], s33 offset:316 ; 4-byte Folded Spill
	v_and_b32_e32 v5, 4, v49
	v_mov_b32_e32 v52, 0
	v_mov_b32_e32 v53, 0
	v_cmp_ne_u32_e32 vcc, 0, v5
                                        ; implicit-def: $vgpr17_vgpr18
                                        ; implicit-def: $vgpr5
                                        ; kill: killed $vgpr5
                                        ; kill: killed $vgpr17_vgpr18
                                        ; implicit-def: $vgpr17_vgpr18
                                        ; kill: killed $vgpr17_vgpr18
	s_and_saveexec_b64 s[6:7], vcc
	s_cbranch_execz .LBB6_32
; %bb.29:
	v_and_b32_e32 v5, 0x800, v49
	v_cmp_eq_u32_e32 vcc, 0, v5
	s_and_saveexec_b64 s[10:11], vcc
	s_cbranch_execz .LBB6_31
; %bb.30:
	s_trap 2
	buffer_load_dword v17, off, s[0:3], s33 offset:312 ; 4-byte Folded Reload
	buffer_load_dword v18, off, s[0:3], s33 offset:316 ; 4-byte Folded Reload
	s_waitcnt vmcnt(0)
	ds_write_b64 v0, v[17:18]
.LBB6_31:
	s_or_b64 exec, exec, s[10:11]
	flat_load_dwordx2 v[57:58], v[14:15] offset:552
	s_waitcnt vmcnt(0) lgkmcnt(0)
	flat_load_dwordx2 v[17:18], v[57:58] glc
	s_waitcnt vmcnt(0) lgkmcnt(0)
	buffer_store_dword v17, off, s[0:3], s33 offset:60 ; 4-byte Folded Spill
	s_nop 0
	buffer_store_dword v18, off, s[0:3], s33 offset:64 ; 4-byte Folded Spill
	flat_load_dwordx2 v[52:53], v[14:15] offset:600
	flat_load_dword v5, v[14:15] offset:576
	s_waitcnt vmcnt(0) lgkmcnt(0)
	v_cmp_eq_u64_e32 vcc, 0, v[52:53]
	flat_load_dwordx2 v[14:15], v[14:15] offset:520
	s_nop 0
	buffer_store_dword v5, off, s[0:3], s33 offset:292 ; 4-byte Folded Spill
	v_or_b32_e32 v5, 0x100, v49
	v_cndmask_b32_e32 v49, v5, v49, vcc
	s_waitcnt vmcnt(0) lgkmcnt(0)
	buffer_store_dword v14, off, s[0:3], s33 offset:264 ; 4-byte Folded Spill
	s_nop 0
	buffer_store_dword v15, off, s[0:3], s33 offset:268 ; 4-byte Folded Spill
.LBB6_32:
	s_or_b64 exec, exec, s[6:7]
.LBB6_33:
	s_or_b64 exec, exec, s[4:5]
	v_and_b32_e32 v5, 24, v49
	v_cmp_ne_u32_e32 vcc, 0, v5
                                        ; implicit-def: $vgpr40_vgpr41
	s_and_saveexec_b64 s[4:5], vcc
	s_cbranch_execz .LBB6_41
; %bb.34:
	s_trap 2
	ds_read_b64 v[14:15], v0
	v_lshlrev_b64 v[1:2], 3, v[1:2]
	v_and_b32_e32 v3, 0xffff, v3
	s_movk_i32 s6, 0xa8
                                        ; implicit-def: $vgpr40_vgpr41
	s_waitcnt lgkmcnt(0)
	v_add_co_u32_e32 v1, vcc, v14, v1
	v_addc_co_u32_e32 v2, vcc, v15, v2, vcc
	flat_load_dwordx2 v[1:2], v[1:2]
	s_waitcnt vmcnt(0) lgkmcnt(0)
	v_mad_u64_u32 v[1:2], s[6:7], v3, s6, v[1:2]
	buffer_store_dword v1, off, s[0:3], s33 offset:312 ; 4-byte Folded Spill
	s_nop 0
	buffer_store_dword v2, off, s[0:3], s33 offset:316 ; 4-byte Folded Spill
	flat_load_dwordx4 v[52:55], v[1:2] offset:96
	v_or_b32_e32 v1, 0x100, v49
	s_waitcnt vmcnt(0) lgkmcnt(0)
	v_cmp_eq_u64_e32 vcc, 0, v[52:53]
	v_cndmask_b32_e32 v49, v1, v49, vcc
	v_and_b32_e32 v1, 16, v49
	v_cmp_ne_u32_e32 vcc, 0, v1
	s_and_saveexec_b64 s[6:7], vcc
	s_cbranch_execz .LBB6_36
; %bb.35:
	buffer_load_dword v1, off, s[0:3], s33 offset:312 ; 4-byte Folded Reload
	buffer_load_dword v2, off, s[0:3], s33 offset:316 ; 4-byte Folded Reload
	s_waitcnt vmcnt(0)
	flat_load_dwordx2 v[57:58], v[1:2] offset:48
	flat_load_dwordx2 v[40:41], v[1:2] offset:120
	s_nop 0
	flat_load_dwordx2 v[1:2], v[1:2] offset:16
	s_waitcnt vmcnt(0) lgkmcnt(0)
	buffer_store_dword v1, off, s[0:3], s33 offset:264 ; 4-byte Folded Spill
	s_nop 0
	buffer_store_dword v2, off, s[0:3], s33 offset:268 ; 4-byte Folded Spill
.LBB6_36:
	s_or_b64 exec, exec, s[6:7]
	v_and_b32_e32 v1, 8, v49
	v_cmp_ne_u32_e32 vcc, 0, v1
	s_and_saveexec_b64 s[6:7], vcc
	s_cbranch_execz .LBB6_40
; %bb.37:
	v_and_b32_e32 v1, 0x800, v49
	v_cmp_eq_u32_e32 vcc, 0, v1
	s_and_saveexec_b64 s[10:11], vcc
	s_cbranch_execz .LBB6_39
; %bb.38:
	s_trap 2
	buffer_load_dword v1, off, s[0:3], s33 offset:312 ; 4-byte Folded Reload
	buffer_load_dword v2, off, s[0:3], s33 offset:316 ; 4-byte Folded Reload
	s_waitcnt vmcnt(0)
	ds_write_b64 v0, v[1:2]
.LBB6_39:
	s_or_b64 exec, exec, s[10:11]
	buffer_load_dword v1, off, s[0:3], s33 offset:312 ; 4-byte Folded Reload
	buffer_load_dword v2, off, s[0:3], s33 offset:316 ; 4-byte Folded Reload
	s_waitcnt vmcnt(0)
	flat_load_dwordx2 v[57:58], v[1:2] offset:56
	s_waitcnt vmcnt(0) lgkmcnt(0)
	flat_load_dwordx2 v[14:15], v[57:58] glc
	s_waitcnt vmcnt(0) lgkmcnt(0)
	buffer_store_dword v14, off, s[0:3], s33 offset:60 ; 4-byte Folded Spill
	s_nop 0
	buffer_store_dword v15, off, s[0:3], s33 offset:64 ; 4-byte Folded Spill
	flat_load_dword v3, v[1:2] offset:72
	s_nop 0
	flat_load_dwordx2 v[1:2], v[1:2] offset:16
	s_waitcnt vmcnt(0) lgkmcnt(0)
	buffer_store_dword v3, off, s[0:3], s33 offset:292 ; 4-byte Folded Spill
	buffer_store_dword v1, off, s[0:3], s33 offset:264 ; 4-byte Folded Spill
	s_nop 0
	buffer_store_dword v2, off, s[0:3], s33 offset:268 ; 4-byte Folded Spill
.LBB6_40:
	s_or_b64 exec, exec, s[6:7]
.LBB6_41:
	s_or_b64 exec, exec, s[4:5]
	v_cmp_eq_u32_e64 s[4:5], 0, v48
	s_and_saveexec_b64 s[6:7], s[4:5]
	s_cbranch_execz .LBB6_43
; %bb.42:
	v_mov_b32_e32 v1, v12
	v_mov_b32_e32 v2, v13
	ds_write2_b64 v0, v[1:2], v[10:11] offset1:1
	v_mov_b32_e32 v1, 0
	v_mov_b32_e32 v2, v1
	s_trap 2
	ds_write_b64 v0, v[1:2]
	ds_write_b64 v0, v[7:8]
.LBB6_43:
	s_or_b64 exec, exec, s[6:7]
	v_and_b32_e32 v1, 0x3ffffe00, v6
	v_mov_b32_e32 v2, 0
	buffer_store_dword v1, off, s[0:3], s33 offset:248 ; 4-byte Folded Spill
	s_nop 0
	buffer_store_dword v2, off, s[0:3], s33 offset:252 ; 4-byte Folded Spill
	v_bfe_u32 v1, v4, 1, 30
	v_cmp_ne_u32_e32 vcc, v16, v1
                                        ; implicit-def: $vgpr2_vgpr3
                                        ; kill: killed $vgpr2_vgpr3
	s_and_saveexec_b64 s[6:7], vcc
	s_xor_b64 s[28:29], exec, s[6:7]
	s_cbranch_execnz .LBB6_44
; %bb.8946:
	s_getpc_b64 s[70:71]
.Lpost_getpc3:
	s_add_u32 s70, s70, (.LBB6_8733-.Lpost_getpc3)&4294967295
	s_addc_u32 s71, s71, (.LBB6_8733-.Lpost_getpc3)>>32
	s_setpc_b64 s[70:71]
.LBB6_44:
	v_cmp_ne_u32_e32 vcc, v0, v1
                                        ; implicit-def: $vgpr0_vgpr1
                                        ; kill: killed $vgpr0_vgpr1
	s_and_saveexec_b64 s[6:7], vcc
	s_xor_b64 s[40:41], exec, s[6:7]
	s_cbranch_execz .LBB6_4394
; %bb.45:
	v_mov_b32_e32 v0, 0
	v_cmp_ne_u64_e32 vcc, 0, v[50:51]
	v_mov_b32_e32 v1, 0
	buffer_store_dword v0, off, s[0:3], s33 offset:68 ; 4-byte Folded Spill
	s_nop 0
	buffer_store_dword v1, off, s[0:3], s33 offset:72 ; 4-byte Folded Spill
	s_and_saveexec_b64 s[42:43], vcc
	s_cbranch_execz .LBB6_4393
; %bb.46:
	buffer_store_dword v28, off, s[0:3], s33 offset:304 ; 4-byte Folded Spill
	s_nop 0
	buffer_store_dword v29, off, s[0:3], s33 offset:308 ; 4-byte Folded Spill
	s_trap 2
	buffer_load_dword v0, off, s[0:3], s33 offset:292 ; 4-byte Folded Reload
	v_lshrrev_b32_e32 v2, 6, v27
	buffer_store_dword v31, off, s[0:3], s33 offset:408 ; 4-byte Folded Spill
	buffer_store_dword v2, off, s[0:3], s33 offset:236 ; 4-byte Folded Spill
	v_lshlrev_b32_e32 v44, 10, v2
	s_ashr_i32 s6, s48, 31
	s_lshr_b32 s6, s6, 24
	s_add_i32 s6, s48, s6
	v_cmp_eq_u32_e32 vcc, 64, v27
	v_cmp_eq_u64_e64 s[18:19], 0, v[40:41]
	v_mov_b32_e32 v59, 0
	s_mov_b32 s58, -1
	s_ashr_i32 s49, s6, 8
	v_cmp_ge_i32_e64 s[6:7], v48, v27
	v_cmp_ne_u32_e64 s[10:11], 64, v27
	v_mov_b32_e32 v28, 0
	s_movk_i32 s50, 0xffc0
	v_and_b32_e32 v45, 0x3fc0, v27
	s_mov_b64 s[46:47], 0
	v_mov_b32_e32 v60, 0
	s_movk_i32 s51, 0x108
	v_mov_b32_e32 v13, 1
	s_xor_b64 s[56:57], vcc, -1
	s_movk_i32 s52, 0xff80
	s_movk_i32 s53, 0x7c
	s_brev_b32 s54, 1
	s_mov_b32 s59, 0xffffff
	s_mov_b64 s[60:61], 0x7f800000
	s_movk_i32 s55, 0x80
	s_mov_b64 s[62:63], 0x47600001
	s_movk_i32 s64, 0x72
	;; [unrolled: 2-line block ×3, first 2 shown]
	s_mov_b32 s66, 0x7c0000
	s_brev_b32 s67, 62
	s_mov_b32 s68, 0x3ffffc00
	s_waitcnt vmcnt(0)
	v_ashrrev_i32_e32 v42, 31, v0
	buffer_load_dword v0, off, s[0:3], s33 offset:364 ; 4-byte Folded Reload
	s_waitcnt vmcnt(0)
	v_cmp_ne_u32_sdwa s[44:45], v27, v0 src0_sel:DWORD src1_sel:WORD_0
	v_and_b32_e32 v0, 63, v31
	v_cmp_eq_u32_e64 s[12:13], 0, v0
	v_ashrrev_i32_e32 v0, 31, v48
	v_lshrrev_b32_e32 v0, 26, v0
	v_add_u32_e32 v0, v48, v0
	v_and_b32_e32 v1, 0xffffffc0, v0
	v_ashrrev_i32_e32 v43, 6, v0
	v_sub_u32_e32 v1, v48, v1
	v_lshlrev_b32_e32 v0, 12, v43
	v_lshl_add_u32 v0, v1, 4, v0
	buffer_store_dword v0, off, s[0:3], s33 offset:444 ; 4-byte Folded Spill
	v_ashrrev_i32_e32 v0, 31, v0
	buffer_store_dword v0, off, s[0:3], s33 offset:448 ; 4-byte Folded Spill
	v_lshlrev_b32_e32 v0, 12, v2
	buffer_store_dword v0, off, s[0:3], s33 offset:284 ; 4-byte Folded Spill
	v_lshlrev_b32_e32 v0, 11, v2
	v_cmp_le_i32_e64 s[14:15], v1, v9
	v_cmp_lt_i32_e64 s[16:17], v1, v9
	buffer_store_dword v1, off, s[0:3], s33 offset:440 ; 4-byte Folded Spill
	buffer_store_dword v0, off, s[0:3], s33 offset:280 ; 4-byte Folded Spill
	;; [unrolled: 1-line block ×3, first 2 shown]
	v_mov_b32_e32 v0, 0
	v_mov_b32_e32 v1, 0
	buffer_store_dword v0, off, s[0:3], s33 offset:68 ; 4-byte Folded Spill
	s_nop 0
	buffer_store_dword v1, off, s[0:3], s33 offset:72 ; 4-byte Folded Spill
	v_mov_b32_e32 v0, v50
	v_mov_b32_e32 v1, v51
	buffer_store_dword v48, off, s[0:3], s33 offset:344 ; 4-byte Folded Spill
	buffer_store_dword v0, off, s[0:3], s33 offset:348 ; 4-byte Folded Spill
	s_nop 0
	buffer_store_dword v1, off, s[0:3], s33 offset:352 ; 4-byte Folded Spill
	buffer_store_dword v2, off, s[0:3], s33 offset:356 ; 4-byte Folded Spill
	;; [unrolled: 1-line block ×4, first 2 shown]
	s_nop 0
	buffer_store_dword v58, off, s[0:3], s33 offset:300 ; 4-byte Folded Spill
	buffer_load_dword v11, off, s[0:3], s33 offset:248 ; 4-byte Folded Reload
	buffer_load_dword v12, off, s[0:3], s33 offset:252 ; 4-byte Folded Reload
	s_nop 0
	buffer_store_dword v40, off, s[0:3], s33 offset:368 ; 4-byte Folded Spill
	s_nop 0
	buffer_store_dword v41, off, s[0:3], s33 offset:372 ; 4-byte Folded Spill
	buffer_store_dword v42, off, s[0:3], s33 offset:420 ; 4-byte Folded Spill
	;; [unrolled: 1-line block ×5, first 2 shown]
	s_branch .LBB6_49
.LBB6_47:                               ;   in Loop: Header=BB6_49 Depth=1
	s_or_b64 exec, exec, s[20:21]
.LBB6_48:                               ;   in Loop: Header=BB6_49 Depth=1
	s_or_b64 exec, exec, s[22:23]
	v_add_co_u32_e32 v59, vcc, v59, v11
	v_addc_co_u32_e32 v60, vcc, 0, v60, vcc
	v_cmp_ge_u64_e32 vcc, v[59:60], v[50:51]
	s_or_b64 s[46:47], vcc, s[46:47]
	s_andn2_b64 exec, exec, s[46:47]
	s_cbranch_execz .LBB6_4392
.LBB6_49:                               ; =>This Loop Header: Depth=1
                                        ;     Child Loop BB6_58 Depth 2
                                        ;     Child Loop BB6_86 Depth 2
	;; [unrolled: 1-line block ×10, first 2 shown]
	s_waitcnt vmcnt(0)
	v_sub_co_u32_e32 v0, vcc, v50, v59
	v_subb_co_u32_e32 v1, vcc, v51, v60, vcc
	s_waitcnt vmcnt(0)
	v_cmp_lt_u64_e32 vcc, v[11:12], v[0:1]
	v_cndmask_b32_e32 v2, v0, v11, vcc
	v_cndmask_b32_e64 v3, v1, 0, vcc
	v_mov_b32_e32 v1, v2
	v_add_u32_e32 v0, 15, v2
	buffer_store_dword v1, off, s[0:3], s33 offset:272 ; 4-byte Folded Spill
	s_nop 0
	buffer_store_dword v2, off, s[0:3], s33 offset:276 ; 4-byte Folded Spill
	v_and_b32_e32 v0, 0x7ffffff0, v0
	v_max_i32_e32 v0, s49, v0
	buffer_store_dword v0, off, s[0:3], s33 offset:240 ; 4-byte Folded Spill
	s_nop 0
	buffer_store_dword v1, off, s[0:3], s33 offset:244 ; 4-byte Folded Spill
	v_cmp_eq_u64_e32 vcc, 0, v[2:3]
	v_mov_b32_e32 v0, v28
	s_or_b64 s[74:75], s[6:7], vcc
	s_xor_b64 s[20:21], s[74:75], -1
	s_and_saveexec_b64 s[76:77], s[20:21]
	s_cbranch_execz .LBB6_4340
; %bb.50:                               ;   in Loop: Header=BB6_49 Depth=1
	s_and_saveexec_b64 s[20:21], s[4:5]
	s_cbranch_execz .LBB6_52
; %bb.51:                               ;   in Loop: Header=BB6_49 Depth=1
	s_trap 2
	ds_read_b64 v[0:1], v0
	buffer_load_dword v2, off, s[0:3], s33 offset:304 ; 4-byte Folded Reload
	buffer_load_dword v3, off, s[0:3], s33 offset:308 ; 4-byte Folded Reload
	s_waitcnt vmcnt(0) lgkmcnt(0)
	v_add_co_u32_e32 v0, vcc, v0, v2
	v_addc_co_u32_e32 v1, vcc, v1, v3, vcc
	v_add_co_u32_e32 v0, vcc, v0, v59
	v_addc_co_u32_e32 v1, vcc, v1, v60, vcc
	ds_write_b64 v0, v[0:1]
	v_mov_b32_e32 v0, v28
	v_mov_b32_e32 v1, v28
	ds_write_b64 v0, v[0:1]
.LBB6_52:                               ;   in Loop: Header=BB6_49 Depth=1
	s_or_b64 exec, exec, s[20:21]
	buffer_load_dword v0, off, s[0:3], s33 offset:272 ; 4-byte Folded Reload
	buffer_load_dword v1, off, s[0:3], s33 offset:276 ; 4-byte Folded Reload
	;; [unrolled: 1-line block ×4, first 2 shown]
	s_waitcnt vmcnt(0)
	v_min_u32_e32 v1, v1, v0
	v_and_b32_e32 v0, 12, v49
	v_cmp_ne_u32_e32 vcc, 0, v0
	buffer_store_dword v1, off, s[0:3], s33 offset:240 ; 4-byte Folded Spill
	s_nop 0
	buffer_store_dword v2, off, s[0:3], s33 offset:244 ; 4-byte Folded Spill
	s_and_saveexec_b64 s[22:23], vcc
	s_cbranch_execz .LBB6_78
; %bb.53:                               ;   in Loop: Header=BB6_49 Depth=1
	buffer_load_dword v0, off, s[0:3], s33 offset:60 ; 4-byte Folded Reload
	buffer_load_dword v1, off, s[0:3], s33 offset:64 ; 4-byte Folded Reload
	v_and_b32_e32 v6, 8, v49
	s_waitcnt vmcnt(0)
	v_add_co_u32_e32 v2, vcc, v0, v6
	v_addc_co_u32_e32 v3, vcc, 0, v1, vcc
	s_waitcnt lgkmcnt(0)
	v_add_co_u32_e32 v0, vcc, 1, v54
	v_addc_co_u32_e32 v1, vcc, 0, v55, vcc
	v_cmp_lt_u64_e32 vcc, v[2:3], v[0:1]
	s_and_saveexec_b64 s[24:25], vcc
	s_cbranch_execz .LBB6_65
; %bb.54:                               ;   in Loop: Header=BB6_49 Depth=1
	v_and_b32_e32 v2, 64, v49
	s_mov_b32 s69, 0
	v_cmp_eq_u32_e32 vcc, 0, v2
	s_mov_b64 s[78:79], 0
                                        ; implicit-def: $sgpr88_sgpr89
                                        ; implicit-def: $sgpr90_sgpr91
                                        ; implicit-def: $sgpr92_sgpr93
	s_branch .LBB6_58
.LBB6_55:                               ;   in Loop: Header=BB6_58 Depth=2
	buffer_load_dword v3, off, s[0:3], s33 offset:60 ; 4-byte Folded Reload
	buffer_load_dword v4, off, s[0:3], s33 offset:64 ; 4-byte Folded Reload
	s_or_b64 s[34:35], s[34:35], exec
	s_waitcnt vmcnt(1)
	v_add_co_u32_e64 v3, s[20:21], v3, v6
	s_waitcnt vmcnt(0)
	v_addc_co_u32_e64 v4, s[20:21], 0, v4, s[20:21]
	v_cmp_ge_u64_e64 s[20:21], v[3:4], v[0:1]
	s_orn2_b64 s[30:31], s[20:21], exec
.LBB6_56:                               ;   in Loop: Header=BB6_58 Depth=2
	s_or_b64 exec, exec, s[38:39]
	s_andn2_b64 s[20:21], s[92:93], exec
	s_and_b64 s[92:93], s[34:35], exec
	s_or_b64 s[92:93], s[20:21], s[92:93]
	s_andn2_b64 s[20:21], s[90:91], exec
	s_and_b64 s[90:91], s[30:31], exec
	s_or_b64 s[90:91], s[20:21], s[90:91]
.LBB6_57:                               ;   in Loop: Header=BB6_58 Depth=2
	s_or_b64 exec, exec, s[94:95]
	s_and_b64 s[20:21], exec, s[90:91]
	s_or_b64 s[78:79], s[20:21], s[78:79]
	s_andn2_b64 s[20:21], s[88:89], exec
	s_and_b64 s[88:89], s[92:93], exec
	s_or_b64 s[88:89], s[20:21], s[88:89]
	s_andn2_b64 exec, exec, s[78:79]
	s_cbranch_execz .LBB6_62
.LBB6_58:                               ;   Parent Loop BB6_49 Depth=1
                                        ; =>  This Inner Loop Header: Depth=2
	s_sleep 1
	flat_load_dwordx2 v[2:3], v[57:58] glc
	s_or_b64 s[92:93], s[92:93], exec
	s_or_b64 s[90:91], s[90:91], exec
	s_waitcnt vmcnt(0) lgkmcnt(0)
	buffer_store_dword v2, off, s[0:3], s33 offset:60 ; 4-byte Folded Spill
	s_nop 0
	buffer_store_dword v3, off, s[0:3], s33 offset:64 ; 4-byte Folded Spill
                                        ; implicit-def: $vgpr2
	s_and_saveexec_b64 s[94:95], vcc
	s_cbranch_execz .LBB6_57
; %bb.59:                               ;   in Loop: Header=BB6_58 Depth=2
	s_cmpk_lt_i32 s69, 0x270f
	s_cselect_b64 s[36:37], -1, 0
	s_cmpk_gt_i32 s69, 0x270e
	s_mov_b64 s[30:31], -1
	s_cbranch_scc0 .LBB6_61
; %bb.60:                               ;   in Loop: Header=BB6_58 Depth=2
	s_trap 2
	ds_read_b64 v[2:3], v0
	s_andn2_b64 s[36:37], s[36:37], exec
	s_mov_b32 s69, 0
	s_mov_b64 s[34:35], 0
	s_waitcnt vmcnt(0) lgkmcnt(0)
	flat_load_dword v2, v[2:3] glc
	s_waitcnt vmcnt(0) lgkmcnt(0)
	buffer_wbinvl1_vol
	v_cmp_eq_u32_e64 s[20:21], 0, v2
	s_and_b64 s[20:21], s[20:21], exec
	s_or_b64 s[36:37], s[36:37], s[20:21]
	s_and_saveexec_b64 s[38:39], s[36:37]
	s_cbranch_execz .LBB6_56
	s_branch .LBB6_55
.LBB6_61:                               ;   in Loop: Header=BB6_58 Depth=2
	s_add_i32 s69, s69, 1
	s_mov_b64 s[34:35], -1
                                        ; implicit-def: $vgpr2
	s_and_saveexec_b64 s[38:39], s[36:37]
	s_cbranch_execz .LBB6_56
	s_branch .LBB6_55
.LBB6_62:                               ;   in Loop: Header=BB6_49 Depth=1
	s_or_b64 exec, exec, s[78:79]
	s_xor_b64 s[20:21], s[88:89], -1
	s_and_saveexec_b64 s[78:79], s[20:21]
	s_xor_b64 s[20:21], exec, s[78:79]
	s_cbranch_execz .LBB6_64
; %bb.63:                               ;   in Loop: Header=BB6_49 Depth=1
	v_or_b32_e32 v49, 64, v49
	ds_write_b32 v0, v2
	s_trap 2
.LBB6_64:                               ;   in Loop: Header=BB6_49 Depth=1
	s_or_b64 exec, exec, s[20:21]
.LBB6_65:                               ;   in Loop: Header=BB6_49 Depth=1
	s_or_b64 exec, exec, s[24:25]
	v_and_b32_e32 v2, 0x108, v49
	v_cmp_ne_u32_e32 vcc, s51, v2
	v_and_b32_e32 v7, 7, v54
	;;#ASMSTART
	s_wakeup
	;;#ASMEND
	s_and_saveexec_b64 s[20:21], vcc
	s_xor_b64 s[20:21], exec, s[20:21]
                                        ; implicit-def: $vgpr8
; %bb.66:                               ;   in Loop: Header=BB6_49 Depth=1
	v_mov_b32_e32 v8, v28
; %bb.67:                               ;   in Loop: Header=BB6_49 Depth=1
	s_andn2_saveexec_b64 s[20:21], s[20:21]
	s_cbranch_execz .LBB6_69
; %bb.68:                               ;   in Loop: Header=BB6_49 Depth=1
	buffer_load_dword v4, off, s[0:3], s33 offset:240 ; 4-byte Folded Reload
	buffer_load_dword v5, off, s[0:3], s33 offset:244 ; 4-byte Folded Reload
	v_mad_u64_u32 v[2:3], s[24:25], v7, 24, v[52:53]
	v_mov_b32_e32 v8, v28
	s_waitcnt vmcnt(0)
	v_mov_b32_e32 v5, v28
	v_mov_b32_e32 v9, v4
	buffer_store_dword v9, off, s[0:3], s33 offset:240 ; 4-byte Folded Spill
	s_nop 0
	buffer_store_dword v10, off, s[0:3], s33 offset:244 ; 4-byte Folded Spill
	flat_store_dwordx2 v[2:3], v[4:5] offset:8
.LBB6_69:                               ;   in Loop: Header=BB6_49 Depth=1
	s_or_b64 exec, exec, s[20:21]
	v_and_b32_e32 v2, 0x100, v49
	v_cmp_ne_u32_e32 vcc, 0, v2
	s_mov_b64 s[20:21], -1
                                        ; implicit-def: $vgpr2_vgpr3
	s_and_saveexec_b64 s[24:25], vcc
	s_cbranch_execz .LBB6_73
; %bb.70:                               ;   in Loop: Header=BB6_49 Depth=1
	v_mad_u64_u32 v[4:5], s[20:21], v7, 24, v[52:53]
	v_mov_b32_e32 v2, v5
	v_mad_u64_u32 v[2:3], s[20:21], v8, 24, v[2:3]
	v_mov_b32_e32 v5, v2
	flat_load_dword v2, v[4:5]
	s_waitcnt vmcnt(0) lgkmcnt(0)
	v_cmp_ne_u32_e32 vcc, 1, v2
	v_cmp_eq_u32_e64 s[20:21], 1, v2
                                        ; implicit-def: $vgpr2_vgpr3
	s_and_saveexec_b64 s[78:79], s[20:21]
	s_cbranch_execz .LBB6_72
; %bb.71:                               ;   in Loop: Header=BB6_49 Depth=1
	flat_load_dword v2, v[4:5] offset:4 glc
	s_waitcnt vmcnt(0) lgkmcnt(0)
	v_ashrrev_i32_e32 v3, 31, v2
.LBB6_72:                               ;   in Loop: Header=BB6_49 Depth=1
	s_or_b64 exec, exec, s[78:79]
	s_orn2_b64 s[20:21], vcc, exec
.LBB6_73:                               ;   in Loop: Header=BB6_49 Depth=1
	s_or_b64 exec, exec, s[24:25]
	s_and_saveexec_b64 s[24:25], s[20:21]
	s_cbranch_execz .LBB6_75
; %bb.74:                               ;   in Loop: Header=BB6_49 Depth=1
	buffer_load_dword v2, off, s[0:3], s33 offset:292 ; 4-byte Folded Reload
	v_mul_lo_u32 v5, v7, v42
	s_waitcnt vmcnt(0)
	v_mul_lo_u32 v4, v8, v2
	v_mad_u64_u32 v[2:3], s[20:21], v7, v2, 0
	v_add3_u32 v3, v3, v5, v4
.LBB6_75:                               ;   in Loop: Header=BB6_49 Depth=1
	s_or_b64 exec, exec, s[24:25]
	v_cmp_eq_u32_e32 vcc, 0, v6
	v_mov_b32_e32 v4, 0xc8
	v_mov_b32_e32 v5, 0x90
	v_cndmask_b32_e32 v4, v4, v5, vcc
	buffer_load_dword v5, off, s[0:3], s33 offset:264 ; 4-byte Folded Reload
	buffer_load_dword v6, off, s[0:3], s33 offset:268 ; 4-byte Folded Reload
	v_add_u32_e32 v4, v0, v4
	s_waitcnt vmcnt(0)
	v_add_co_u32_e32 v2, vcc, v5, v2
	v_addc_co_u32_e32 v3, vcc, v6, v3, vcc
	ds_write_b64 v4, v[2:3] offset:584
	v_and_b32_e32 v2, 0x2000, v49
	v_cmp_ne_u32_e32 vcc, 0, v2
	s_and_saveexec_b64 s[20:21], vcc
	s_cbranch_execz .LBB6_77
; %bb.76:                               ;   in Loop: Header=BB6_49 Depth=1
	ds_read_b64 v[2:3], v0 offset:872
	s_waitcnt lgkmcnt(0)
	v_add_co_u32_e32 v2, vcc, 1, v2
	v_addc_co_u32_e32 v3, vcc, 0, v3, vcc
	ds_write_b64 v0, v[2:3] offset:872
.LBB6_77:                               ;   in Loop: Header=BB6_49 Depth=1
	s_or_b64 exec, exec, s[20:21]
	v_mov_b32_e32 v55, v1
	v_mov_b32_e32 v54, v0
.LBB6_78:                               ;   in Loop: Header=BB6_49 Depth=1
	s_or_b64 exec, exec, s[22:23]
	s_and_saveexec_b64 s[20:21], s[10:11]
	s_cbranch_execz .LBB6_97
; %bb.79:                               ;   in Loop: Header=BB6_49 Depth=1
	s_and_saveexec_b64 s[22:23], s[44:45]
	s_xor_b64 s[22:23], exec, s[22:23]
	s_cbranch_execz .LBB6_94
; %bb.80:                               ;   in Loop: Header=BB6_49 Depth=1
	s_and_saveexec_b64 s[24:25], s[12:13]
	s_cbranch_execz .LBB6_93
; %bb.81:                               ;   in Loop: Header=BB6_49 Depth=1
	s_mov_b64 s[88:89], exec
	v_mbcnt_lo_u32_b32 v0, s88, 0
	v_mbcnt_hi_u32_b32 v0, s89, v0
	v_cmp_eq_u32_e32 vcc, 0, v0
	s_waitcnt vmcnt(0) lgkmcnt(0)
	buffer_wbinvl1_vol
	s_and_saveexec_b64 s[78:79], vcc
	s_cbranch_execz .LBB6_83
; %bb.82:                               ;   in Loop: Header=BB6_49 Depth=1
	s_bcnt1_i32_b64 s88, s[88:89]
	v_mov_b32_e32 v0, s88
	v_mov_b32_e32 v1, v28
	ds_add_u64 v0, v[0:1]
	s_trap 2
.LBB6_83:                               ;   in Loop: Header=BB6_49 Depth=1
	s_or_b64 exec, exec, s[78:79]
	s_trap 2
	ds_read_b64 v[0:1], v0
	s_waitcnt lgkmcnt(0)
	buffer_load_dword v2, off, s[0:3], s33 offset:68 ; 4-byte Folded Reload
	buffer_load_dword v3, off, s[0:3], s33 offset:72 ; 4-byte Folded Reload
	;; [unrolled: 1-line block ×3, first 2 shown]
	s_waitcnt vmcnt(0)
	v_add_co_u32_e32 v2, vcc, v2, v4
	v_addc_co_u32_e32 v3, vcc, 0, v3, vcc
	buffer_store_dword v2, off, s[0:3], s33 offset:68 ; 4-byte Folded Spill
	s_nop 0
	buffer_store_dword v3, off, s[0:3], s33 offset:72 ; 4-byte Folded Spill
	v_cmp_lt_u64_e32 vcc, v[0:1], v[2:3]
	s_and_saveexec_b64 s[78:79], vcc
	s_cbranch_execz .LBB6_92
; %bb.84:                               ;   in Loop: Header=BB6_49 Depth=1
	s_mov_b32 s34, 0
	s_mov_b64 s[88:89], 0
                                        ; implicit-def: $sgpr90_sgpr91
                                        ; implicit-def: $sgpr92_sgpr93
	s_branch .LBB6_86
.LBB6_85:                               ;   in Loop: Header=BB6_86 Depth=2
	s_or_b64 exec, exec, s[30:31]
	s_and_b64 s[94:95], exec, vcc
	s_or_b64 s[88:89], s[94:95], s[88:89]
	s_andn2_b64 s[90:91], s[90:91], exec
	s_and_b64 s[94:95], s[92:93], exec
	s_or_b64 s[90:91], s[90:91], s[94:95]
	s_andn2_b64 exec, exec, s[88:89]
	s_cbranch_execz .LBB6_90
.LBB6_86:                               ;   Parent Loop BB6_49 Depth=1
                                        ; =>  This Inner Loop Header: Depth=2
	s_add_i32 s34, s34, 1
	s_cmpk_lg_i32 s34, 0x2710
	s_cselect_b64 s[94:95], -1, 0
	s_and_b64 vcc, exec, s[94:95]
	s_cbranch_vccz .LBB6_88
; %bb.87:                               ;   in Loop: Header=BB6_86 Depth=2
	s_mov_b64 vcc, -1
	s_or_b64 s[92:93], s[92:93], exec
	s_and_saveexec_b64 s[30:31], s[94:95]
	s_cbranch_execz .LBB6_85
	s_branch .LBB6_89
.LBB6_88:                               ;   in Loop: Header=BB6_86 Depth=2
	s_trap 2
	ds_read_b64 v[0:1], v0
	s_andn2_b64 s[94:95], s[94:95], exec
	s_mov_b32 s34, 0
	s_waitcnt vmcnt(0) lgkmcnt(0)
	flat_load_dword v0, v[0:1] glc
	s_waitcnt vmcnt(0) lgkmcnt(0)
	buffer_wbinvl1_vol
	v_cmp_eq_u32_e32 vcc, 0, v0
	s_and_b64 vcc, vcc, exec
	s_or_b64 s[94:95], s[94:95], vcc
	s_mov_b64 vcc, -1
	s_or_b64 s[92:93], s[92:93], exec
	s_and_saveexec_b64 s[30:31], s[94:95]
	s_cbranch_execz .LBB6_85
.LBB6_89:                               ;   in Loop: Header=BB6_86 Depth=2
	s_sleep 1
	s_trap 2
	ds_read_b64 v[0:1], v0
	s_waitcnt lgkmcnt(0)
	buffer_load_dword v2, off, s[0:3], s33 offset:68 ; 4-byte Folded Reload
	buffer_load_dword v3, off, s[0:3], s33 offset:72 ; 4-byte Folded Reload
	s_andn2_b64 s[92:93], s[92:93], exec
	s_waitcnt vmcnt(0)
	v_cmp_ge_u64_e32 vcc, v[0:1], v[2:3]
	s_orn2_b64 vcc, vcc, exec
	s_branch .LBB6_85
.LBB6_90:                               ;   in Loop: Header=BB6_49 Depth=1
	s_or_b64 exec, exec, s[88:89]
	s_and_saveexec_b64 s[88:89], s[90:91]
	s_xor_b64 s[88:89], exec, s[88:89]
	s_cbranch_execz .LBB6_92
; %bb.91:                               ;   in Loop: Header=BB6_49 Depth=1
	ds_write_b32 v0, v13
	s_trap 2
.LBB6_92:                               ;   in Loop: Header=BB6_49 Depth=1
	s_or_b64 exec, exec, s[78:79]
	;;#ASMSTART
	s_wakeup
	;;#ASMEND
.LBB6_93:                               ;   in Loop: Header=BB6_49 Depth=1
	s_or_b64 exec, exec, s[24:25]
.LBB6_94:                               ;   in Loop: Header=BB6_49 Depth=1
	s_andn2_saveexec_b64 s[22:23], s[22:23]
	s_cbranch_execz .LBB6_96
; %bb.95:                               ;   in Loop: Header=BB6_49 Depth=1
	s_waitcnt vmcnt(0) lgkmcnt(0)
	buffer_wbinvl1_vol
	s_barrier
.LBB6_96:                               ;   in Loop: Header=BB6_49 Depth=1
	s_or_b64 exec, exec, s[22:23]
.LBB6_97:                               ;   in Loop: Header=BB6_49 Depth=1
	s_or_b64 exec, exec, s[20:21]
	s_trap 2
	ds_read_b32 v0, v0
	v_and_b32_e32 v1, 0x4000, v49
	v_cmp_ne_u32_e32 vcc, 0, v1
	s_and_b64 s[22:23], s[56:57], vcc
	s_and_saveexec_b64 s[20:21], s[22:23]
	s_cbranch_execz .LBB6_116
; %bb.98:                               ;   in Loop: Header=BB6_49 Depth=1
	s_and_saveexec_b64 s[22:23], s[44:45]
	s_xor_b64 s[22:23], exec, s[22:23]
	s_cbranch_execz .LBB6_113
; %bb.99:                               ;   in Loop: Header=BB6_49 Depth=1
	s_and_saveexec_b64 s[24:25], s[12:13]
	s_cbranch_execz .LBB6_112
; %bb.100:                              ;   in Loop: Header=BB6_49 Depth=1
	s_mov_b64 s[88:89], exec
	v_mbcnt_lo_u32_b32 v1, s88, 0
	v_mbcnt_hi_u32_b32 v1, s89, v1
	v_cmp_eq_u32_e32 vcc, 0, v1
	s_waitcnt vmcnt(0) lgkmcnt(0)
	buffer_wbinvl1_vol
	s_and_saveexec_b64 s[78:79], vcc
	s_cbranch_execz .LBB6_102
; %bb.101:                              ;   in Loop: Header=BB6_49 Depth=1
	s_bcnt1_i32_b64 s88, s[88:89]
	v_mov_b32_e32 v1, s88
	v_mov_b32_e32 v2, v28
	ds_add_u64 v0, v[1:2]
	s_trap 2
.LBB6_102:                              ;   in Loop: Header=BB6_49 Depth=1
	s_or_b64 exec, exec, s[78:79]
	s_trap 2
	ds_read_b64 v[1:2], v0
	s_waitcnt lgkmcnt(0)
	buffer_load_dword v3, off, s[0:3], s33 offset:68 ; 4-byte Folded Reload
	buffer_load_dword v4, off, s[0:3], s33 offset:72 ; 4-byte Folded Reload
	;; [unrolled: 1-line block ×3, first 2 shown]
	s_waitcnt vmcnt(0)
	v_add_co_u32_e32 v3, vcc, v3, v5
	v_addc_co_u32_e32 v4, vcc, 0, v4, vcc
	buffer_store_dword v3, off, s[0:3], s33 offset:68 ; 4-byte Folded Spill
	s_nop 0
	buffer_store_dword v4, off, s[0:3], s33 offset:72 ; 4-byte Folded Spill
	v_cmp_lt_u64_e32 vcc, v[1:2], v[3:4]
	s_and_saveexec_b64 s[78:79], vcc
	s_cbranch_execz .LBB6_111
; %bb.103:                              ;   in Loop: Header=BB6_49 Depth=1
	s_mov_b32 s34, 0
	s_mov_b64 s[88:89], 0
                                        ; implicit-def: $sgpr90_sgpr91
                                        ; implicit-def: $sgpr92_sgpr93
	s_branch .LBB6_105
.LBB6_104:                              ;   in Loop: Header=BB6_105 Depth=2
	s_or_b64 exec, exec, s[30:31]
	s_and_b64 s[94:95], exec, vcc
	s_or_b64 s[88:89], s[94:95], s[88:89]
	s_andn2_b64 s[90:91], s[90:91], exec
	s_and_b64 s[94:95], s[92:93], exec
	s_or_b64 s[90:91], s[90:91], s[94:95]
	s_andn2_b64 exec, exec, s[88:89]
	s_cbranch_execz .LBB6_109
.LBB6_105:                              ;   Parent Loop BB6_49 Depth=1
                                        ; =>  This Inner Loop Header: Depth=2
	s_add_i32 s34, s34, 1
	s_cmpk_lg_i32 s34, 0x2710
	s_cselect_b64 s[94:95], -1, 0
	s_and_b64 vcc, exec, s[94:95]
	s_cbranch_vccz .LBB6_107
; %bb.106:                              ;   in Loop: Header=BB6_105 Depth=2
	s_mov_b64 vcc, -1
	s_or_b64 s[92:93], s[92:93], exec
	s_and_saveexec_b64 s[30:31], s[94:95]
	s_cbranch_execz .LBB6_104
	s_branch .LBB6_108
.LBB6_107:                              ;   in Loop: Header=BB6_105 Depth=2
	s_trap 2
	ds_read_b64 v[1:2], v0
	s_andn2_b64 s[94:95], s[94:95], exec
	s_mov_b32 s34, 0
	s_waitcnt vmcnt(0) lgkmcnt(0)
	flat_load_dword v1, v[1:2] glc
	s_waitcnt vmcnt(0) lgkmcnt(0)
	buffer_wbinvl1_vol
	v_cmp_eq_u32_e32 vcc, 0, v1
	s_and_b64 vcc, vcc, exec
	s_or_b64 s[94:95], s[94:95], vcc
	s_mov_b64 vcc, -1
	s_or_b64 s[92:93], s[92:93], exec
	s_and_saveexec_b64 s[30:31], s[94:95]
	s_cbranch_execz .LBB6_104
.LBB6_108:                              ;   in Loop: Header=BB6_105 Depth=2
	s_sleep 1
	s_trap 2
	ds_read_b64 v[1:2], v0
	s_waitcnt lgkmcnt(0)
	buffer_load_dword v3, off, s[0:3], s33 offset:68 ; 4-byte Folded Reload
	buffer_load_dword v4, off, s[0:3], s33 offset:72 ; 4-byte Folded Reload
	s_andn2_b64 s[92:93], s[92:93], exec
	s_waitcnt vmcnt(0)
	v_cmp_ge_u64_e32 vcc, v[1:2], v[3:4]
	s_orn2_b64 vcc, vcc, exec
	s_branch .LBB6_104
.LBB6_109:                              ;   in Loop: Header=BB6_49 Depth=1
	s_or_b64 exec, exec, s[88:89]
	s_and_saveexec_b64 s[88:89], s[90:91]
	s_xor_b64 s[88:89], exec, s[88:89]
	s_cbranch_execz .LBB6_111
; %bb.110:                              ;   in Loop: Header=BB6_49 Depth=1
	ds_write_b32 v0, v13
	s_trap 2
.LBB6_111:                              ;   in Loop: Header=BB6_49 Depth=1
	s_or_b64 exec, exec, s[78:79]
	;;#ASMSTART
	s_wakeup
	;;#ASMEND
.LBB6_112:                              ;   in Loop: Header=BB6_49 Depth=1
	s_or_b64 exec, exec, s[24:25]
.LBB6_113:                              ;   in Loop: Header=BB6_49 Depth=1
	s_andn2_saveexec_b64 s[22:23], s[22:23]
	s_cbranch_execz .LBB6_115
; %bb.114:                              ;   in Loop: Header=BB6_49 Depth=1
	s_waitcnt vmcnt(0) lgkmcnt(0)
	buffer_wbinvl1_vol
	s_barrier
.LBB6_115:                              ;   in Loop: Header=BB6_49 Depth=1
	s_or_b64 exec, exec, s[22:23]
.LBB6_116:                              ;   in Loop: Header=BB6_49 Depth=1
	s_or_b64 exec, exec, s[20:21]
	s_trap 2
	s_waitcnt lgkmcnt(0)
	ds_read_b64 v[8:9], v0
	s_waitcnt lgkmcnt(0)
	v_cmp_eq_u64_e32 vcc, 0, v[8:9]
	s_cbranch_vccnz .LBB6_124
; %bb.117:                              ;   in Loop: Header=BB6_49 Depth=1
	s_trap 2
	ds_read_b64 v[6:7], v0
	s_waitcnt lgkmcnt(0)
	v_cmp_eq_u64_e32 vcc, 0, v[6:7]
	s_cbranch_vccnz .LBB6_124
; %bb.118:                              ;   in Loop: Header=BB6_49 Depth=1
	s_mov_b64 s[22:23], -1
	s_and_saveexec_b64 s[20:21], s[14:15]
	s_cbranch_execz .LBB6_120
; %bb.119:                              ;   in Loop: Header=BB6_49 Depth=1
	ds_read_b32 v1, v0 offset:720
	s_waitcnt lgkmcnt(0)
	v_and_b32_e32 v1, 15, v1
	v_cmp_eq_u32_e32 vcc, 0, v1
	s_orn2_b64 s[22:23], vcc, exec
.LBB6_120:                              ;   in Loop: Header=BB6_49 Depth=1
	s_or_b64 exec, exec, s[20:21]
	s_and_saveexec_b64 s[20:21], s[16:17]
	s_cbranch_execz .LBB6_122
; %bb.121:                              ;   in Loop: Header=BB6_49 Depth=1
	ds_read_b32 v1, v0 offset:784
	s_waitcnt lgkmcnt(0)
	v_and_b32_e32 v1, 15, v1
	v_cmp_eq_u32_e32 vcc, 0, v1
	s_and_b64 s[24:25], s[22:23], vcc
	s_andn2_b64 s[22:23], s[22:23], exec
	s_and_b64 s[24:25], s[24:25], exec
	s_or_b64 s[22:23], s[22:23], s[24:25]
.LBB6_122:                              ;   in Loop: Header=BB6_49 Depth=1
	s_or_b64 exec, exec, s[20:21]
	v_cmp_eq_u32_e32 vcc, 0, v0
	buffer_load_dword v0, off, s[0:3], s33 offset:240 ; 4-byte Folded Reload
	buffer_load_dword v1, off, s[0:3], s33 offset:244 ; 4-byte Folded Reload
	s_xor_b64 s[22:23], s[22:23], -1
	s_mov_b64 s[20:21], -1
	v_mov_b32_e32 v3, 0
	v_mov_b32_e32 v2, v48
	s_waitcnt vmcnt(0)
	v_cndmask_b32_e32 v1, 0, v0, vcc
	v_cndmask_b32_e64 v0, 0, 1, s[22:23]
	v_cmp_ne_u32_e32 vcc, 0, v0
	v_mov_b32_e32 v4, v1
	v_mov_b32_e32 v0, v43
	buffer_store_dword v1, off, s[0:3], s33 offset:336 ; 4-byte Folded Spill
	s_cbranch_vccz .LBB6_125
; %bb.123:                              ;   in Loop: Header=BB6_49 Depth=1
	s_and_saveexec_b64 s[22:23], s[20:21]
	s_cbranch_execnz .LBB6_2986
	s_branch .LBB6_4314
.LBB6_124:                              ;   in Loop: Header=BB6_49 Depth=1
	s_mov_b64 s[20:21], 0
	s_and_saveexec_b64 s[22:23], s[10:11]
	s_cbranch_execnz .LBB6_4315
	s_branch .LBB6_4333
.LBB6_125:                              ;   in Loop: Header=BB6_49 Depth=1
	buffer_store_dword v8, off, s[0:3], s33 offset:388 ; 4-byte Folded Spill
	s_nop 0
	buffer_store_dword v9, off, s[0:3], s33 offset:392 ; 4-byte Folded Spill
	buffer_store_dword v6, off, s[0:3], s33 offset:380 ; 4-byte Folded Spill
	s_nop 0
	buffer_store_dword v7, off, s[0:3], s33 offset:384 ; 4-byte Folded Spill
	buffer_load_dword v0, off, s[0:3], s33 offset:336 ; 4-byte Folded Reload
	s_waitcnt vmcnt(0)
	v_lshrrev_b32_e32 v0, 12, v0
	v_sub_u32_e32 v9, v0, v43
	v_cmp_lt_i32_e32 vcc, 0, v9
	s_and_saveexec_b64 s[22:23], vcc
	s_cbranch_execz .LBB6_2433
; %bb.126:                              ;   in Loop: Header=BB6_49 Depth=1
	buffer_store_dword v59, off, s[0:3], s33 offset:396 ; 4-byte Folded Spill
	s_nop 0
	buffer_store_dword v60, off, s[0:3], s33 offset:400 ; 4-byte Folded Spill
	buffer_store_dword v52, off, s[0:3], s33 offset:320 ; 4-byte Folded Spill
	s_nop 0
	buffer_store_dword v53, off, s[0:3], s33 offset:324 ; 4-byte Folded Spill
	buffer_store_dword v54, off, s[0:3], s33 offset:328 ; 4-byte Folded Spill
	;; [unrolled: 1-line block ×4, first 2 shown]
	s_trap 2
	ds_read_b64 v[2:3], v0
	buffer_load_dword v4, off, s[0:3], s33 offset:444 ; 4-byte Folded Reload
	buffer_load_dword v0, off, s[0:3], s33 offset:388 ; 4-byte Folded Reload
	;; [unrolled: 1-line block ×4, first 2 shown]
	s_mov_b64 s[24:25], 0
	s_waitcnt vmcnt(2)
	v_add_co_u32_e32 v0, vcc, v0, v4
	s_waitcnt vmcnt(0)
	v_addc_co_u32_e32 v1, vcc, v1, v5, vcc
	s_waitcnt lgkmcnt(0)
	v_add_co_u32_e32 v52, vcc, v2, v4
	v_addc_co_u32_e32 v53, vcc, v3, v5, vcc
	buffer_load_dword v2, off, s[0:3], s33 offset:380 ; 4-byte Folded Reload
	buffer_load_dword v3, off, s[0:3], s33 offset:384 ; 4-byte Folded Reload
	s_waitcnt vmcnt(1)
	v_add_co_u32_e32 v58, vcc, v2, v4
	s_waitcnt vmcnt(0)
	v_addc_co_u32_e32 v59, vcc, v3, v5, vcc
	s_branch .LBB6_129
.LBB6_127:                              ;   in Loop: Header=BB6_129 Depth=2
	s_or_b64 exec, exec, s[78:79]
.LBB6_128:                              ;   in Loop: Header=BB6_129 Depth=2
	s_or_b64 exec, exec, s[20:21]
	v_lshl_or_b32 v3, v30, 8, v29
	v_lshl_or_b32 v4, v34, 8, v7
	v_lshlrev_b32_e32 v7, 16, v31
	v_lshlrev_b32_e32 v12, 24, v18
	;; [unrolled: 1-line block ×4, first 2 shown]
	v_or3_b32 v17, v3, v7, v12
	v_or3_b32 v16, v4, v13, v16
	v_lshl_or_b32 v3, v22, 8, v19
	v_lshlrev_b32_e32 v4, 16, v23
	v_lshlrev_b32_e32 v7, 24, v54
	v_or3_b32 v18, v3, v4, v7
	v_lshl_or_b32 v3, v40, 8, v55
	v_lshlrev_b32_e32 v4, 24, v20
	v_lshlrev_b32_e32 v7, 16, v36
	v_or3_b32 v19, v3, v7, v4
	buffer_load_dword v3, off, s[0:3], s33 offset:228 ; 4-byte Folded Reload
	buffer_load_dword v4, off, s[0:3], s33 offset:256 ; 4-byte Folded Reload
	v_lshlrev_b32_e32 v7, 24, v47
	v_lshlrev_b32_e32 v10, 24, v10
	;; [unrolled: 1-line block ×3, first 2 shown]
	s_waitcnt vmcnt(0)
	v_lshl_or_b32 v3, v4, 8, v3
	buffer_load_dword v4, off, s[0:3], s33 offset:260 ; 4-byte Folded Reload
	buffer_load_dword v12, off, s[0:3], s33 offset:196 ; 4-byte Folded Reload
	;; [unrolled: 1-line block ×3, first 2 shown]
	s_waitcnt vmcnt(2)
	v_lshlrev_b32_e32 v4, 16, v4
	v_or3_b32 v30, v3, v4, v7
	buffer_load_dword v3, off, s[0:3], s33 offset:212 ; 4-byte Folded Reload
	buffer_load_dword v4, off, s[0:3], s33 offset:220 ; 4-byte Folded Reload
	s_waitcnt vmcnt(2)
	v_lshl_or_b32 v12, v13, 8, v12
	v_lshlrev_b32_e32 v7, 24, v60
	s_waitcnt vmcnt(1)
	v_lshlrev_b32_e32 v3, 16, v3
	s_waitcnt vmcnt(0)
	v_lshlrev_b32_e32 v4, 24, v4
	v_or3_b32 v29, v12, v3, v4
	v_lshl_or_b32 v3, v56, 8, v8
	v_lshlrev_b32_e32 v4, 16, v57
	v_or3_b32 v31, v3, v4, v7
	v_lshlrev_b32_e32 v3, 24, v5
	v_lshlrev_b32_e32 v4, 16, v6
	v_lshl_or_b32 v5, v62, 8, v61
	v_or3_b32 v32, v5, v4, v3
	buffer_load_dword v3, off, s[0:3], s33 offset:100 ; 4-byte Folded Reload
	buffer_load_dword v4, off, s[0:3], s33 offset:108 ; 4-byte Folded Reload
	;; [unrolled: 1-line block ×4, first 2 shown]
	s_waitcnt vmcnt(2)
	v_lshl_or_b32 v3, v4, 8, v3
	buffer_load_dword v4, off, s[0:3], s33 offset:116 ; 4-byte Folded Reload
	s_waitcnt vmcnt(2)
	v_lshlrev_b32_e32 v5, 24, v5
	s_waitcnt vmcnt(1)
	v_lshlrev_b32_e32 v6, 24, v6
	;; [unrolled: 2-line block ×3, first 2 shown]
	v_or3_b32 v4, v3, v4, v5
	buffer_load_dword v3, off, s[0:3], s33 offset:76 ; 4-byte Folded Reload
	buffer_load_dword v5, off, s[0:3], s33 offset:84 ; 4-byte Folded Reload
	s_waitcnt vmcnt(1)
	v_lshl_or_b32 v3, v3, 8, v46
	s_waitcnt vmcnt(0)
	v_lshlrev_b32_e32 v5, 16, v5
	v_or3_b32 v3, v3, v5, v6
	buffer_load_dword v5, off, s[0:3], s33 offset:132 ; 4-byte Folded Reload
	buffer_load_dword v6, off, s[0:3], s33 offset:140 ; 4-byte Folded Reload
	;; [unrolled: 1-line block ×3, first 2 shown]
	s_waitcnt vmcnt(1)
	v_lshl_or_b32 v5, v6, 8, v5
	buffer_load_dword v6, off, s[0:3], s33 offset:148 ; 4-byte Folded Reload
	s_waitcnt vmcnt(1)
	v_lshlrev_b32_e32 v7, 24, v7
	s_waitcnt vmcnt(0)
	v_lshlrev_b32_e32 v6, 16, v6
	v_or3_b32 v5, v5, v6, v7
	buffer_load_dword v6, off, s[0:3], s33 offset:188 ; 4-byte Folded Reload
	buffer_load_dword v7, off, s[0:3], s33 offset:180 ; 4-byte Folded Reload
	;; [unrolled: 1-line block ×4, first 2 shown]
	s_waitcnt vmcnt(3)
	v_lshlrev_b32_e32 v6, 24, v6
	s_waitcnt vmcnt(2)
	v_lshlrev_b32_e32 v7, 16, v7
	s_waitcnt vmcnt(0)
	v_lshl_or_b32 v8, v12, 8, v8
	v_or3_b32 v6, v8, v7, v6
	v_lshl_or_b32 v7, v49, 8, v48
	v_lshlrev_b32_e32 v8, 16, v41
	v_or3_b32 v13, v7, v8, v10
	v_lshl_or_b32 v7, v24, 8, v21
	v_lshlrev_b32_e32 v8, 16, v25
	v_lshlrev_b32_e32 v10, 24, v37
	v_or3_b32 v12, v7, v8, v10
	v_lshl_or_b32 v7, v14, 8, v11
	v_lshlrev_b32_e32 v8, 16, v15
	v_lshlrev_b32_e32 v10, 24, v42
	v_or3_b32 v14, v7, v8, v10
	v_lshlrev_b32_e32 v7, 16, v38
	v_lshl_or_b32 v8, v44, 8, v43
	v_or3_b32 v15, v8, v7, v2
	global_store_dwordx4 v[58:59], v[3:6], off glc slc
	global_store_dwordx4 v[58:59], v[29:32], off offset:1024 glc slc
	global_store_dwordx4 v[58:59], v[16:19], off offset:2048 glc slc
	;; [unrolled: 1-line block ×3, first 2 shown]
	buffer_load_dword v3, off, s[0:3], s33 offset:284 ; 4-byte Folded Reload
	s_nop 0
	buffer_load_dword v2, off, s[0:3], s33 offset:236 ; 4-byte Folded Reload
	s_waitcnt vmcnt(1)
	v_add_co_u32_e32 v0, vcc, v0, v3
	v_addc_co_u32_e32 v1, vcc, 0, v1, vcc
	v_add_co_u32_e32 v52, vcc, v52, v3
	v_addc_co_u32_e32 v53, vcc, 0, v53, vcc
	s_waitcnt vmcnt(0)
	v_sub_u32_e32 v9, v9, v2
	v_cmp_gt_i32_e32 vcc, 1, v9
	s_or_b64 s[24:25], vcc, s[24:25]
	v_add_co_u32_e32 v58, vcc, v58, v3
	v_addc_co_u32_e32 v59, vcc, 0, v59, vcc
	s_andn2_b64 exec, exec, s[24:25]
	s_cbranch_execz .LBB6_2432
.LBB6_129:                              ;   Parent Loop BB6_49 Depth=1
                                        ; =>  This Inner Loop Header: Depth=2
	global_load_dwordx4 v[48:51], v[0:1], off glc slc
	global_load_dwordx4 v[32:35], v[0:1], off offset:1024 glc slc
	global_load_dwordx4 v[22:25], v[0:1], off offset:2048 glc slc
	;; [unrolled: 1-line block ×3, first 2 shown]
	global_load_dwordx4 v[36:39], v[52:53], off glc slc
	global_load_dwordx4 v[2:5], v[52:53], off offset:1024 glc slc
	global_load_dwordx4 v[18:21], v[52:53], off offset:2048 glc slc
	;; [unrolled: 1-line block ×3, first 2 shown]
	v_mov_b32_e32 v6, 0
	v_mov_b32_e32 v7, 0
	s_waitcnt vmcnt(7)
	v_cmp_ne_u16_sdwa s[78:79], v48, v28 src0_sel:BYTE_0 src1_sel:DWORD
	s_and_saveexec_b64 s[20:21], s[78:79]
	s_cbranch_execz .LBB6_137
; %bb.130:                              ;   in Loop: Header=BB6_129 Depth=2
	v_cmp_ne_u16_sdwa s[88:89], sext(v48), s52 src0_sel:BYTE_0 src1_sel:DWORD
	v_bfrev_b32_e32 v7, 1
	s_and_saveexec_b64 s[78:79], s[88:89]
	s_cbranch_execz .LBB6_136
; %bb.131:                              ;   in Loop: Header=BB6_129 Depth=2
	v_and_b32_e32 v7, 0x7c, v48
	v_and_b32_e32 v8, 3, v48
	v_cmp_ne_u32_e32 vcc, s53, v7
                                        ; implicit-def: $vgpr7
	s_and_saveexec_b64 s[88:89], vcc
	s_xor_b64 s[88:89], exec, s[88:89]
	s_cbranch_execz .LBB6_133
; %bb.132:                              ;   in Loop: Header=BB6_129 Depth=2
	v_ffbh_u32_e32 v26, v8
	v_min_u32_e32 v29, 32, v26
	v_subrev_u32_e32 v26, 29, v29
	v_lshlrev_b64 v[26:27], v26, v[48:49]
	v_bfe_u32 v7, v48, 2, 5
	v_and_b32_e32 v26, 3, v26
	v_cmp_eq_u32_e32 vcc, 0, v7
	v_sub_u32_e32 v27, 30, v29
	v_cndmask_b32_e32 v8, v8, v26, vcc
	v_lshlrev_b32_e32 v26, 24, v48
	v_cndmask_b32_e32 v7, v7, v27, vcc
	v_and_b32_e32 v26, 0x80000000, v26
	v_lshl_add_u32 v7, v7, 23, v26
	v_lshl_or_b32 v7, v8, 21, v7
	v_add_u32_e32 v7, 0x38000000, v7
                                        ; implicit-def: $vgpr8
.LBB6_133:                              ;   in Loop: Header=BB6_129 Depth=2
	s_andn2_saveexec_b64 s[88:89], s[88:89]
; %bb.134:                              ;   in Loop: Header=BB6_129 Depth=2
	v_mov_b32_e32 v7, -1
	v_cmp_gt_i16_sdwa vcc, sext(v48), v7 src0_sel:BYTE_0 src1_sel:DWORD
	v_mov_b32_e32 v7, 0xff800000
	v_mov_b32_e32 v26, 0x7f800000
	v_cndmask_b32_e32 v7, v7, v26, vcc
	v_cmp_eq_u32_e32 vcc, 0, v8
	v_mov_b32_e32 v8, 0x7f800001
	v_cndmask_b32_e32 v7, v8, v7, vcc
; %bb.135:                              ;   in Loop: Header=BB6_129 Depth=2
	s_or_b64 exec, exec, s[88:89]
.LBB6_136:                              ;   in Loop: Header=BB6_129 Depth=2
	s_or_b64 exec, exec, s[78:79]
.LBB6_137:                              ;   in Loop: Header=BB6_129 Depth=2
	s_or_b64 exec, exec, s[20:21]
	s_waitcnt vmcnt(3)
	v_cmp_ne_u16_sdwa s[78:79], v36, v28 src0_sel:BYTE_0 src1_sel:DWORD
	s_and_saveexec_b64 s[20:21], s[78:79]
	s_cbranch_execz .LBB6_145
; %bb.138:                              ;   in Loop: Header=BB6_129 Depth=2
	v_cmp_ne_u16_sdwa s[88:89], sext(v36), s52 src0_sel:BYTE_0 src1_sel:DWORD
	v_bfrev_b32_e32 v6, 1
	s_and_saveexec_b64 s[78:79], s[88:89]
	s_cbranch_execz .LBB6_144
; %bb.139:                              ;   in Loop: Header=BB6_129 Depth=2
	v_and_b32_e32 v6, 0x7c, v36
	v_and_b32_e32 v8, 3, v36
	v_cmp_ne_u32_e32 vcc, s53, v6
                                        ; implicit-def: $vgpr6
	s_and_saveexec_b64 s[88:89], vcc
	s_xor_b64 s[88:89], exec, s[88:89]
	s_cbranch_execz .LBB6_141
; %bb.140:                              ;   in Loop: Header=BB6_129 Depth=2
	v_ffbh_u32_e32 v26, v8
	v_min_u32_e32 v29, 32, v26
	v_subrev_u32_e32 v26, 29, v29
	v_lshlrev_b64 v[26:27], v26, v[36:37]
	v_bfe_u32 v6, v36, 2, 5
	v_and_b32_e32 v26, 3, v26
	v_cmp_eq_u32_e32 vcc, 0, v6
	v_sub_u32_e32 v27, 30, v29
	v_cndmask_b32_e32 v8, v8, v26, vcc
	v_lshlrev_b32_e32 v26, 24, v36
	v_cndmask_b32_e32 v6, v6, v27, vcc
	v_and_b32_e32 v26, 0x80000000, v26
	v_lshl_add_u32 v6, v6, 23, v26
	v_lshl_or_b32 v6, v8, 21, v6
	v_add_u32_e32 v6, 0x38000000, v6
                                        ; implicit-def: $vgpr8
.LBB6_141:                              ;   in Loop: Header=BB6_129 Depth=2
	s_andn2_saveexec_b64 s[88:89], s[88:89]
; %bb.142:                              ;   in Loop: Header=BB6_129 Depth=2
	v_mov_b32_e32 v6, -1
	v_cmp_gt_i16_sdwa vcc, sext(v36), v6 src0_sel:BYTE_0 src1_sel:DWORD
	v_mov_b32_e32 v6, 0xff800000
	v_mov_b32_e32 v26, 0x7f800000
	v_cndmask_b32_e32 v6, v6, v26, vcc
	v_cmp_eq_u32_e32 vcc, 0, v8
	v_mov_b32_e32 v8, 0x7f800001
	v_cndmask_b32_e32 v6, v8, v6, vcc
; %bb.143:                              ;   in Loop: Header=BB6_129 Depth=2
	s_or_b64 exec, exec, s[88:89]
.LBB6_144:                              ;   in Loop: Header=BB6_129 Depth=2
	s_or_b64 exec, exec, s[78:79]
.LBB6_145:                              ;   in Loop: Header=BB6_129 Depth=2
	s_or_b64 exec, exec, s[20:21]
	v_mul_f32_e32 v6, v7, v6
	v_and_b32_e32 v7, 0x7f800000, v6
	v_mov_b32_e32 v8, v28
	v_cmp_ne_u64_e32 vcc, s[60:61], v[7:8]
	v_and_b32_e32 v27, 0x7fffff, v6
                                        ; implicit-def: $vgpr46
	s_and_saveexec_b64 s[20:21], vcc
	s_xor_b64 s[78:79], exec, s[20:21]
	s_cbranch_execz .LBB6_159
; %bb.146:                              ;   in Loop: Header=BB6_129 Depth=2
	v_and_b32_e32 v7, 0x7fffffff, v6
	v_mov_b32_e32 v8, v28
	v_cmp_gt_u64_e32 vcc, s[62:63], v[7:8]
	v_and_b32_sdwa v26, v6, s55 dst_sel:DWORD dst_unused:UNUSED_PAD src0_sel:BYTE_3 src1_sel:DWORD
                                        ; implicit-def: $vgpr46
	s_and_saveexec_b64 s[20:21], vcc
	s_xor_b64 s[88:89], exec, s[20:21]
	s_cbranch_execz .LBB6_156
; %bb.147:                              ;   in Loop: Header=BB6_129 Depth=2
	v_mov_b32_e32 v46, 0
	v_cmp_ne_u32_e32 vcc, 0, v6
	s_and_saveexec_b64 s[90:91], vcc
	s_cbranch_execz .LBB6_155
; %bb.148:                              ;   in Loop: Header=BB6_129 Depth=2
	v_bfe_u32 v29, v6, 23, 8
	v_cmp_gt_u32_e64 s[20:21], s64, v29
	v_sub_u32_e32 v6, 0x71, v29
	v_cmp_eq_u32_e32 vcc, 0, v29
	v_cndmask_b32_e64 v6, 0, v6, s[20:21]
	v_mov_b32_e32 v8, 0x70
	v_cndmask_b32_e32 v30, v6, v8, vcc
	v_add_u32_e32 v8, 21, v30
	v_or_b32_e32 v7, 0x800000, v27
	v_lshlrev_b64 v[54:55], v8, -1
	v_cndmask_b32_e32 v6, v7, v27, vcc
	v_mov_b32_e32 v7, v28
	v_add_u32_e32 v8, 20, v30
	v_bfi_b32 v54, v54, 0, v6
	v_lshlrev_b64 v[40:41], v8, 1
	v_lshrrev_b64 v[6:7], v30, v[6:7]
	v_bfi_b32 v55, v55, 0, 0
	v_cmp_eq_u64_e64 s[20:21], v[54:55], v[40:41]
	v_mov_b32_e32 v8, v7
	v_mov_b32_e32 v7, v6
	s_and_saveexec_b64 s[92:93], s[20:21]
; %bb.149:                              ;   in Loop: Header=BB6_129 Depth=2
	v_bfe_u32 v7, v6, 21, 1
	v_add_co_u32_e64 v7, s[20:21], v6, v7
	v_add_co_u32_e64 v7, s[20:21], -1, v7
; %bb.150:                              ;   in Loop: Header=BB6_129 Depth=2
	s_or_b64 exec, exec, s[92:93]
	v_add_u32_e32 v8, 0xffffff81, v29
	v_mov_b32_e32 v27, 0xffffff82
	v_cndmask_b32_e32 v8, v8, v27, vcc
	v_lshrrev_b32_e32 v27, 23, v6
	v_add3_u32 v30, v30, v8, v27
	v_add_u32_e32 v29, 14, v30
	v_and_b32_e32 v7, 0x1fffff, v7
	v_add_u32_e32 v27, v7, v6
	v_cmp_ne_u32_e32 vcc, 0, v29
                                        ; implicit-def: $vgpr6_vgpr7
                                        ; implicit-def: $vgpr8
	s_and_saveexec_b64 s[20:21], vcc
	s_xor_b64 s[20:21], exec, s[20:21]
; %bb.151:                              ;   in Loop: Header=BB6_129 Depth=2
	v_cmp_lt_u64_e32 vcc, s[72:73], v[27:28]
	v_add_u32_e32 v6, 15, v30
	v_cndmask_b32_e32 v8, v29, v6, vcc
	v_cndmask_b32_e64 v6, 0, 1, vcc
	v_lshrrev_b64 v[6:7], v6, v[27:28]
; %bb.152:                              ;   in Loop: Header=BB6_129 Depth=2
	s_andn2_saveexec_b64 s[20:21], s[20:21]
; %bb.153:                              ;   in Loop: Header=BB6_129 Depth=2
	v_mov_b32_e32 v6, v27
	v_mov_b32_e32 v7, v28
	v_bfe_u32 v8, v27, 23, 1
; %bb.154:                              ;   in Loop: Header=BB6_129 Depth=2
	s_or_b64 exec, exec, s[20:21]
	v_lshrrev_b64 v[6:7], 21, v[6:7]
	v_cmp_gt_i32_e32 vcc, 32, v8
	v_cndmask_b32_e32 v7, 0, v7, vcc
	v_cndmask_b32_e32 v6, 3, v6, vcc
	v_cmp_eq_u64_e64 s[20:21], 0, v[6:7]
	v_min_i32_e32 v7, 31, v8
	v_lshlrev_b32_e32 v7, 2, v7
	v_cmp_eq_u32_e32 vcc, 0, v8
	v_and_b32_e32 v7, 0xfc, v7
	v_and_or_b32 v6, v6, 3, v7
	s_and_b64 s[20:21], vcc, s[20:21]
	v_cndmask_b32_e64 v6, v6, 0, s[20:21]
	v_or_b32_e32 v46, v6, v26
.LBB6_155:                              ;   in Loop: Header=BB6_129 Depth=2
	s_or_b64 exec, exec, s[90:91]
                                        ; implicit-def: $vgpr26
.LBB6_156:                              ;   in Loop: Header=BB6_129 Depth=2
	s_andn2_saveexec_b64 s[20:21], s[88:89]
; %bb.157:                              ;   in Loop: Header=BB6_129 Depth=2
	v_or_b32_e32 v46, 0x7b, v26
; %bb.158:                              ;   in Loop: Header=BB6_129 Depth=2
	s_or_b64 exec, exec, s[20:21]
                                        ; implicit-def: $vgpr6
.LBB6_159:                              ;   in Loop: Header=BB6_129 Depth=2
	s_andn2_saveexec_b64 s[20:21], s[78:79]
	s_cbranch_execz .LBB6_165
; %bb.160:                              ;   in Loop: Header=BB6_129 Depth=2
	v_cmp_ne_u64_e32 vcc, 0, v[27:28]
                                        ; implicit-def: $vgpr46
	s_and_saveexec_b64 s[78:79], vcc
	s_xor_b64 s[78:79], exec, s[78:79]
; %bb.161:                              ;   in Loop: Header=BB6_129 Depth=2
	v_or_b32_sdwa v46, v6, s65 dst_sel:DWORD dst_unused:UNUSED_PAD src0_sel:BYTE_3 src1_sel:DWORD
                                        ; implicit-def: $vgpr6
; %bb.162:                              ;   in Loop: Header=BB6_129 Depth=2
	s_andn2_saveexec_b64 s[78:79], s[78:79]
; %bb.163:                              ;   in Loop: Header=BB6_129 Depth=2
	v_cmp_lt_i32_e32 vcc, -1, v6
	v_bfrev_b32_e32 v6, 0.5
	v_mov_b32_e32 v7, 0x7c
	v_cndmask_b32_e32 v46, v6, v7, vcc
; %bb.164:                              ;   in Loop: Header=BB6_129 Depth=2
	s_or_b64 exec, exec, s[78:79]
.LBB6_165:                              ;   in Loop: Header=BB6_129 Depth=2
	s_or_b64 exec, exec, s[20:21]
	v_lshrrev_b16_e32 v6, 8, v48
	v_cmp_ne_u16_e32 vcc, 0, v6
	v_mov_b32_e32 v8, 0
	v_mov_b32_e32 v26, 0
	s_and_saveexec_b64 s[20:21], vcc
	s_cbranch_execz .LBB6_173
; %bb.166:                              ;   in Loop: Header=BB6_129 Depth=2
	v_cmp_ne_u16_e32 vcc, s55, v6
	v_bfrev_b32_e32 v26, 1
	s_and_saveexec_b64 s[78:79], vcc
	s_cbranch_execz .LBB6_172
; %bb.167:                              ;   in Loop: Header=BB6_129 Depth=2
	v_and_b32_e32 v7, 0x7c, v6
	v_and_b32_e32 v27, 3, v6
	v_cmp_ne_u32_e32 vcc, s53, v7
                                        ; implicit-def: $vgpr26
	s_and_saveexec_b64 s[88:89], vcc
	s_xor_b64 s[88:89], exec, s[88:89]
	s_cbranch_execz .LBB6_169
; %bb.168:                              ;   in Loop: Header=BB6_129 Depth=2
	v_ffbh_u32_e32 v29, v27
	v_min_u32_e32 v29, 32, v29
	v_mov_b32_e32 v7, v28
	v_subrev_u32_e32 v30, 29, v29
	v_bfe_u32 v26, v6, 2, 5
	v_lshlrev_b64 v[6:7], v30, v[6:7]
	v_sub_u32_e32 v7, 30, v29
	v_cmp_eq_u32_e32 vcc, 0, v26
	v_cndmask_b32_e32 v7, v26, v7, vcc
	v_lshlrev_b32_e32 v26, 16, v48
	v_and_b32_e32 v6, 3, v6
	v_and_b32_e32 v26, 0x80000000, v26
	v_cndmask_b32_e32 v6, v27, v6, vcc
	v_lshl_add_u32 v7, v7, 23, v26
	v_lshl_or_b32 v6, v6, 21, v7
	v_add_u32_e32 v26, 0x38000000, v6
                                        ; implicit-def: $vgpr27
.LBB6_169:                              ;   in Loop: Header=BB6_129 Depth=2
	s_andn2_saveexec_b64 s[88:89], s[88:89]
; %bb.170:                              ;   in Loop: Header=BB6_129 Depth=2
	v_cmp_lt_i16_e32 vcc, -1, v48
	v_mov_b32_e32 v6, 0xff800000
	v_mov_b32_e32 v7, 0x7f800000
	v_cndmask_b32_e32 v6, v6, v7, vcc
	v_cmp_eq_u32_e32 vcc, 0, v27
	v_mov_b32_e32 v7, 0x7f800001
	v_cndmask_b32_e32 v26, v7, v6, vcc
; %bb.171:                              ;   in Loop: Header=BB6_129 Depth=2
	s_or_b64 exec, exec, s[88:89]
.LBB6_172:                              ;   in Loop: Header=BB6_129 Depth=2
	s_or_b64 exec, exec, s[78:79]
.LBB6_173:                              ;   in Loop: Header=BB6_129 Depth=2
	s_or_b64 exec, exec, s[20:21]
	v_lshrrev_b16_e32 v6, 8, v36
	v_cmp_ne_u16_e32 vcc, 0, v6
	s_and_saveexec_b64 s[20:21], vcc
	s_cbranch_execz .LBB6_181
; %bb.174:                              ;   in Loop: Header=BB6_129 Depth=2
	v_cmp_ne_u16_e32 vcc, s55, v6
	v_bfrev_b32_e32 v8, 1
	s_and_saveexec_b64 s[78:79], vcc
	s_cbranch_execz .LBB6_180
; %bb.175:                              ;   in Loop: Header=BB6_129 Depth=2
	v_and_b32_e32 v7, 0x7c, v6
	v_and_b32_e32 v27, 3, v6
	v_cmp_ne_u32_e32 vcc, s53, v7
                                        ; implicit-def: $vgpr8
	s_and_saveexec_b64 s[88:89], vcc
	s_xor_b64 s[88:89], exec, s[88:89]
	s_cbranch_execz .LBB6_177
; %bb.176:                              ;   in Loop: Header=BB6_129 Depth=2
	v_ffbh_u32_e32 v29, v27
	v_min_u32_e32 v29, 32, v29
	v_mov_b32_e32 v7, v28
	v_subrev_u32_e32 v30, 29, v29
	v_bfe_u32 v8, v6, 2, 5
	v_lshlrev_b64 v[6:7], v30, v[6:7]
	v_sub_u32_e32 v7, 30, v29
	v_cmp_eq_u32_e32 vcc, 0, v8
	v_cndmask_b32_e32 v7, v8, v7, vcc
	v_lshlrev_b32_e32 v8, 16, v36
	v_and_b32_e32 v6, 3, v6
	v_and_b32_e32 v8, 0x80000000, v8
	v_cndmask_b32_e32 v6, v27, v6, vcc
	v_lshl_add_u32 v7, v7, 23, v8
	v_lshl_or_b32 v6, v6, 21, v7
	v_add_u32_e32 v8, 0x38000000, v6
                                        ; implicit-def: $vgpr27
.LBB6_177:                              ;   in Loop: Header=BB6_129 Depth=2
	s_andn2_saveexec_b64 s[88:89], s[88:89]
; %bb.178:                              ;   in Loop: Header=BB6_129 Depth=2
	v_cmp_lt_i16_e32 vcc, -1, v36
	v_mov_b32_e32 v6, 0xff800000
	v_mov_b32_e32 v7, 0x7f800000
	v_cndmask_b32_e32 v6, v6, v7, vcc
	v_cmp_eq_u32_e32 vcc, 0, v27
	v_mov_b32_e32 v7, 0x7f800001
	v_cndmask_b32_e32 v8, v7, v6, vcc
; %bb.179:                              ;   in Loop: Header=BB6_129 Depth=2
	s_or_b64 exec, exec, s[88:89]
.LBB6_180:                              ;   in Loop: Header=BB6_129 Depth=2
	s_or_b64 exec, exec, s[78:79]
.LBB6_181:                              ;   in Loop: Header=BB6_129 Depth=2
	s_or_b64 exec, exec, s[20:21]
	v_mul_f32_e32 v6, v26, v8
	v_and_b32_e32 v7, 0x7f800000, v6
	v_mov_b32_e32 v8, v28
	v_cmp_ne_u64_e32 vcc, s[60:61], v[7:8]
	v_and_b32_e32 v27, 0x7fffff, v6
                                        ; implicit-def: $vgpr7
                                        ; kill: killed $vgpr7
	s_and_saveexec_b64 s[20:21], vcc
	s_xor_b64 s[78:79], exec, s[20:21]
	s_cbranch_execz .LBB6_195
; %bb.182:                              ;   in Loop: Header=BB6_129 Depth=2
	v_and_b32_e32 v7, 0x7fffffff, v6
	v_mov_b32_e32 v8, v28
	v_cmp_gt_u64_e32 vcc, s[62:63], v[7:8]
	v_and_b32_sdwa v26, v6, s55 dst_sel:DWORD dst_unused:UNUSED_PAD src0_sel:BYTE_3 src1_sel:DWORD
                                        ; implicit-def: $vgpr7
                                        ; kill: killed $vgpr7
	s_and_saveexec_b64 s[20:21], vcc
	s_xor_b64 s[88:89], exec, s[20:21]
	s_cbranch_execz .LBB6_192
; %bb.183:                              ;   in Loop: Header=BB6_129 Depth=2
	v_mov_b32_e32 v7, 0
	v_cmp_ne_u32_e32 vcc, 0, v6
	buffer_store_dword v7, off, s[0:3], s33 offset:76 ; 4-byte Folded Spill
	s_and_saveexec_b64 s[90:91], vcc
	s_cbranch_execz .LBB6_191
; %bb.184:                              ;   in Loop: Header=BB6_129 Depth=2
	v_bfe_u32 v29, v6, 23, 8
	v_cmp_gt_u32_e64 s[20:21], s64, v29
	v_sub_u32_e32 v6, 0x71, v29
	v_cmp_eq_u32_e32 vcc, 0, v29
	v_cndmask_b32_e64 v6, 0, v6, s[20:21]
	v_mov_b32_e32 v8, 0x70
	v_cndmask_b32_e32 v30, v6, v8, vcc
	v_add_u32_e32 v8, 21, v30
	v_or_b32_e32 v7, 0x800000, v27
	v_lshlrev_b64 v[54:55], v8, -1
	v_cndmask_b32_e32 v6, v7, v27, vcc
	v_mov_b32_e32 v7, v28
	v_add_u32_e32 v8, 20, v30
	v_bfi_b32 v54, v54, 0, v6
	v_lshlrev_b64 v[40:41], v8, 1
	v_lshrrev_b64 v[6:7], v30, v[6:7]
	v_bfi_b32 v55, v55, 0, 0
	v_cmp_eq_u64_e64 s[20:21], v[54:55], v[40:41]
	v_mov_b32_e32 v8, v7
	v_mov_b32_e32 v7, v6
	s_and_saveexec_b64 s[92:93], s[20:21]
; %bb.185:                              ;   in Loop: Header=BB6_129 Depth=2
	v_bfe_u32 v7, v6, 21, 1
	v_add_co_u32_e64 v7, s[20:21], v6, v7
	v_add_co_u32_e64 v7, s[20:21], -1, v7
; %bb.186:                              ;   in Loop: Header=BB6_129 Depth=2
	s_or_b64 exec, exec, s[92:93]
	v_add_u32_e32 v8, 0xffffff81, v29
	v_mov_b32_e32 v27, 0xffffff82
	v_cndmask_b32_e32 v8, v8, v27, vcc
	v_lshrrev_b32_e32 v27, 23, v6
	v_add3_u32 v30, v30, v8, v27
	v_add_u32_e32 v29, 14, v30
	v_and_b32_e32 v7, 0x1fffff, v7
	v_add_u32_e32 v27, v7, v6
	v_cmp_ne_u32_e32 vcc, 0, v29
                                        ; implicit-def: $vgpr6_vgpr7
                                        ; implicit-def: $vgpr8
	s_and_saveexec_b64 s[20:21], vcc
	s_xor_b64 s[20:21], exec, s[20:21]
; %bb.187:                              ;   in Loop: Header=BB6_129 Depth=2
	v_cmp_lt_u64_e32 vcc, s[72:73], v[27:28]
	v_add_u32_e32 v6, 15, v30
	v_cndmask_b32_e32 v8, v29, v6, vcc
	v_cndmask_b32_e64 v6, 0, 1, vcc
	v_lshrrev_b64 v[6:7], v6, v[27:28]
; %bb.188:                              ;   in Loop: Header=BB6_129 Depth=2
	s_andn2_saveexec_b64 s[20:21], s[20:21]
; %bb.189:                              ;   in Loop: Header=BB6_129 Depth=2
	v_mov_b32_e32 v6, v27
	v_mov_b32_e32 v7, v28
	v_bfe_u32 v8, v27, 23, 1
; %bb.190:                              ;   in Loop: Header=BB6_129 Depth=2
	s_or_b64 exec, exec, s[20:21]
	v_lshrrev_b64 v[6:7], 21, v[6:7]
	v_cmp_gt_i32_e32 vcc, 32, v8
	v_cndmask_b32_e32 v7, 0, v7, vcc
	v_cndmask_b32_e32 v6, 3, v6, vcc
	v_cmp_eq_u64_e64 s[20:21], 0, v[6:7]
	v_min_i32_e32 v7, 31, v8
	v_lshlrev_b32_e32 v7, 2, v7
	v_cmp_eq_u32_e32 vcc, 0, v8
	v_and_b32_e32 v7, 0xfc, v7
	v_and_or_b32 v6, v6, 3, v7
	s_and_b64 s[20:21], vcc, s[20:21]
	v_cndmask_b32_e64 v6, v6, 0, s[20:21]
	v_or_b32_e32 v6, v6, v26
	buffer_store_dword v6, off, s[0:3], s33 offset:76 ; 4-byte Folded Spill
.LBB6_191:                              ;   in Loop: Header=BB6_129 Depth=2
	s_or_b64 exec, exec, s[90:91]
                                        ; implicit-def: $vgpr26
.LBB6_192:                              ;   in Loop: Header=BB6_129 Depth=2
	s_andn2_saveexec_b64 s[20:21], s[88:89]
	s_cbranch_execz .LBB6_194
; %bb.193:                              ;   in Loop: Header=BB6_129 Depth=2
	v_or_b32_e32 v6, 0x7b, v26
	buffer_store_dword v6, off, s[0:3], s33 offset:76 ; 4-byte Folded Spill
.LBB6_194:                              ;   in Loop: Header=BB6_129 Depth=2
	s_or_b64 exec, exec, s[20:21]
                                        ; implicit-def: $vgpr6
.LBB6_195:                              ;   in Loop: Header=BB6_129 Depth=2
	s_andn2_saveexec_b64 s[20:21], s[78:79]
	s_cbranch_execz .LBB6_201
; %bb.196:                              ;   in Loop: Header=BB6_129 Depth=2
	v_cmp_ne_u64_e32 vcc, 0, v[27:28]
                                        ; implicit-def: $vgpr7
                                        ; kill: killed $vgpr7
	s_and_saveexec_b64 s[78:79], vcc
	s_xor_b64 s[78:79], exec, s[78:79]
	s_cbranch_execz .LBB6_198
; %bb.197:                              ;   in Loop: Header=BB6_129 Depth=2
	v_or_b32_sdwa v6, v6, s65 dst_sel:DWORD dst_unused:UNUSED_PAD src0_sel:BYTE_3 src1_sel:DWORD
	buffer_store_dword v6, off, s[0:3], s33 offset:76 ; 4-byte Folded Spill
                                        ; implicit-def: $vgpr6
.LBB6_198:                              ;   in Loop: Header=BB6_129 Depth=2
	s_andn2_saveexec_b64 s[78:79], s[78:79]
	s_cbranch_execz .LBB6_200
; %bb.199:                              ;   in Loop: Header=BB6_129 Depth=2
	v_cmp_lt_i32_e32 vcc, -1, v6
	v_bfrev_b32_e32 v6, 0.5
	v_mov_b32_e32 v7, 0x7c
	v_cndmask_b32_e32 v6, v6, v7, vcc
	buffer_store_dword v6, off, s[0:3], s33 offset:76 ; 4-byte Folded Spill
.LBB6_200:                              ;   in Loop: Header=BB6_129 Depth=2
	s_or_b64 exec, exec, s[78:79]
.LBB6_201:                              ;   in Loop: Header=BB6_129 Depth=2
	s_or_b64 exec, exec, s[20:21]
	v_lshrrev_b32_e32 v6, 16, v48
	v_cmp_ne_u16_sdwa s[78:79], v6, v28 src0_sel:BYTE_0 src1_sel:DWORD
	v_mov_b32_e32 v7, 0
	v_mov_b32_e32 v8, 0
	s_and_saveexec_b64 s[20:21], s[78:79]
	s_cbranch_execz .LBB6_209
; %bb.202:                              ;   in Loop: Header=BB6_129 Depth=2
	v_cmp_ne_u16_sdwa s[88:89], v6, s55 src0_sel:BYTE_0 src1_sel:DWORD
	v_bfrev_b32_e32 v8, 1
	s_and_saveexec_b64 s[78:79], s[88:89]
	s_cbranch_execz .LBB6_208
; %bb.203:                              ;   in Loop: Header=BB6_129 Depth=2
	v_and_b32_e32 v8, 0x7c0000, v48
	v_bfe_u32 v26, v48, 16, 2
	v_cmp_ne_u32_e32 vcc, s66, v8
                                        ; implicit-def: $vgpr8
	s_and_saveexec_b64 s[88:89], vcc
	s_xor_b64 s[88:89], exec, s[88:89]
	s_cbranch_execz .LBB6_205
; %bb.204:                              ;   in Loop: Header=BB6_129 Depth=2
	v_ffbh_u32_e32 v27, v26
	v_min_u32_e32 v27, 32, v27
	v_subrev_u32_e32 v29, 29, v27
	v_lshlrev_b64 v[29:30], v29, v[6:7]
	v_bfe_u32 v8, v48, 18, 5
	v_sub_u32_e32 v6, 30, v27
	v_and_b32_e32 v27, 3, v29
	v_cmp_eq_u32_e32 vcc, 0, v8
	v_cndmask_b32_e32 v6, v8, v6, vcc
	v_cndmask_b32_e32 v8, v26, v27, vcc
	v_lshlrev_b32_e32 v26, 8, v48
	v_and_b32_e32 v26, 0x80000000, v26
	v_lshl_add_u32 v6, v6, 23, v26
	v_lshl_or_b32 v6, v8, 21, v6
	v_add_u32_e32 v8, 0x38000000, v6
                                        ; implicit-def: $vgpr26
                                        ; implicit-def: $vgpr6
.LBB6_205:                              ;   in Loop: Header=BB6_129 Depth=2
	s_andn2_saveexec_b64 s[88:89], s[88:89]
; %bb.206:                              ;   in Loop: Header=BB6_129 Depth=2
	v_mov_b32_e32 v8, -1
	v_cmp_gt_i16_sdwa vcc, sext(v6), v8 src0_sel:BYTE_0 src1_sel:DWORD
	v_mov_b32_e32 v6, 0xff800000
	v_mov_b32_e32 v8, 0x7f800000
	v_cndmask_b32_e32 v6, v6, v8, vcc
	v_cmp_eq_u32_e32 vcc, 0, v26
	v_mov_b32_e32 v8, 0x7f800001
	v_cndmask_b32_e32 v8, v8, v6, vcc
; %bb.207:                              ;   in Loop: Header=BB6_129 Depth=2
	s_or_b64 exec, exec, s[88:89]
.LBB6_208:                              ;   in Loop: Header=BB6_129 Depth=2
	s_or_b64 exec, exec, s[78:79]
.LBB6_209:                              ;   in Loop: Header=BB6_129 Depth=2
	s_or_b64 exec, exec, s[20:21]
	v_lshrrev_b32_e32 v6, 16, v36
	v_cmp_ne_u16_sdwa s[78:79], v6, v28 src0_sel:BYTE_0 src1_sel:DWORD
	s_and_saveexec_b64 s[20:21], s[78:79]
	s_cbranch_execz .LBB6_217
; %bb.210:                              ;   in Loop: Header=BB6_129 Depth=2
	v_cmp_ne_u16_sdwa s[88:89], v6, s55 src0_sel:BYTE_0 src1_sel:DWORD
	v_bfrev_b32_e32 v7, 1
	s_and_saveexec_b64 s[78:79], s[88:89]
	s_cbranch_execz .LBB6_216
; %bb.211:                              ;   in Loop: Header=BB6_129 Depth=2
	v_and_b32_e32 v7, 0x7c0000, v36
	v_bfe_u32 v26, v36, 16, 2
	v_cmp_ne_u32_e32 vcc, s66, v7
                                        ; implicit-def: $vgpr7
	s_and_saveexec_b64 s[88:89], vcc
	s_xor_b64 s[88:89], exec, s[88:89]
	s_cbranch_execz .LBB6_213
; %bb.212:                              ;   in Loop: Header=BB6_129 Depth=2
	v_ffbh_u32_e32 v7, v26
	v_min_u32_e32 v29, 32, v7
	v_subrev_u32_e32 v7, 29, v29
	v_lshlrev_b64 v[6:7], v7, v[6:7]
	v_bfe_u32 v27, v36, 18, 5
	v_and_b32_e32 v6, 3, v6
	v_cmp_eq_u32_e32 vcc, 0, v27
	v_sub_u32_e32 v7, 30, v29
	v_cndmask_b32_e32 v6, v26, v6, vcc
	v_lshlrev_b32_e32 v26, 8, v36
	v_cndmask_b32_e32 v7, v27, v7, vcc
	v_and_b32_e32 v26, 0x80000000, v26
	v_lshl_add_u32 v7, v7, 23, v26
	v_lshl_or_b32 v6, v6, 21, v7
	v_add_u32_e32 v7, 0x38000000, v6
                                        ; implicit-def: $vgpr26
                                        ; implicit-def: $vgpr6
.LBB6_213:                              ;   in Loop: Header=BB6_129 Depth=2
	s_andn2_saveexec_b64 s[88:89], s[88:89]
; %bb.214:                              ;   in Loop: Header=BB6_129 Depth=2
	v_mov_b32_e32 v7, -1
	v_cmp_gt_i16_sdwa vcc, sext(v6), v7 src0_sel:BYTE_0 src1_sel:DWORD
	v_mov_b32_e32 v6, 0xff800000
	v_mov_b32_e32 v7, 0x7f800000
	v_cndmask_b32_e32 v6, v6, v7, vcc
	v_cmp_eq_u32_e32 vcc, 0, v26
	v_mov_b32_e32 v7, 0x7f800001
	v_cndmask_b32_e32 v7, v7, v6, vcc
; %bb.215:                              ;   in Loop: Header=BB6_129 Depth=2
	s_or_b64 exec, exec, s[88:89]
.LBB6_216:                              ;   in Loop: Header=BB6_129 Depth=2
	s_or_b64 exec, exec, s[78:79]
.LBB6_217:                              ;   in Loop: Header=BB6_129 Depth=2
	s_or_b64 exec, exec, s[20:21]
	v_mul_f32_e32 v6, v8, v7
	v_and_b32_e32 v7, 0x7f800000, v6
	v_mov_b32_e32 v8, v28
	v_cmp_ne_u64_e32 vcc, s[60:61], v[7:8]
	v_and_b32_e32 v27, 0x7fffff, v6
                                        ; implicit-def: $vgpr7
                                        ; kill: killed $vgpr7
	s_and_saveexec_b64 s[20:21], vcc
	s_xor_b64 s[78:79], exec, s[20:21]
	s_cbranch_execz .LBB6_231
; %bb.218:                              ;   in Loop: Header=BB6_129 Depth=2
	v_and_b32_e32 v7, 0x7fffffff, v6
	v_mov_b32_e32 v8, v28
	v_cmp_gt_u64_e32 vcc, s[62:63], v[7:8]
	v_and_b32_sdwa v26, v6, s55 dst_sel:DWORD dst_unused:UNUSED_PAD src0_sel:BYTE_3 src1_sel:DWORD
                                        ; implicit-def: $vgpr7
                                        ; kill: killed $vgpr7
	s_and_saveexec_b64 s[20:21], vcc
	s_xor_b64 s[88:89], exec, s[20:21]
	s_cbranch_execz .LBB6_228
; %bb.219:                              ;   in Loop: Header=BB6_129 Depth=2
	v_mov_b32_e32 v7, 0
	v_cmp_ne_u32_e32 vcc, 0, v6
	buffer_store_dword v7, off, s[0:3], s33 offset:84 ; 4-byte Folded Spill
	s_and_saveexec_b64 s[90:91], vcc
	s_cbranch_execz .LBB6_227
; %bb.220:                              ;   in Loop: Header=BB6_129 Depth=2
	v_bfe_u32 v29, v6, 23, 8
	v_cmp_gt_u32_e64 s[20:21], s64, v29
	v_sub_u32_e32 v6, 0x71, v29
	v_cmp_eq_u32_e32 vcc, 0, v29
	v_cndmask_b32_e64 v6, 0, v6, s[20:21]
	v_mov_b32_e32 v8, 0x70
	v_cndmask_b32_e32 v30, v6, v8, vcc
	v_add_u32_e32 v8, 21, v30
	v_or_b32_e32 v7, 0x800000, v27
	v_lshlrev_b64 v[54:55], v8, -1
	v_cndmask_b32_e32 v6, v7, v27, vcc
	v_mov_b32_e32 v7, v28
	v_add_u32_e32 v8, 20, v30
	v_bfi_b32 v54, v54, 0, v6
	v_lshlrev_b64 v[40:41], v8, 1
	v_lshrrev_b64 v[6:7], v30, v[6:7]
	v_bfi_b32 v55, v55, 0, 0
	v_cmp_eq_u64_e64 s[20:21], v[54:55], v[40:41]
	v_mov_b32_e32 v8, v7
	v_mov_b32_e32 v7, v6
	s_and_saveexec_b64 s[92:93], s[20:21]
; %bb.221:                              ;   in Loop: Header=BB6_129 Depth=2
	v_bfe_u32 v7, v6, 21, 1
	v_add_co_u32_e64 v7, s[20:21], v6, v7
	v_add_co_u32_e64 v7, s[20:21], -1, v7
; %bb.222:                              ;   in Loop: Header=BB6_129 Depth=2
	s_or_b64 exec, exec, s[92:93]
	v_add_u32_e32 v8, 0xffffff81, v29
	v_mov_b32_e32 v27, 0xffffff82
	v_cndmask_b32_e32 v8, v8, v27, vcc
	v_lshrrev_b32_e32 v27, 23, v6
	v_add3_u32 v30, v30, v8, v27
	v_add_u32_e32 v29, 14, v30
	v_and_b32_e32 v7, 0x1fffff, v7
	v_add_u32_e32 v27, v7, v6
	v_cmp_ne_u32_e32 vcc, 0, v29
                                        ; implicit-def: $vgpr6_vgpr7
                                        ; implicit-def: $vgpr8
	s_and_saveexec_b64 s[20:21], vcc
	s_xor_b64 s[20:21], exec, s[20:21]
; %bb.223:                              ;   in Loop: Header=BB6_129 Depth=2
	v_cmp_lt_u64_e32 vcc, s[72:73], v[27:28]
	v_add_u32_e32 v6, 15, v30
	v_cndmask_b32_e32 v8, v29, v6, vcc
	v_cndmask_b32_e64 v6, 0, 1, vcc
	v_lshrrev_b64 v[6:7], v6, v[27:28]
; %bb.224:                              ;   in Loop: Header=BB6_129 Depth=2
	s_andn2_saveexec_b64 s[20:21], s[20:21]
; %bb.225:                              ;   in Loop: Header=BB6_129 Depth=2
	v_mov_b32_e32 v6, v27
	v_mov_b32_e32 v7, v28
	v_bfe_u32 v8, v27, 23, 1
; %bb.226:                              ;   in Loop: Header=BB6_129 Depth=2
	s_or_b64 exec, exec, s[20:21]
	v_lshrrev_b64 v[6:7], 21, v[6:7]
	v_cmp_gt_i32_e32 vcc, 32, v8
	v_cndmask_b32_e32 v7, 0, v7, vcc
	v_cndmask_b32_e32 v6, 3, v6, vcc
	v_cmp_eq_u64_e64 s[20:21], 0, v[6:7]
	v_min_i32_e32 v7, 31, v8
	v_lshlrev_b32_e32 v7, 2, v7
	v_cmp_eq_u32_e32 vcc, 0, v8
	v_and_b32_e32 v7, 0xfc, v7
	v_and_or_b32 v6, v6, 3, v7
	s_and_b64 s[20:21], vcc, s[20:21]
	v_cndmask_b32_e64 v6, v6, 0, s[20:21]
	v_or_b32_e32 v6, v6, v26
	buffer_store_dword v6, off, s[0:3], s33 offset:84 ; 4-byte Folded Spill
.LBB6_227:                              ;   in Loop: Header=BB6_129 Depth=2
	s_or_b64 exec, exec, s[90:91]
                                        ; implicit-def: $vgpr26
.LBB6_228:                              ;   in Loop: Header=BB6_129 Depth=2
	s_andn2_saveexec_b64 s[20:21], s[88:89]
	s_cbranch_execz .LBB6_230
; %bb.229:                              ;   in Loop: Header=BB6_129 Depth=2
	v_or_b32_e32 v6, 0x7b, v26
	buffer_store_dword v6, off, s[0:3], s33 offset:84 ; 4-byte Folded Spill
.LBB6_230:                              ;   in Loop: Header=BB6_129 Depth=2
	s_or_b64 exec, exec, s[20:21]
                                        ; implicit-def: $vgpr6
.LBB6_231:                              ;   in Loop: Header=BB6_129 Depth=2
	s_andn2_saveexec_b64 s[20:21], s[78:79]
	s_cbranch_execz .LBB6_237
; %bb.232:                              ;   in Loop: Header=BB6_129 Depth=2
	v_cmp_ne_u64_e32 vcc, 0, v[27:28]
                                        ; implicit-def: $vgpr7
                                        ; kill: killed $vgpr7
	s_and_saveexec_b64 s[78:79], vcc
	s_xor_b64 s[78:79], exec, s[78:79]
	s_cbranch_execz .LBB6_234
; %bb.233:                              ;   in Loop: Header=BB6_129 Depth=2
	v_or_b32_sdwa v6, v6, s65 dst_sel:DWORD dst_unused:UNUSED_PAD src0_sel:BYTE_3 src1_sel:DWORD
	buffer_store_dword v6, off, s[0:3], s33 offset:84 ; 4-byte Folded Spill
                                        ; implicit-def: $vgpr6
.LBB6_234:                              ;   in Loop: Header=BB6_129 Depth=2
	s_andn2_saveexec_b64 s[78:79], s[78:79]
	s_cbranch_execz .LBB6_236
; %bb.235:                              ;   in Loop: Header=BB6_129 Depth=2
	v_cmp_lt_i32_e32 vcc, -1, v6
	v_bfrev_b32_e32 v6, 0.5
	v_mov_b32_e32 v7, 0x7c
	v_cndmask_b32_e32 v6, v6, v7, vcc
	buffer_store_dword v6, off, s[0:3], s33 offset:84 ; 4-byte Folded Spill
.LBB6_236:                              ;   in Loop: Header=BB6_129 Depth=2
	s_or_b64 exec, exec, s[78:79]
.LBB6_237:                              ;   in Loop: Header=BB6_129 Depth=2
	s_or_b64 exec, exec, s[20:21]
	v_cmp_lt_u32_e32 vcc, s59, v48
	v_mov_b32_e32 v7, 0
	v_mov_b32_e32 v8, 0
	s_and_saveexec_b64 s[20:21], vcc
	s_cbranch_execz .LBB6_245
; %bb.238:                              ;   in Loop: Header=BB6_129 Depth=2
	v_lshrrev_b32_e32 v6, 24, v48
	v_cmp_ne_u32_e32 vcc, s55, v6
	v_bfrev_b32_e32 v8, 1
	s_and_saveexec_b64 s[78:79], vcc
	s_cbranch_execz .LBB6_244
; %bb.239:                              ;   in Loop: Header=BB6_129 Depth=2
	v_and_b32_e32 v8, 0x7c000000, v48
	v_bfe_u32 v26, v48, 24, 2
	v_cmp_ne_u32_e32 vcc, s67, v8
                                        ; implicit-def: $vgpr8
	s_and_saveexec_b64 s[88:89], vcc
	s_xor_b64 s[88:89], exec, s[88:89]
	s_cbranch_execz .LBB6_241
; %bb.240:                              ;   in Loop: Header=BB6_129 Depth=2
	v_ffbh_u32_e32 v27, v26
	v_min_u32_e32 v27, 32, v27
	v_subrev_u32_e32 v29, 29, v27
	v_lshlrev_b64 v[29:30], v29, v[6:7]
	v_bfe_u32 v8, v48, 26, 5
	v_sub_u32_e32 v6, 30, v27
	v_and_b32_e32 v27, 3, v29
	v_cmp_eq_u32_e32 vcc, 0, v8
	v_cndmask_b32_e32 v6, v8, v6, vcc
	v_cndmask_b32_e32 v8, v26, v27, vcc
	v_and_b32_e32 v26, 0x80000000, v48
	v_lshl_add_u32 v6, v6, 23, v26
	v_lshl_or_b32 v6, v8, 21, v6
	v_add_u32_e32 v8, 0x38000000, v6
                                        ; implicit-def: $vgpr26
.LBB6_241:                              ;   in Loop: Header=BB6_129 Depth=2
	s_andn2_saveexec_b64 s[88:89], s[88:89]
; %bb.242:                              ;   in Loop: Header=BB6_129 Depth=2
	v_cmp_lt_i32_e32 vcc, -1, v48
	v_mov_b32_e32 v6, 0xff800000
	v_mov_b32_e32 v8, 0x7f800000
	v_cndmask_b32_e32 v6, v6, v8, vcc
	v_cmp_eq_u32_e32 vcc, 0, v26
	v_mov_b32_e32 v8, 0x7f800001
	v_cndmask_b32_e32 v8, v8, v6, vcc
; %bb.243:                              ;   in Loop: Header=BB6_129 Depth=2
	s_or_b64 exec, exec, s[88:89]
.LBB6_244:                              ;   in Loop: Header=BB6_129 Depth=2
	s_or_b64 exec, exec, s[78:79]
.LBB6_245:                              ;   in Loop: Header=BB6_129 Depth=2
	s_or_b64 exec, exec, s[20:21]
	v_cmp_lt_u32_e32 vcc, s59, v36
	s_and_saveexec_b64 s[20:21], vcc
	s_cbranch_execz .LBB6_253
; %bb.246:                              ;   in Loop: Header=BB6_129 Depth=2
	v_lshrrev_b32_e32 v6, 24, v36
	v_cmp_ne_u32_e32 vcc, s55, v6
	v_bfrev_b32_e32 v7, 1
	s_and_saveexec_b64 s[78:79], vcc
	s_cbranch_execz .LBB6_252
; %bb.247:                              ;   in Loop: Header=BB6_129 Depth=2
	v_and_b32_e32 v7, 0x7c000000, v36
	v_bfe_u32 v26, v36, 24, 2
	v_cmp_ne_u32_e32 vcc, s67, v7
                                        ; implicit-def: $vgpr7
	s_and_saveexec_b64 s[88:89], vcc
	s_xor_b64 s[88:89], exec, s[88:89]
	s_cbranch_execz .LBB6_249
; %bb.248:                              ;   in Loop: Header=BB6_129 Depth=2
	v_ffbh_u32_e32 v7, v26
	v_min_u32_e32 v29, 32, v7
	v_subrev_u32_e32 v7, 29, v29
	v_lshlrev_b64 v[6:7], v7, v[6:7]
	v_bfe_u32 v27, v36, 26, 5
	v_sub_u32_e32 v7, 30, v29
	v_and_b32_e32 v6, 3, v6
	v_cmp_eq_u32_e32 vcc, 0, v27
	v_cndmask_b32_e32 v7, v27, v7, vcc
	v_cndmask_b32_e32 v6, v26, v6, vcc
	v_and_b32_e32 v26, 0x80000000, v36
	v_lshl_add_u32 v7, v7, 23, v26
	v_lshl_or_b32 v6, v6, 21, v7
	v_add_u32_e32 v7, 0x38000000, v6
                                        ; implicit-def: $vgpr26
.LBB6_249:                              ;   in Loop: Header=BB6_129 Depth=2
	s_andn2_saveexec_b64 s[88:89], s[88:89]
; %bb.250:                              ;   in Loop: Header=BB6_129 Depth=2
	v_cmp_lt_i32_e32 vcc, -1, v36
	v_mov_b32_e32 v6, 0xff800000
	v_mov_b32_e32 v7, 0x7f800000
	v_cndmask_b32_e32 v6, v6, v7, vcc
	v_cmp_eq_u32_e32 vcc, 0, v26
	v_mov_b32_e32 v7, 0x7f800001
	v_cndmask_b32_e32 v7, v7, v6, vcc
; %bb.251:                              ;   in Loop: Header=BB6_129 Depth=2
	s_or_b64 exec, exec, s[88:89]
.LBB6_252:                              ;   in Loop: Header=BB6_129 Depth=2
	s_or_b64 exec, exec, s[78:79]
.LBB6_253:                              ;   in Loop: Header=BB6_129 Depth=2
	s_or_b64 exec, exec, s[20:21]
	v_mul_f32_e32 v6, v8, v7
	v_and_b32_e32 v7, 0x7f800000, v6
	v_mov_b32_e32 v8, v28
	v_cmp_ne_u64_e32 vcc, s[60:61], v[7:8]
	v_and_b32_e32 v27, 0x7fffff, v6
                                        ; implicit-def: $vgpr7
                                        ; kill: killed $vgpr7
	s_and_saveexec_b64 s[20:21], vcc
	s_xor_b64 s[78:79], exec, s[20:21]
	s_cbranch_execz .LBB6_267
; %bb.254:                              ;   in Loop: Header=BB6_129 Depth=2
	v_and_b32_e32 v7, 0x7fffffff, v6
	v_mov_b32_e32 v8, v28
	v_cmp_gt_u64_e32 vcc, s[62:63], v[7:8]
	v_and_b32_sdwa v26, v6, s55 dst_sel:DWORD dst_unused:UNUSED_PAD src0_sel:BYTE_3 src1_sel:DWORD
                                        ; implicit-def: $vgpr7
                                        ; kill: killed $vgpr7
	s_and_saveexec_b64 s[20:21], vcc
	s_xor_b64 s[88:89], exec, s[20:21]
	s_cbranch_execz .LBB6_264
; %bb.255:                              ;   in Loop: Header=BB6_129 Depth=2
	v_mov_b32_e32 v7, 0
	v_cmp_ne_u32_e32 vcc, 0, v6
	buffer_store_dword v7, off, s[0:3], s33 offset:92 ; 4-byte Folded Spill
	s_and_saveexec_b64 s[90:91], vcc
	s_cbranch_execz .LBB6_263
; %bb.256:                              ;   in Loop: Header=BB6_129 Depth=2
	v_bfe_u32 v29, v6, 23, 8
	v_cmp_gt_u32_e64 s[20:21], s64, v29
	v_sub_u32_e32 v6, 0x71, v29
	v_cmp_eq_u32_e32 vcc, 0, v29
	v_cndmask_b32_e64 v6, 0, v6, s[20:21]
	v_mov_b32_e32 v8, 0x70
	v_cndmask_b32_e32 v30, v6, v8, vcc
	v_add_u32_e32 v8, 21, v30
	v_or_b32_e32 v7, 0x800000, v27
	v_lshlrev_b64 v[54:55], v8, -1
	v_cndmask_b32_e32 v6, v7, v27, vcc
	v_mov_b32_e32 v7, v28
	v_add_u32_e32 v8, 20, v30
	v_bfi_b32 v54, v54, 0, v6
	v_lshlrev_b64 v[40:41], v8, 1
	v_lshrrev_b64 v[6:7], v30, v[6:7]
	v_bfi_b32 v55, v55, 0, 0
	v_cmp_eq_u64_e64 s[20:21], v[54:55], v[40:41]
	v_mov_b32_e32 v8, v7
	v_mov_b32_e32 v7, v6
	s_and_saveexec_b64 s[92:93], s[20:21]
; %bb.257:                              ;   in Loop: Header=BB6_129 Depth=2
	v_bfe_u32 v7, v6, 21, 1
	v_add_co_u32_e64 v7, s[20:21], v6, v7
	v_add_co_u32_e64 v7, s[20:21], -1, v7
; %bb.258:                              ;   in Loop: Header=BB6_129 Depth=2
	s_or_b64 exec, exec, s[92:93]
	v_add_u32_e32 v8, 0xffffff81, v29
	v_mov_b32_e32 v27, 0xffffff82
	v_cndmask_b32_e32 v8, v8, v27, vcc
	v_lshrrev_b32_e32 v27, 23, v6
	v_add3_u32 v30, v30, v8, v27
	v_add_u32_e32 v29, 14, v30
	v_and_b32_e32 v7, 0x1fffff, v7
	v_add_u32_e32 v27, v7, v6
	v_cmp_ne_u32_e32 vcc, 0, v29
                                        ; implicit-def: $vgpr6_vgpr7
                                        ; implicit-def: $vgpr8
	s_and_saveexec_b64 s[20:21], vcc
	s_xor_b64 s[20:21], exec, s[20:21]
; %bb.259:                              ;   in Loop: Header=BB6_129 Depth=2
	v_cmp_lt_u64_e32 vcc, s[72:73], v[27:28]
	v_add_u32_e32 v6, 15, v30
	v_cndmask_b32_e32 v8, v29, v6, vcc
	v_cndmask_b32_e64 v6, 0, 1, vcc
	v_lshrrev_b64 v[6:7], v6, v[27:28]
; %bb.260:                              ;   in Loop: Header=BB6_129 Depth=2
	s_andn2_saveexec_b64 s[20:21], s[20:21]
; %bb.261:                              ;   in Loop: Header=BB6_129 Depth=2
	v_mov_b32_e32 v6, v27
	v_mov_b32_e32 v7, v28
	v_bfe_u32 v8, v27, 23, 1
; %bb.262:                              ;   in Loop: Header=BB6_129 Depth=2
	s_or_b64 exec, exec, s[20:21]
	v_lshrrev_b64 v[6:7], 21, v[6:7]
	v_cmp_gt_i32_e32 vcc, 32, v8
	v_cndmask_b32_e32 v7, 0, v7, vcc
	v_cndmask_b32_e32 v6, 3, v6, vcc
	v_cmp_eq_u64_e64 s[20:21], 0, v[6:7]
	v_min_i32_e32 v7, 31, v8
	v_lshlrev_b32_e32 v7, 2, v7
	v_cmp_eq_u32_e32 vcc, 0, v8
	v_and_b32_e32 v7, 0xfc, v7
	v_and_or_b32 v6, v6, 3, v7
	s_and_b64 s[20:21], vcc, s[20:21]
	v_cndmask_b32_e64 v6, v6, 0, s[20:21]
	v_or_b32_e32 v6, v6, v26
	buffer_store_dword v6, off, s[0:3], s33 offset:92 ; 4-byte Folded Spill
.LBB6_263:                              ;   in Loop: Header=BB6_129 Depth=2
	s_or_b64 exec, exec, s[90:91]
                                        ; implicit-def: $vgpr26
.LBB6_264:                              ;   in Loop: Header=BB6_129 Depth=2
	s_andn2_saveexec_b64 s[20:21], s[88:89]
	s_cbranch_execz .LBB6_266
; %bb.265:                              ;   in Loop: Header=BB6_129 Depth=2
	v_or_b32_e32 v6, 0x7b, v26
	buffer_store_dword v6, off, s[0:3], s33 offset:92 ; 4-byte Folded Spill
.LBB6_266:                              ;   in Loop: Header=BB6_129 Depth=2
	s_or_b64 exec, exec, s[20:21]
                                        ; implicit-def: $vgpr6
.LBB6_267:                              ;   in Loop: Header=BB6_129 Depth=2
	s_andn2_saveexec_b64 s[20:21], s[78:79]
	s_cbranch_execz .LBB6_273
; %bb.268:                              ;   in Loop: Header=BB6_129 Depth=2
	v_cmp_ne_u64_e32 vcc, 0, v[27:28]
                                        ; implicit-def: $vgpr7
                                        ; kill: killed $vgpr7
	s_and_saveexec_b64 s[78:79], vcc
	s_xor_b64 s[78:79], exec, s[78:79]
	s_cbranch_execz .LBB6_270
; %bb.269:                              ;   in Loop: Header=BB6_129 Depth=2
	v_or_b32_sdwa v6, v6, s65 dst_sel:DWORD dst_unused:UNUSED_PAD src0_sel:BYTE_3 src1_sel:DWORD
	buffer_store_dword v6, off, s[0:3], s33 offset:92 ; 4-byte Folded Spill
                                        ; implicit-def: $vgpr6
.LBB6_270:                              ;   in Loop: Header=BB6_129 Depth=2
	s_andn2_saveexec_b64 s[78:79], s[78:79]
	s_cbranch_execz .LBB6_272
; %bb.271:                              ;   in Loop: Header=BB6_129 Depth=2
	v_cmp_lt_i32_e32 vcc, -1, v6
	v_bfrev_b32_e32 v6, 0.5
	v_mov_b32_e32 v7, 0x7c
	v_cndmask_b32_e32 v6, v6, v7, vcc
	buffer_store_dword v6, off, s[0:3], s33 offset:92 ; 4-byte Folded Spill
.LBB6_272:                              ;   in Loop: Header=BB6_129 Depth=2
	s_or_b64 exec, exec, s[78:79]
.LBB6_273:                              ;   in Loop: Header=BB6_129 Depth=2
	s_or_b64 exec, exec, s[20:21]
	v_mov_b32_e32 v27, v49
	v_cmp_ne_u16_sdwa s[78:79], v49, v28 src0_sel:BYTE_0 src1_sel:DWORD
	v_mov_b32_e32 v7, 0
	v_mov_b32_e32 v6, 0
	s_and_saveexec_b64 s[20:21], s[78:79]
	s_cbranch_execz .LBB6_281
; %bb.274:                              ;   in Loop: Header=BB6_129 Depth=2
	v_cmp_ne_u16_sdwa s[88:89], v49, s55 src0_sel:BYTE_0 src1_sel:DWORD
	v_bfrev_b32_e32 v6, 1
	s_and_saveexec_b64 s[78:79], s[88:89]
	s_cbranch_execz .LBB6_280
; %bb.275:                              ;   in Loop: Header=BB6_129 Depth=2
	v_and_b32_e32 v6, 0x7c, v49
	v_and_b32_e32 v8, 3, v49
	v_cmp_ne_u32_e32 vcc, s53, v6
                                        ; implicit-def: $vgpr6
	s_and_saveexec_b64 s[88:89], vcc
	s_xor_b64 s[88:89], exec, s[88:89]
	s_cbranch_execz .LBB6_277
; %bb.276:                              ;   in Loop: Header=BB6_129 Depth=2
	v_ffbh_u32_e32 v26, v8
	v_min_u32_e32 v26, 32, v26
	v_bfe_u32 v6, v49, 2, 5
	v_subrev_u32_e32 v29, 29, v26
	v_lshlrev_b64 v[29:30], v29, v[27:28]
	v_sub_u32_e32 v26, 30, v26
	v_cmp_eq_u32_e32 vcc, 0, v6
	v_cndmask_b32_e32 v6, v6, v26, vcc
	v_lshlrev_b32_e32 v26, 24, v49
	v_and_b32_e32 v29, 3, v29
	v_and_b32_e32 v26, 0x80000000, v26
	v_cndmask_b32_e32 v8, v8, v29, vcc
	v_lshl_add_u32 v6, v6, 23, v26
	v_lshl_or_b32 v6, v8, 21, v6
	v_add_u32_e32 v6, 0x38000000, v6
                                        ; implicit-def: $vgpr8
.LBB6_277:                              ;   in Loop: Header=BB6_129 Depth=2
	s_andn2_saveexec_b64 s[88:89], s[88:89]
; %bb.278:                              ;   in Loop: Header=BB6_129 Depth=2
	v_mov_b32_e32 v6, -1
	v_cmp_gt_i16_sdwa vcc, sext(v49), v6 src0_sel:BYTE_0 src1_sel:DWORD
	v_mov_b32_e32 v6, 0xff800000
	v_mov_b32_e32 v26, 0x7f800000
	v_cndmask_b32_e32 v6, v6, v26, vcc
	v_cmp_eq_u32_e32 vcc, 0, v8
	v_mov_b32_e32 v8, 0x7f800001
	v_cndmask_b32_e32 v6, v8, v6, vcc
; %bb.279:                              ;   in Loop: Header=BB6_129 Depth=2
	s_or_b64 exec, exec, s[88:89]
.LBB6_280:                              ;   in Loop: Header=BB6_129 Depth=2
	s_or_b64 exec, exec, s[78:79]
.LBB6_281:                              ;   in Loop: Header=BB6_129 Depth=2
	s_or_b64 exec, exec, s[20:21]
	v_cmp_ne_u16_sdwa s[78:79], v37, v28 src0_sel:BYTE_0 src1_sel:DWORD
	s_and_saveexec_b64 s[20:21], s[78:79]
	s_cbranch_execz .LBB6_289
; %bb.282:                              ;   in Loop: Header=BB6_129 Depth=2
	v_cmp_ne_u16_sdwa s[88:89], v37, s55 src0_sel:BYTE_0 src1_sel:DWORD
	v_bfrev_b32_e32 v7, 1
	s_and_saveexec_b64 s[78:79], s[88:89]
	s_cbranch_execz .LBB6_288
; %bb.283:                              ;   in Loop: Header=BB6_129 Depth=2
	v_and_b32_e32 v7, 0x7c, v37
	v_and_b32_e32 v8, 3, v37
	v_cmp_ne_u32_e32 vcc, s53, v7
                                        ; implicit-def: $vgpr7
	s_and_saveexec_b64 s[88:89], vcc
	s_xor_b64 s[88:89], exec, s[88:89]
	s_cbranch_execz .LBB6_285
; %bb.284:                              ;   in Loop: Header=BB6_129 Depth=2
	v_ffbh_u32_e32 v26, v8
	v_min_u32_e32 v26, 32, v26
	v_mov_b32_e32 v29, v37
	v_mov_b32_e32 v30, v28
	v_bfe_u32 v7, v37, 2, 5
	v_subrev_u32_e32 v31, 29, v26
	v_lshlrev_b64 v[29:30], v31, v[29:30]
	v_sub_u32_e32 v26, 30, v26
	v_cmp_eq_u32_e32 vcc, 0, v7
	v_cndmask_b32_e32 v7, v7, v26, vcc
	v_lshlrev_b32_e32 v26, 24, v37
	v_and_b32_e32 v29, 3, v29
	v_and_b32_e32 v26, 0x80000000, v26
	v_cndmask_b32_e32 v8, v8, v29, vcc
	v_lshl_add_u32 v7, v7, 23, v26
	v_lshl_or_b32 v7, v8, 21, v7
	v_add_u32_e32 v7, 0x38000000, v7
                                        ; implicit-def: $vgpr8
.LBB6_285:                              ;   in Loop: Header=BB6_129 Depth=2
	s_andn2_saveexec_b64 s[88:89], s[88:89]
; %bb.286:                              ;   in Loop: Header=BB6_129 Depth=2
	v_mov_b32_e32 v7, -1
	v_cmp_gt_i16_sdwa vcc, sext(v37), v7 src0_sel:BYTE_0 src1_sel:DWORD
	v_mov_b32_e32 v7, 0xff800000
	v_mov_b32_e32 v26, 0x7f800000
	v_cndmask_b32_e32 v7, v7, v26, vcc
	v_cmp_eq_u32_e32 vcc, 0, v8
	v_mov_b32_e32 v8, 0x7f800001
	v_cndmask_b32_e32 v7, v8, v7, vcc
; %bb.287:                              ;   in Loop: Header=BB6_129 Depth=2
	s_or_b64 exec, exec, s[88:89]
.LBB6_288:                              ;   in Loop: Header=BB6_129 Depth=2
	s_or_b64 exec, exec, s[78:79]
.LBB6_289:                              ;   in Loop: Header=BB6_129 Depth=2
	s_or_b64 exec, exec, s[20:21]
	v_mul_f32_e32 v8, v6, v7
	v_and_b32_e32 v29, 0x7f800000, v8
	v_mov_b32_e32 v30, v28
	v_cmp_ne_u64_e32 vcc, s[60:61], v[29:30]
	v_and_b32_e32 v6, 0x7fffff, v8
	v_mov_b32_e32 v7, v28
                                        ; implicit-def: $vgpr26
                                        ; kill: killed $vgpr26
	s_and_saveexec_b64 s[20:21], vcc
	s_xor_b64 s[78:79], exec, s[20:21]
	s_cbranch_execz .LBB6_303
; %bb.290:                              ;   in Loop: Header=BB6_129 Depth=2
	v_and_b32_e32 v29, 0x7fffffff, v8
	v_mov_b32_e32 v30, v28
	v_cmp_gt_u64_e32 vcc, s[62:63], v[29:30]
	v_and_b32_sdwa v26, v8, s55 dst_sel:DWORD dst_unused:UNUSED_PAD src0_sel:BYTE_3 src1_sel:DWORD
                                        ; implicit-def: $vgpr29
                                        ; kill: killed $vgpr29
	s_and_saveexec_b64 s[20:21], vcc
	s_xor_b64 s[88:89], exec, s[20:21]
	s_cbranch_execz .LBB6_300
; %bb.291:                              ;   in Loop: Header=BB6_129 Depth=2
	v_mov_b32_e32 v29, 0
	v_cmp_ne_u32_e32 vcc, 0, v8
	buffer_store_dword v29, off, s[0:3], s33 offset:100 ; 4-byte Folded Spill
	s_and_saveexec_b64 s[90:91], vcc
	s_cbranch_execz .LBB6_299
; %bb.292:                              ;   in Loop: Header=BB6_129 Depth=2
	v_bfe_u32 v29, v8, 23, 8
	v_cmp_gt_u32_e64 s[20:21], s64, v29
	v_sub_u32_e32 v8, 0x71, v29
	v_cmp_eq_u32_e32 vcc, 0, v29
	v_cndmask_b32_e64 v8, 0, v8, s[20:21]
	v_mov_b32_e32 v30, 0x70
	v_cndmask_b32_e32 v30, v8, v30, vcc
	v_add_u32_e32 v8, 21, v30
	v_or_b32_e32 v31, 0x800000, v6
	v_lshlrev_b64 v[54:55], v8, -1
	v_cndmask_b32_e32 v6, v31, v6, vcc
	v_add_u32_e32 v8, 20, v30
	v_bfi_b32 v54, v54, 0, v6
	v_lshlrev_b64 v[40:41], v8, 1
	v_lshrrev_b64 v[6:7], v30, v[6:7]
	v_bfi_b32 v55, v55, 0, 0
	v_cmp_eq_u64_e64 s[20:21], v[54:55], v[40:41]
	v_mov_b32_e32 v8, v7
	v_mov_b32_e32 v7, v6
	s_and_saveexec_b64 s[92:93], s[20:21]
; %bb.293:                              ;   in Loop: Header=BB6_129 Depth=2
	v_bfe_u32 v7, v6, 21, 1
	v_add_co_u32_e64 v7, s[20:21], v6, v7
	v_add_co_u32_e64 v7, s[20:21], -1, v7
; %bb.294:                              ;   in Loop: Header=BB6_129 Depth=2
	s_or_b64 exec, exec, s[92:93]
	v_add_u32_e32 v8, 0xffffff81, v29
	v_mov_b32_e32 v29, 0xffffff82
	v_cndmask_b32_e32 v8, v8, v29, vcc
	v_lshrrev_b32_e32 v29, 23, v6
	v_add3_u32 v30, v30, v8, v29
	v_add_u32_e32 v29, 14, v30
	v_and_b32_e32 v7, 0x1fffff, v7
	v_add_u32_e32 v6, v7, v6
	v_mov_b32_e32 v7, v28
	v_cmp_ne_u32_e32 vcc, 0, v29
                                        ; implicit-def: $vgpr8
	s_and_saveexec_b64 s[20:21], vcc
	s_xor_b64 s[20:21], exec, s[20:21]
; %bb.295:                              ;   in Loop: Header=BB6_129 Depth=2
	v_cmp_lt_u64_e32 vcc, s[72:73], v[6:7]
	v_add_u32_e32 v8, 15, v30
	v_cndmask_b32_e32 v8, v29, v8, vcc
	v_cndmask_b32_e64 v29, 0, 1, vcc
	v_lshrrev_b64 v[6:7], v29, v[6:7]
; %bb.296:                              ;   in Loop: Header=BB6_129 Depth=2
	s_andn2_saveexec_b64 s[20:21], s[20:21]
; %bb.297:                              ;   in Loop: Header=BB6_129 Depth=2
	v_bfe_u32 v8, v6, 23, 1
; %bb.298:                              ;   in Loop: Header=BB6_129 Depth=2
	s_or_b64 exec, exec, s[20:21]
	v_lshrrev_b64 v[6:7], 21, v[6:7]
	v_cmp_gt_i32_e32 vcc, 32, v8
	v_cndmask_b32_e32 v7, 0, v7, vcc
	v_cndmask_b32_e32 v6, 3, v6, vcc
	v_cmp_eq_u64_e64 s[20:21], 0, v[6:7]
	v_min_i32_e32 v7, 31, v8
	v_lshlrev_b32_e32 v7, 2, v7
	v_cmp_eq_u32_e32 vcc, 0, v8
	v_and_b32_e32 v7, 0xfc, v7
	v_and_or_b32 v6, v6, 3, v7
	s_and_b64 s[20:21], vcc, s[20:21]
	v_cndmask_b32_e64 v6, v6, 0, s[20:21]
	v_or_b32_e32 v6, v6, v26
	buffer_store_dword v6, off, s[0:3], s33 offset:100 ; 4-byte Folded Spill
.LBB6_299:                              ;   in Loop: Header=BB6_129 Depth=2
	s_or_b64 exec, exec, s[90:91]
                                        ; implicit-def: $vgpr26
.LBB6_300:                              ;   in Loop: Header=BB6_129 Depth=2
	s_andn2_saveexec_b64 s[20:21], s[88:89]
	s_cbranch_execz .LBB6_302
; %bb.301:                              ;   in Loop: Header=BB6_129 Depth=2
	v_or_b32_e32 v6, 0x7b, v26
	buffer_store_dword v6, off, s[0:3], s33 offset:100 ; 4-byte Folded Spill
.LBB6_302:                              ;   in Loop: Header=BB6_129 Depth=2
	s_or_b64 exec, exec, s[20:21]
                                        ; implicit-def: $vgpr8
                                        ; implicit-def: $vgpr6_vgpr7
.LBB6_303:                              ;   in Loop: Header=BB6_129 Depth=2
	s_andn2_saveexec_b64 s[20:21], s[78:79]
	s_cbranch_execz .LBB6_309
; %bb.304:                              ;   in Loop: Header=BB6_129 Depth=2
	v_cmp_ne_u64_e32 vcc, 0, v[6:7]
                                        ; implicit-def: $vgpr6
                                        ; kill: killed $vgpr6
	s_and_saveexec_b64 s[78:79], vcc
	s_xor_b64 s[78:79], exec, s[78:79]
	s_cbranch_execz .LBB6_306
; %bb.305:                              ;   in Loop: Header=BB6_129 Depth=2
	v_or_b32_sdwa v6, v8, s65 dst_sel:DWORD dst_unused:UNUSED_PAD src0_sel:BYTE_3 src1_sel:DWORD
	buffer_store_dword v6, off, s[0:3], s33 offset:100 ; 4-byte Folded Spill
                                        ; implicit-def: $vgpr8
.LBB6_306:                              ;   in Loop: Header=BB6_129 Depth=2
	s_andn2_saveexec_b64 s[78:79], s[78:79]
	s_cbranch_execz .LBB6_308
; %bb.307:                              ;   in Loop: Header=BB6_129 Depth=2
	v_cmp_lt_i32_e32 vcc, -1, v8
	v_bfrev_b32_e32 v6, 0.5
	v_mov_b32_e32 v7, 0x7c
	v_cndmask_b32_e32 v6, v6, v7, vcc
	buffer_store_dword v6, off, s[0:3], s33 offset:100 ; 4-byte Folded Spill
.LBB6_308:                              ;   in Loop: Header=BB6_129 Depth=2
	s_or_b64 exec, exec, s[78:79]
.LBB6_309:                              ;   in Loop: Header=BB6_129 Depth=2
	s_or_b64 exec, exec, s[20:21]
	v_lshrrev_b16_e32 v6, 8, v27
	v_cmp_ne_u16_e32 vcc, 0, v6
	v_mov_b32_e32 v8, 0
	v_mov_b32_e32 v26, 0
	s_and_saveexec_b64 s[20:21], vcc
	s_cbranch_execz .LBB6_317
; %bb.310:                              ;   in Loop: Header=BB6_129 Depth=2
	v_cmp_ne_u16_e32 vcc, s55, v6
	v_bfrev_b32_e32 v26, 1
	s_and_saveexec_b64 s[78:79], vcc
	s_cbranch_execz .LBB6_316
; %bb.311:                              ;   in Loop: Header=BB6_129 Depth=2
	v_and_b32_e32 v7, 0x7c, v6
	v_and_b32_e32 v29, 3, v6
	v_cmp_ne_u32_e32 vcc, s53, v7
                                        ; implicit-def: $vgpr26
	s_and_saveexec_b64 s[88:89], vcc
	s_xor_b64 s[88:89], exec, s[88:89]
	s_cbranch_execz .LBB6_313
; %bb.312:                              ;   in Loop: Header=BB6_129 Depth=2
	v_ffbh_u32_e32 v30, v29
	v_min_u32_e32 v30, 32, v30
	v_mov_b32_e32 v7, v28
	v_subrev_u32_e32 v31, 29, v30
	v_bfe_u32 v26, v6, 2, 5
	v_lshlrev_b64 v[6:7], v31, v[6:7]
	v_sub_u32_e32 v7, 30, v30
	v_cmp_eq_u32_e32 vcc, 0, v26
	v_cndmask_b32_e32 v7, v26, v7, vcc
	v_lshlrev_b32_e32 v26, 16, v27
	v_and_b32_e32 v6, 3, v6
	v_and_b32_e32 v26, 0x80000000, v26
	v_cndmask_b32_e32 v6, v29, v6, vcc
	v_lshl_add_u32 v7, v7, 23, v26
	v_lshl_or_b32 v6, v6, 21, v7
	v_add_u32_e32 v26, 0x38000000, v6
                                        ; implicit-def: $vgpr29
.LBB6_313:                              ;   in Loop: Header=BB6_129 Depth=2
	s_andn2_saveexec_b64 s[88:89], s[88:89]
; %bb.314:                              ;   in Loop: Header=BB6_129 Depth=2
	v_cmp_lt_i16_e32 vcc, -1, v27
	v_mov_b32_e32 v6, 0xff800000
	v_mov_b32_e32 v7, 0x7f800000
	v_cndmask_b32_e32 v6, v6, v7, vcc
	v_cmp_eq_u32_e32 vcc, 0, v29
	v_mov_b32_e32 v7, 0x7f800001
	v_cndmask_b32_e32 v26, v7, v6, vcc
; %bb.315:                              ;   in Loop: Header=BB6_129 Depth=2
	s_or_b64 exec, exec, s[88:89]
.LBB6_316:                              ;   in Loop: Header=BB6_129 Depth=2
	s_or_b64 exec, exec, s[78:79]
.LBB6_317:                              ;   in Loop: Header=BB6_129 Depth=2
	s_or_b64 exec, exec, s[20:21]
	v_lshrrev_b16_e32 v6, 8, v37
	v_cmp_ne_u16_e32 vcc, 0, v6
	s_and_saveexec_b64 s[20:21], vcc
	s_cbranch_execz .LBB6_325
; %bb.318:                              ;   in Loop: Header=BB6_129 Depth=2
	v_cmp_ne_u16_e32 vcc, s55, v6
	v_bfrev_b32_e32 v8, 1
	s_and_saveexec_b64 s[78:79], vcc
	s_cbranch_execz .LBB6_324
; %bb.319:                              ;   in Loop: Header=BB6_129 Depth=2
	v_and_b32_e32 v7, 0x7c, v6
	v_and_b32_e32 v27, 3, v6
	v_cmp_ne_u32_e32 vcc, s53, v7
                                        ; implicit-def: $vgpr8
	s_and_saveexec_b64 s[88:89], vcc
	s_xor_b64 s[88:89], exec, s[88:89]
	s_cbranch_execz .LBB6_321
; %bb.320:                              ;   in Loop: Header=BB6_129 Depth=2
	v_ffbh_u32_e32 v29, v27
	v_min_u32_e32 v29, 32, v29
	v_mov_b32_e32 v7, v28
	v_subrev_u32_e32 v30, 29, v29
	v_bfe_u32 v8, v6, 2, 5
	v_lshlrev_b64 v[6:7], v30, v[6:7]
	v_sub_u32_e32 v7, 30, v29
	v_cmp_eq_u32_e32 vcc, 0, v8
	v_cndmask_b32_e32 v7, v8, v7, vcc
	v_lshlrev_b32_e32 v8, 16, v37
	v_and_b32_e32 v6, 3, v6
	v_and_b32_e32 v8, 0x80000000, v8
	v_cndmask_b32_e32 v6, v27, v6, vcc
	v_lshl_add_u32 v7, v7, 23, v8
	v_lshl_or_b32 v6, v6, 21, v7
	v_add_u32_e32 v8, 0x38000000, v6
                                        ; implicit-def: $vgpr27
.LBB6_321:                              ;   in Loop: Header=BB6_129 Depth=2
	s_andn2_saveexec_b64 s[88:89], s[88:89]
; %bb.322:                              ;   in Loop: Header=BB6_129 Depth=2
	v_cmp_lt_i16_e32 vcc, -1, v37
	v_mov_b32_e32 v6, 0xff800000
	v_mov_b32_e32 v7, 0x7f800000
	v_cndmask_b32_e32 v6, v6, v7, vcc
	v_cmp_eq_u32_e32 vcc, 0, v27
	v_mov_b32_e32 v7, 0x7f800001
	v_cndmask_b32_e32 v8, v7, v6, vcc
; %bb.323:                              ;   in Loop: Header=BB6_129 Depth=2
	s_or_b64 exec, exec, s[88:89]
.LBB6_324:                              ;   in Loop: Header=BB6_129 Depth=2
	s_or_b64 exec, exec, s[78:79]
.LBB6_325:                              ;   in Loop: Header=BB6_129 Depth=2
	s_or_b64 exec, exec, s[20:21]
	v_mul_f32_e32 v6, v26, v8
	v_and_b32_e32 v7, 0x7f800000, v6
	v_mov_b32_e32 v8, v28
	v_cmp_ne_u64_e32 vcc, s[60:61], v[7:8]
	v_and_b32_e32 v27, 0x7fffff, v6
                                        ; implicit-def: $vgpr7
                                        ; kill: killed $vgpr7
	s_and_saveexec_b64 s[20:21], vcc
	s_xor_b64 s[78:79], exec, s[20:21]
	s_cbranch_execz .LBB6_339
; %bb.326:                              ;   in Loop: Header=BB6_129 Depth=2
	v_and_b32_e32 v7, 0x7fffffff, v6
	v_mov_b32_e32 v8, v28
	v_cmp_gt_u64_e32 vcc, s[62:63], v[7:8]
	v_and_b32_sdwa v26, v6, s55 dst_sel:DWORD dst_unused:UNUSED_PAD src0_sel:BYTE_3 src1_sel:DWORD
                                        ; implicit-def: $vgpr7
                                        ; kill: killed $vgpr7
	s_and_saveexec_b64 s[20:21], vcc
	s_xor_b64 s[88:89], exec, s[20:21]
	s_cbranch_execz .LBB6_336
; %bb.327:                              ;   in Loop: Header=BB6_129 Depth=2
	v_mov_b32_e32 v7, 0
	v_cmp_ne_u32_e32 vcc, 0, v6
	buffer_store_dword v7, off, s[0:3], s33 offset:108 ; 4-byte Folded Spill
	s_and_saveexec_b64 s[90:91], vcc
	s_cbranch_execz .LBB6_335
; %bb.328:                              ;   in Loop: Header=BB6_129 Depth=2
	v_bfe_u32 v29, v6, 23, 8
	v_cmp_gt_u32_e64 s[20:21], s64, v29
	v_sub_u32_e32 v6, 0x71, v29
	v_cmp_eq_u32_e32 vcc, 0, v29
	v_cndmask_b32_e64 v6, 0, v6, s[20:21]
	v_mov_b32_e32 v8, 0x70
	v_cndmask_b32_e32 v30, v6, v8, vcc
	v_add_u32_e32 v8, 21, v30
	v_or_b32_e32 v7, 0x800000, v27
	v_lshlrev_b64 v[54:55], v8, -1
	v_cndmask_b32_e32 v6, v7, v27, vcc
	v_mov_b32_e32 v7, v28
	v_add_u32_e32 v8, 20, v30
	v_bfi_b32 v54, v54, 0, v6
	v_lshlrev_b64 v[40:41], v8, 1
	v_lshrrev_b64 v[6:7], v30, v[6:7]
	v_bfi_b32 v55, v55, 0, 0
	v_cmp_eq_u64_e64 s[20:21], v[54:55], v[40:41]
	v_mov_b32_e32 v8, v7
	v_mov_b32_e32 v7, v6
	s_and_saveexec_b64 s[92:93], s[20:21]
; %bb.329:                              ;   in Loop: Header=BB6_129 Depth=2
	v_bfe_u32 v7, v6, 21, 1
	v_add_co_u32_e64 v7, s[20:21], v6, v7
	v_add_co_u32_e64 v7, s[20:21], -1, v7
; %bb.330:                              ;   in Loop: Header=BB6_129 Depth=2
	s_or_b64 exec, exec, s[92:93]
	v_add_u32_e32 v8, 0xffffff81, v29
	v_mov_b32_e32 v27, 0xffffff82
	v_cndmask_b32_e32 v8, v8, v27, vcc
	v_lshrrev_b32_e32 v27, 23, v6
	v_add3_u32 v30, v30, v8, v27
	v_add_u32_e32 v29, 14, v30
	v_and_b32_e32 v7, 0x1fffff, v7
	v_add_u32_e32 v27, v7, v6
	v_cmp_ne_u32_e32 vcc, 0, v29
                                        ; implicit-def: $vgpr6_vgpr7
                                        ; implicit-def: $vgpr8
	s_and_saveexec_b64 s[20:21], vcc
	s_xor_b64 s[20:21], exec, s[20:21]
; %bb.331:                              ;   in Loop: Header=BB6_129 Depth=2
	v_cmp_lt_u64_e32 vcc, s[72:73], v[27:28]
	v_add_u32_e32 v6, 15, v30
	v_cndmask_b32_e32 v8, v29, v6, vcc
	v_cndmask_b32_e64 v6, 0, 1, vcc
	v_lshrrev_b64 v[6:7], v6, v[27:28]
; %bb.332:                              ;   in Loop: Header=BB6_129 Depth=2
	s_andn2_saveexec_b64 s[20:21], s[20:21]
; %bb.333:                              ;   in Loop: Header=BB6_129 Depth=2
	v_mov_b32_e32 v6, v27
	v_mov_b32_e32 v7, v28
	v_bfe_u32 v8, v27, 23, 1
; %bb.334:                              ;   in Loop: Header=BB6_129 Depth=2
	s_or_b64 exec, exec, s[20:21]
	v_lshrrev_b64 v[6:7], 21, v[6:7]
	v_cmp_gt_i32_e32 vcc, 32, v8
	v_cndmask_b32_e32 v7, 0, v7, vcc
	v_cndmask_b32_e32 v6, 3, v6, vcc
	v_cmp_eq_u64_e64 s[20:21], 0, v[6:7]
	v_min_i32_e32 v7, 31, v8
	v_lshlrev_b32_e32 v7, 2, v7
	v_cmp_eq_u32_e32 vcc, 0, v8
	v_and_b32_e32 v7, 0xfc, v7
	v_and_or_b32 v6, v6, 3, v7
	s_and_b64 s[20:21], vcc, s[20:21]
	v_cndmask_b32_e64 v6, v6, 0, s[20:21]
	v_or_b32_e32 v6, v6, v26
	buffer_store_dword v6, off, s[0:3], s33 offset:108 ; 4-byte Folded Spill
.LBB6_335:                              ;   in Loop: Header=BB6_129 Depth=2
	s_or_b64 exec, exec, s[90:91]
                                        ; implicit-def: $vgpr26
.LBB6_336:                              ;   in Loop: Header=BB6_129 Depth=2
	s_andn2_saveexec_b64 s[20:21], s[88:89]
	s_cbranch_execz .LBB6_338
; %bb.337:                              ;   in Loop: Header=BB6_129 Depth=2
	v_or_b32_e32 v6, 0x7b, v26
	buffer_store_dword v6, off, s[0:3], s33 offset:108 ; 4-byte Folded Spill
.LBB6_338:                              ;   in Loop: Header=BB6_129 Depth=2
	s_or_b64 exec, exec, s[20:21]
                                        ; implicit-def: $vgpr6
.LBB6_339:                              ;   in Loop: Header=BB6_129 Depth=2
	s_andn2_saveexec_b64 s[20:21], s[78:79]
	s_cbranch_execz .LBB6_345
; %bb.340:                              ;   in Loop: Header=BB6_129 Depth=2
	v_cmp_ne_u64_e32 vcc, 0, v[27:28]
                                        ; implicit-def: $vgpr7
                                        ; kill: killed $vgpr7
	s_and_saveexec_b64 s[78:79], vcc
	s_xor_b64 s[78:79], exec, s[78:79]
	s_cbranch_execz .LBB6_342
; %bb.341:                              ;   in Loop: Header=BB6_129 Depth=2
	v_or_b32_sdwa v6, v6, s65 dst_sel:DWORD dst_unused:UNUSED_PAD src0_sel:BYTE_3 src1_sel:DWORD
	buffer_store_dword v6, off, s[0:3], s33 offset:108 ; 4-byte Folded Spill
                                        ; implicit-def: $vgpr6
.LBB6_342:                              ;   in Loop: Header=BB6_129 Depth=2
	s_andn2_saveexec_b64 s[78:79], s[78:79]
	s_cbranch_execz .LBB6_344
; %bb.343:                              ;   in Loop: Header=BB6_129 Depth=2
	v_cmp_lt_i32_e32 vcc, -1, v6
	v_bfrev_b32_e32 v6, 0.5
	v_mov_b32_e32 v7, 0x7c
	v_cndmask_b32_e32 v6, v6, v7, vcc
	buffer_store_dword v6, off, s[0:3], s33 offset:108 ; 4-byte Folded Spill
.LBB6_344:                              ;   in Loop: Header=BB6_129 Depth=2
	s_or_b64 exec, exec, s[78:79]
.LBB6_345:                              ;   in Loop: Header=BB6_129 Depth=2
	s_or_b64 exec, exec, s[20:21]
	v_lshrrev_b32_e32 v6, 16, v49
	v_cmp_ne_u16_sdwa s[78:79], v6, v28 src0_sel:BYTE_0 src1_sel:DWORD
	v_mov_b32_e32 v7, 0
	v_mov_b32_e32 v8, 0
	s_and_saveexec_b64 s[20:21], s[78:79]
	s_cbranch_execz .LBB6_353
; %bb.346:                              ;   in Loop: Header=BB6_129 Depth=2
	v_cmp_ne_u16_sdwa s[88:89], v6, s55 src0_sel:BYTE_0 src1_sel:DWORD
	v_bfrev_b32_e32 v8, 1
	s_and_saveexec_b64 s[78:79], s[88:89]
	s_cbranch_execz .LBB6_352
; %bb.347:                              ;   in Loop: Header=BB6_129 Depth=2
	v_and_b32_e32 v8, 0x7c0000, v49
	v_bfe_u32 v26, v49, 16, 2
	v_cmp_ne_u32_e32 vcc, s66, v8
                                        ; implicit-def: $vgpr8
	s_and_saveexec_b64 s[88:89], vcc
	s_xor_b64 s[88:89], exec, s[88:89]
	s_cbranch_execz .LBB6_349
; %bb.348:                              ;   in Loop: Header=BB6_129 Depth=2
	v_ffbh_u32_e32 v27, v26
	v_min_u32_e32 v27, 32, v27
	v_subrev_u32_e32 v29, 29, v27
	v_lshlrev_b64 v[29:30], v29, v[6:7]
	v_bfe_u32 v8, v49, 18, 5
	v_sub_u32_e32 v6, 30, v27
	v_and_b32_e32 v27, 3, v29
	v_cmp_eq_u32_e32 vcc, 0, v8
	v_cndmask_b32_e32 v6, v8, v6, vcc
	v_cndmask_b32_e32 v8, v26, v27, vcc
	v_lshlrev_b32_e32 v26, 8, v49
	v_and_b32_e32 v26, 0x80000000, v26
	v_lshl_add_u32 v6, v6, 23, v26
	v_lshl_or_b32 v6, v8, 21, v6
	v_add_u32_e32 v8, 0x38000000, v6
                                        ; implicit-def: $vgpr26
                                        ; implicit-def: $vgpr6
.LBB6_349:                              ;   in Loop: Header=BB6_129 Depth=2
	s_andn2_saveexec_b64 s[88:89], s[88:89]
; %bb.350:                              ;   in Loop: Header=BB6_129 Depth=2
	v_mov_b32_e32 v8, -1
	v_cmp_gt_i16_sdwa vcc, sext(v6), v8 src0_sel:BYTE_0 src1_sel:DWORD
	v_mov_b32_e32 v6, 0xff800000
	v_mov_b32_e32 v8, 0x7f800000
	v_cndmask_b32_e32 v6, v6, v8, vcc
	v_cmp_eq_u32_e32 vcc, 0, v26
	v_mov_b32_e32 v8, 0x7f800001
	v_cndmask_b32_e32 v8, v8, v6, vcc
; %bb.351:                              ;   in Loop: Header=BB6_129 Depth=2
	s_or_b64 exec, exec, s[88:89]
.LBB6_352:                              ;   in Loop: Header=BB6_129 Depth=2
	s_or_b64 exec, exec, s[78:79]
.LBB6_353:                              ;   in Loop: Header=BB6_129 Depth=2
	s_or_b64 exec, exec, s[20:21]
	v_lshrrev_b32_e32 v6, 16, v37
	v_cmp_ne_u16_sdwa s[78:79], v6, v28 src0_sel:BYTE_0 src1_sel:DWORD
	s_and_saveexec_b64 s[20:21], s[78:79]
	s_cbranch_execz .LBB6_361
; %bb.354:                              ;   in Loop: Header=BB6_129 Depth=2
	v_cmp_ne_u16_sdwa s[88:89], v6, s55 src0_sel:BYTE_0 src1_sel:DWORD
	v_bfrev_b32_e32 v7, 1
	s_and_saveexec_b64 s[78:79], s[88:89]
	s_cbranch_execz .LBB6_360
; %bb.355:                              ;   in Loop: Header=BB6_129 Depth=2
	v_and_b32_e32 v7, 0x7c0000, v37
	v_bfe_u32 v26, v37, 16, 2
	v_cmp_ne_u32_e32 vcc, s66, v7
                                        ; implicit-def: $vgpr7
	s_and_saveexec_b64 s[88:89], vcc
	s_xor_b64 s[88:89], exec, s[88:89]
	s_cbranch_execz .LBB6_357
; %bb.356:                              ;   in Loop: Header=BB6_129 Depth=2
	v_ffbh_u32_e32 v7, v26
	v_min_u32_e32 v29, 32, v7
	v_subrev_u32_e32 v7, 29, v29
	v_lshlrev_b64 v[6:7], v7, v[6:7]
	v_bfe_u32 v27, v37, 18, 5
	v_and_b32_e32 v6, 3, v6
	v_cmp_eq_u32_e32 vcc, 0, v27
	v_sub_u32_e32 v7, 30, v29
	v_cndmask_b32_e32 v6, v26, v6, vcc
	v_lshlrev_b32_e32 v26, 8, v37
	v_cndmask_b32_e32 v7, v27, v7, vcc
	v_and_b32_e32 v26, 0x80000000, v26
	v_lshl_add_u32 v7, v7, 23, v26
	v_lshl_or_b32 v6, v6, 21, v7
	v_add_u32_e32 v7, 0x38000000, v6
                                        ; implicit-def: $vgpr26
                                        ; implicit-def: $vgpr6
.LBB6_357:                              ;   in Loop: Header=BB6_129 Depth=2
	s_andn2_saveexec_b64 s[88:89], s[88:89]
; %bb.358:                              ;   in Loop: Header=BB6_129 Depth=2
	v_mov_b32_e32 v7, -1
	v_cmp_gt_i16_sdwa vcc, sext(v6), v7 src0_sel:BYTE_0 src1_sel:DWORD
	v_mov_b32_e32 v6, 0xff800000
	v_mov_b32_e32 v7, 0x7f800000
	v_cndmask_b32_e32 v6, v6, v7, vcc
	v_cmp_eq_u32_e32 vcc, 0, v26
	v_mov_b32_e32 v7, 0x7f800001
	v_cndmask_b32_e32 v7, v7, v6, vcc
; %bb.359:                              ;   in Loop: Header=BB6_129 Depth=2
	s_or_b64 exec, exec, s[88:89]
.LBB6_360:                              ;   in Loop: Header=BB6_129 Depth=2
	s_or_b64 exec, exec, s[78:79]
.LBB6_361:                              ;   in Loop: Header=BB6_129 Depth=2
	s_or_b64 exec, exec, s[20:21]
	v_mul_f32_e32 v6, v8, v7
	v_and_b32_e32 v7, 0x7f800000, v6
	v_mov_b32_e32 v8, v28
	v_cmp_ne_u64_e32 vcc, s[60:61], v[7:8]
	v_and_b32_e32 v27, 0x7fffff, v6
                                        ; implicit-def: $vgpr7
                                        ; kill: killed $vgpr7
	s_and_saveexec_b64 s[20:21], vcc
	s_xor_b64 s[78:79], exec, s[20:21]
	s_cbranch_execz .LBB6_375
; %bb.362:                              ;   in Loop: Header=BB6_129 Depth=2
	v_and_b32_e32 v7, 0x7fffffff, v6
	v_mov_b32_e32 v8, v28
	v_cmp_gt_u64_e32 vcc, s[62:63], v[7:8]
	v_and_b32_sdwa v26, v6, s55 dst_sel:DWORD dst_unused:UNUSED_PAD src0_sel:BYTE_3 src1_sel:DWORD
                                        ; implicit-def: $vgpr7
                                        ; kill: killed $vgpr7
	s_and_saveexec_b64 s[20:21], vcc
	s_xor_b64 s[88:89], exec, s[20:21]
	s_cbranch_execz .LBB6_372
; %bb.363:                              ;   in Loop: Header=BB6_129 Depth=2
	v_mov_b32_e32 v7, 0
	v_cmp_ne_u32_e32 vcc, 0, v6
	buffer_store_dword v7, off, s[0:3], s33 offset:116 ; 4-byte Folded Spill
	s_and_saveexec_b64 s[90:91], vcc
	s_cbranch_execz .LBB6_371
; %bb.364:                              ;   in Loop: Header=BB6_129 Depth=2
	v_bfe_u32 v29, v6, 23, 8
	v_cmp_gt_u32_e64 s[20:21], s64, v29
	v_sub_u32_e32 v6, 0x71, v29
	v_cmp_eq_u32_e32 vcc, 0, v29
	v_cndmask_b32_e64 v6, 0, v6, s[20:21]
	v_mov_b32_e32 v8, 0x70
	v_cndmask_b32_e32 v30, v6, v8, vcc
	v_add_u32_e32 v8, 21, v30
	v_or_b32_e32 v7, 0x800000, v27
	v_lshlrev_b64 v[54:55], v8, -1
	v_cndmask_b32_e32 v6, v7, v27, vcc
	v_mov_b32_e32 v7, v28
	v_add_u32_e32 v8, 20, v30
	v_bfi_b32 v54, v54, 0, v6
	v_lshlrev_b64 v[40:41], v8, 1
	v_lshrrev_b64 v[6:7], v30, v[6:7]
	v_bfi_b32 v55, v55, 0, 0
	v_cmp_eq_u64_e64 s[20:21], v[54:55], v[40:41]
	v_mov_b32_e32 v8, v7
	v_mov_b32_e32 v7, v6
	s_and_saveexec_b64 s[92:93], s[20:21]
; %bb.365:                              ;   in Loop: Header=BB6_129 Depth=2
	v_bfe_u32 v7, v6, 21, 1
	v_add_co_u32_e64 v7, s[20:21], v6, v7
	v_add_co_u32_e64 v7, s[20:21], -1, v7
; %bb.366:                              ;   in Loop: Header=BB6_129 Depth=2
	s_or_b64 exec, exec, s[92:93]
	v_add_u32_e32 v8, 0xffffff81, v29
	v_mov_b32_e32 v27, 0xffffff82
	v_cndmask_b32_e32 v8, v8, v27, vcc
	v_lshrrev_b32_e32 v27, 23, v6
	v_add3_u32 v30, v30, v8, v27
	v_add_u32_e32 v29, 14, v30
	v_and_b32_e32 v7, 0x1fffff, v7
	v_add_u32_e32 v27, v7, v6
	v_cmp_ne_u32_e32 vcc, 0, v29
                                        ; implicit-def: $vgpr6_vgpr7
                                        ; implicit-def: $vgpr8
	s_and_saveexec_b64 s[20:21], vcc
	s_xor_b64 s[20:21], exec, s[20:21]
; %bb.367:                              ;   in Loop: Header=BB6_129 Depth=2
	v_cmp_lt_u64_e32 vcc, s[72:73], v[27:28]
	v_add_u32_e32 v6, 15, v30
	v_cndmask_b32_e32 v8, v29, v6, vcc
	v_cndmask_b32_e64 v6, 0, 1, vcc
	v_lshrrev_b64 v[6:7], v6, v[27:28]
; %bb.368:                              ;   in Loop: Header=BB6_129 Depth=2
	s_andn2_saveexec_b64 s[20:21], s[20:21]
; %bb.369:                              ;   in Loop: Header=BB6_129 Depth=2
	v_mov_b32_e32 v6, v27
	v_mov_b32_e32 v7, v28
	v_bfe_u32 v8, v27, 23, 1
; %bb.370:                              ;   in Loop: Header=BB6_129 Depth=2
	s_or_b64 exec, exec, s[20:21]
	v_lshrrev_b64 v[6:7], 21, v[6:7]
	v_cmp_gt_i32_e32 vcc, 32, v8
	v_cndmask_b32_e32 v7, 0, v7, vcc
	v_cndmask_b32_e32 v6, 3, v6, vcc
	v_cmp_eq_u64_e64 s[20:21], 0, v[6:7]
	v_min_i32_e32 v7, 31, v8
	v_lshlrev_b32_e32 v7, 2, v7
	v_cmp_eq_u32_e32 vcc, 0, v8
	v_and_b32_e32 v7, 0xfc, v7
	v_and_or_b32 v6, v6, 3, v7
	s_and_b64 s[20:21], vcc, s[20:21]
	v_cndmask_b32_e64 v6, v6, 0, s[20:21]
	v_or_b32_e32 v6, v6, v26
	buffer_store_dword v6, off, s[0:3], s33 offset:116 ; 4-byte Folded Spill
.LBB6_371:                              ;   in Loop: Header=BB6_129 Depth=2
	s_or_b64 exec, exec, s[90:91]
                                        ; implicit-def: $vgpr26
.LBB6_372:                              ;   in Loop: Header=BB6_129 Depth=2
	s_andn2_saveexec_b64 s[20:21], s[88:89]
	s_cbranch_execz .LBB6_374
; %bb.373:                              ;   in Loop: Header=BB6_129 Depth=2
	v_or_b32_e32 v6, 0x7b, v26
	buffer_store_dword v6, off, s[0:3], s33 offset:116 ; 4-byte Folded Spill
.LBB6_374:                              ;   in Loop: Header=BB6_129 Depth=2
	s_or_b64 exec, exec, s[20:21]
                                        ; implicit-def: $vgpr6
.LBB6_375:                              ;   in Loop: Header=BB6_129 Depth=2
	s_andn2_saveexec_b64 s[20:21], s[78:79]
	s_cbranch_execz .LBB6_381
; %bb.376:                              ;   in Loop: Header=BB6_129 Depth=2
	v_cmp_ne_u64_e32 vcc, 0, v[27:28]
                                        ; implicit-def: $vgpr7
                                        ; kill: killed $vgpr7
	s_and_saveexec_b64 s[78:79], vcc
	s_xor_b64 s[78:79], exec, s[78:79]
	s_cbranch_execz .LBB6_378
; %bb.377:                              ;   in Loop: Header=BB6_129 Depth=2
	v_or_b32_sdwa v6, v6, s65 dst_sel:DWORD dst_unused:UNUSED_PAD src0_sel:BYTE_3 src1_sel:DWORD
	buffer_store_dword v6, off, s[0:3], s33 offset:116 ; 4-byte Folded Spill
                                        ; implicit-def: $vgpr6
.LBB6_378:                              ;   in Loop: Header=BB6_129 Depth=2
	s_andn2_saveexec_b64 s[78:79], s[78:79]
	s_cbranch_execz .LBB6_380
; %bb.379:                              ;   in Loop: Header=BB6_129 Depth=2
	v_cmp_lt_i32_e32 vcc, -1, v6
	v_bfrev_b32_e32 v6, 0.5
	v_mov_b32_e32 v7, 0x7c
	v_cndmask_b32_e32 v6, v6, v7, vcc
	buffer_store_dword v6, off, s[0:3], s33 offset:116 ; 4-byte Folded Spill
.LBB6_380:                              ;   in Loop: Header=BB6_129 Depth=2
	s_or_b64 exec, exec, s[78:79]
.LBB6_381:                              ;   in Loop: Header=BB6_129 Depth=2
	s_or_b64 exec, exec, s[20:21]
	v_cmp_lt_u64_e32 vcc, s[58:59], v[48:49]
	v_mov_b32_e32 v7, 0
	v_mov_b32_e32 v8, 0
	s_and_saveexec_b64 s[20:21], vcc
	s_cbranch_execz .LBB6_389
; %bb.382:                              ;   in Loop: Header=BB6_129 Depth=2
	v_lshrrev_b32_e32 v6, 24, v49
	v_cmp_ne_u32_e32 vcc, s55, v6
	v_bfrev_b32_e32 v8, 1
	s_and_saveexec_b64 s[78:79], vcc
	s_cbranch_execz .LBB6_388
; %bb.383:                              ;   in Loop: Header=BB6_129 Depth=2
	v_and_b32_e32 v8, 0x7c000000, v49
	v_bfe_u32 v26, v49, 24, 2
	v_cmp_ne_u32_e32 vcc, s67, v8
                                        ; implicit-def: $vgpr8
	s_and_saveexec_b64 s[88:89], vcc
	s_xor_b64 s[88:89], exec, s[88:89]
	s_cbranch_execz .LBB6_385
; %bb.384:                              ;   in Loop: Header=BB6_129 Depth=2
	v_ffbh_u32_e32 v27, v26
	v_min_u32_e32 v27, 32, v27
	v_subrev_u32_e32 v29, 29, v27
	v_lshlrev_b64 v[29:30], v29, v[6:7]
	v_bfe_u32 v8, v49, 26, 5
	v_sub_u32_e32 v6, 30, v27
	v_and_b32_e32 v27, 3, v29
	v_cmp_eq_u32_e32 vcc, 0, v8
	v_cndmask_b32_e32 v6, v8, v6, vcc
	v_cndmask_b32_e32 v8, v26, v27, vcc
	v_and_b32_e32 v26, 0x80000000, v49
	v_lshl_add_u32 v6, v6, 23, v26
	v_lshl_or_b32 v6, v8, 21, v6
	v_add_u32_e32 v8, 0x38000000, v6
                                        ; implicit-def: $vgpr26
.LBB6_385:                              ;   in Loop: Header=BB6_129 Depth=2
	s_andn2_saveexec_b64 s[88:89], s[88:89]
; %bb.386:                              ;   in Loop: Header=BB6_129 Depth=2
	v_cmp_lt_i64_e32 vcc, -1, v[48:49]
	v_mov_b32_e32 v6, 0xff800000
	v_mov_b32_e32 v8, 0x7f800000
	v_cndmask_b32_e32 v6, v6, v8, vcc
	v_cmp_eq_u32_e32 vcc, 0, v26
	v_mov_b32_e32 v8, 0x7f800001
	v_cndmask_b32_e32 v8, v8, v6, vcc
; %bb.387:                              ;   in Loop: Header=BB6_129 Depth=2
	s_or_b64 exec, exec, s[88:89]
.LBB6_388:                              ;   in Loop: Header=BB6_129 Depth=2
	s_or_b64 exec, exec, s[78:79]
.LBB6_389:                              ;   in Loop: Header=BB6_129 Depth=2
	s_or_b64 exec, exec, s[20:21]
	v_cmp_lt_u64_e32 vcc, s[58:59], v[36:37]
	s_and_saveexec_b64 s[20:21], vcc
	s_cbranch_execz .LBB6_397
; %bb.390:                              ;   in Loop: Header=BB6_129 Depth=2
	v_lshrrev_b32_e32 v6, 24, v37
	v_cmp_ne_u32_e32 vcc, s55, v6
	v_bfrev_b32_e32 v7, 1
	s_and_saveexec_b64 s[78:79], vcc
	s_cbranch_execz .LBB6_396
; %bb.391:                              ;   in Loop: Header=BB6_129 Depth=2
	v_and_b32_e32 v7, 0x7c000000, v37
	v_bfe_u32 v26, v37, 24, 2
	v_cmp_ne_u32_e32 vcc, s67, v7
                                        ; implicit-def: $vgpr7
	s_and_saveexec_b64 s[88:89], vcc
	s_xor_b64 s[88:89], exec, s[88:89]
	s_cbranch_execz .LBB6_393
; %bb.392:                              ;   in Loop: Header=BB6_129 Depth=2
	v_ffbh_u32_e32 v7, v26
	v_min_u32_e32 v29, 32, v7
	v_subrev_u32_e32 v7, 29, v29
	v_lshlrev_b64 v[6:7], v7, v[6:7]
	v_bfe_u32 v27, v37, 26, 5
	v_sub_u32_e32 v7, 30, v29
	v_and_b32_e32 v6, 3, v6
	v_cmp_eq_u32_e32 vcc, 0, v27
	v_cndmask_b32_e32 v7, v27, v7, vcc
	v_cndmask_b32_e32 v6, v26, v6, vcc
	v_and_b32_e32 v26, 0x80000000, v37
	v_lshl_add_u32 v7, v7, 23, v26
	v_lshl_or_b32 v6, v6, 21, v7
	v_add_u32_e32 v7, 0x38000000, v6
                                        ; implicit-def: $vgpr26
.LBB6_393:                              ;   in Loop: Header=BB6_129 Depth=2
	s_andn2_saveexec_b64 s[88:89], s[88:89]
; %bb.394:                              ;   in Loop: Header=BB6_129 Depth=2
	v_cmp_lt_i64_e32 vcc, -1, v[36:37]
	v_mov_b32_e32 v6, 0xff800000
	v_mov_b32_e32 v7, 0x7f800000
	v_cndmask_b32_e32 v6, v6, v7, vcc
	v_cmp_eq_u32_e32 vcc, 0, v26
	v_mov_b32_e32 v7, 0x7f800001
	v_cndmask_b32_e32 v7, v7, v6, vcc
; %bb.395:                              ;   in Loop: Header=BB6_129 Depth=2
	s_or_b64 exec, exec, s[88:89]
.LBB6_396:                              ;   in Loop: Header=BB6_129 Depth=2
	s_or_b64 exec, exec, s[78:79]
.LBB6_397:                              ;   in Loop: Header=BB6_129 Depth=2
	s_or_b64 exec, exec, s[20:21]
	v_mul_f32_e32 v6, v8, v7
	v_and_b32_e32 v7, 0x7f800000, v6
	v_mov_b32_e32 v8, v28
	v_cmp_ne_u64_e32 vcc, s[60:61], v[7:8]
	v_and_b32_e32 v27, 0x7fffff, v6
                                        ; implicit-def: $vgpr7
                                        ; kill: killed $vgpr7
	s_and_saveexec_b64 s[20:21], vcc
	s_xor_b64 s[78:79], exec, s[20:21]
	s_cbranch_execz .LBB6_411
; %bb.398:                              ;   in Loop: Header=BB6_129 Depth=2
	v_and_b32_e32 v7, 0x7fffffff, v6
	v_mov_b32_e32 v8, v28
	v_cmp_gt_u64_e32 vcc, s[62:63], v[7:8]
	v_and_b32_sdwa v26, v6, s55 dst_sel:DWORD dst_unused:UNUSED_PAD src0_sel:BYTE_3 src1_sel:DWORD
                                        ; implicit-def: $vgpr7
                                        ; kill: killed $vgpr7
	s_and_saveexec_b64 s[20:21], vcc
	s_xor_b64 s[88:89], exec, s[20:21]
	s_cbranch_execz .LBB6_408
; %bb.399:                              ;   in Loop: Header=BB6_129 Depth=2
	v_mov_b32_e32 v7, 0
	v_cmp_ne_u32_e32 vcc, 0, v6
	buffer_store_dword v7, off, s[0:3], s33 offset:124 ; 4-byte Folded Spill
	s_and_saveexec_b64 s[90:91], vcc
	s_cbranch_execz .LBB6_407
; %bb.400:                              ;   in Loop: Header=BB6_129 Depth=2
	v_bfe_u32 v29, v6, 23, 8
	v_cmp_gt_u32_e64 s[20:21], s64, v29
	v_sub_u32_e32 v6, 0x71, v29
	v_cmp_eq_u32_e32 vcc, 0, v29
	v_cndmask_b32_e64 v6, 0, v6, s[20:21]
	v_mov_b32_e32 v8, 0x70
	v_cndmask_b32_e32 v30, v6, v8, vcc
	v_add_u32_e32 v8, 21, v30
	v_or_b32_e32 v7, 0x800000, v27
	v_lshlrev_b64 v[36:37], v8, -1
	v_cndmask_b32_e32 v6, v7, v27, vcc
	v_mov_b32_e32 v7, v28
	v_add_u32_e32 v8, 20, v30
	v_bfi_b32 v36, v36, 0, v6
	v_lshlrev_b64 v[48:49], v8, 1
	v_lshrrev_b64 v[6:7], v30, v[6:7]
	v_bfi_b32 v37, v37, 0, 0
	v_cmp_eq_u64_e64 s[20:21], v[36:37], v[48:49]
	v_mov_b32_e32 v8, v7
	v_mov_b32_e32 v7, v6
	s_and_saveexec_b64 s[92:93], s[20:21]
; %bb.401:                              ;   in Loop: Header=BB6_129 Depth=2
	v_bfe_u32 v7, v6, 21, 1
	v_add_co_u32_e64 v7, s[20:21], v6, v7
	v_add_co_u32_e64 v7, s[20:21], -1, v7
; %bb.402:                              ;   in Loop: Header=BB6_129 Depth=2
	s_or_b64 exec, exec, s[92:93]
	v_add_u32_e32 v8, 0xffffff81, v29
	v_mov_b32_e32 v27, 0xffffff82
	v_cndmask_b32_e32 v8, v8, v27, vcc
	v_lshrrev_b32_e32 v27, 23, v6
	v_add3_u32 v30, v30, v8, v27
	v_add_u32_e32 v29, 14, v30
	v_and_b32_e32 v7, 0x1fffff, v7
	v_add_u32_e32 v27, v7, v6
	v_cmp_ne_u32_e32 vcc, 0, v29
                                        ; implicit-def: $vgpr6_vgpr7
                                        ; implicit-def: $vgpr8
	s_and_saveexec_b64 s[20:21], vcc
	s_xor_b64 s[20:21], exec, s[20:21]
; %bb.403:                              ;   in Loop: Header=BB6_129 Depth=2
	v_cmp_lt_u64_e32 vcc, s[72:73], v[27:28]
	v_add_u32_e32 v6, 15, v30
	v_cndmask_b32_e32 v8, v29, v6, vcc
	v_cndmask_b32_e64 v6, 0, 1, vcc
	v_lshrrev_b64 v[6:7], v6, v[27:28]
; %bb.404:                              ;   in Loop: Header=BB6_129 Depth=2
	s_andn2_saveexec_b64 s[20:21], s[20:21]
; %bb.405:                              ;   in Loop: Header=BB6_129 Depth=2
	v_mov_b32_e32 v6, v27
	v_mov_b32_e32 v7, v28
	v_bfe_u32 v8, v27, 23, 1
; %bb.406:                              ;   in Loop: Header=BB6_129 Depth=2
	s_or_b64 exec, exec, s[20:21]
	v_lshrrev_b64 v[6:7], 21, v[6:7]
	v_cmp_gt_i32_e32 vcc, 32, v8
	v_cndmask_b32_e32 v7, 0, v7, vcc
	v_cndmask_b32_e32 v6, 3, v6, vcc
	v_cmp_eq_u64_e64 s[20:21], 0, v[6:7]
	v_min_i32_e32 v7, 31, v8
	v_lshlrev_b32_e32 v7, 2, v7
	v_cmp_eq_u32_e32 vcc, 0, v8
	v_and_b32_e32 v7, 0xfc, v7
	v_and_or_b32 v6, v6, 3, v7
	s_and_b64 s[20:21], vcc, s[20:21]
	v_cndmask_b32_e64 v6, v6, 0, s[20:21]
	v_or_b32_e32 v6, v6, v26
	buffer_store_dword v6, off, s[0:3], s33 offset:124 ; 4-byte Folded Spill
.LBB6_407:                              ;   in Loop: Header=BB6_129 Depth=2
	s_or_b64 exec, exec, s[90:91]
                                        ; implicit-def: $vgpr26
.LBB6_408:                              ;   in Loop: Header=BB6_129 Depth=2
	s_andn2_saveexec_b64 s[20:21], s[88:89]
	s_cbranch_execz .LBB6_410
; %bb.409:                              ;   in Loop: Header=BB6_129 Depth=2
	v_or_b32_e32 v6, 0x7b, v26
	buffer_store_dword v6, off, s[0:3], s33 offset:124 ; 4-byte Folded Spill
.LBB6_410:                              ;   in Loop: Header=BB6_129 Depth=2
	s_or_b64 exec, exec, s[20:21]
                                        ; implicit-def: $vgpr6
.LBB6_411:                              ;   in Loop: Header=BB6_129 Depth=2
	s_andn2_saveexec_b64 s[20:21], s[78:79]
	s_cbranch_execz .LBB6_417
; %bb.412:                              ;   in Loop: Header=BB6_129 Depth=2
	v_cmp_ne_u64_e32 vcc, 0, v[27:28]
                                        ; implicit-def: $vgpr7
                                        ; kill: killed $vgpr7
	s_and_saveexec_b64 s[78:79], vcc
	s_xor_b64 s[78:79], exec, s[78:79]
	s_cbranch_execz .LBB6_414
; %bb.413:                              ;   in Loop: Header=BB6_129 Depth=2
	v_or_b32_sdwa v6, v6, s65 dst_sel:DWORD dst_unused:UNUSED_PAD src0_sel:BYTE_3 src1_sel:DWORD
	buffer_store_dword v6, off, s[0:3], s33 offset:124 ; 4-byte Folded Spill
                                        ; implicit-def: $vgpr6
.LBB6_414:                              ;   in Loop: Header=BB6_129 Depth=2
	s_andn2_saveexec_b64 s[78:79], s[78:79]
	s_cbranch_execz .LBB6_416
; %bb.415:                              ;   in Loop: Header=BB6_129 Depth=2
	v_cmp_lt_i32_e32 vcc, -1, v6
	v_bfrev_b32_e32 v6, 0.5
	v_mov_b32_e32 v7, 0x7c
	v_cndmask_b32_e32 v6, v6, v7, vcc
	buffer_store_dword v6, off, s[0:3], s33 offset:124 ; 4-byte Folded Spill
.LBB6_416:                              ;   in Loop: Header=BB6_129 Depth=2
	s_or_b64 exec, exec, s[78:79]
.LBB6_417:                              ;   in Loop: Header=BB6_129 Depth=2
	s_or_b64 exec, exec, s[20:21]
	v_cmp_ne_u16_sdwa s[78:79], v50, v28 src0_sel:BYTE_0 src1_sel:DWORD
	v_mov_b32_e32 v6, 0
	v_mov_b32_e32 v7, 0
	s_and_saveexec_b64 s[20:21], s[78:79]
	s_cbranch_execz .LBB6_425
; %bb.418:                              ;   in Loop: Header=BB6_129 Depth=2
	v_cmp_ne_u16_sdwa s[88:89], sext(v50), s52 src0_sel:BYTE_0 src1_sel:DWORD
	v_bfrev_b32_e32 v7, 1
	s_and_saveexec_b64 s[78:79], s[88:89]
	s_cbranch_execz .LBB6_424
; %bb.419:                              ;   in Loop: Header=BB6_129 Depth=2
	v_and_b32_e32 v7, 0x7c, v50
	v_and_b32_e32 v8, 3, v50
	v_cmp_ne_u32_e32 vcc, s53, v7
                                        ; implicit-def: $vgpr7
	s_and_saveexec_b64 s[88:89], vcc
	s_xor_b64 s[88:89], exec, s[88:89]
	s_cbranch_execz .LBB6_421
; %bb.420:                              ;   in Loop: Header=BB6_129 Depth=2
	v_ffbh_u32_e32 v26, v8
	v_min_u32_e32 v29, 32, v26
	v_subrev_u32_e32 v26, 29, v29
	v_lshlrev_b64 v[26:27], v26, v[50:51]
	v_bfe_u32 v7, v50, 2, 5
	v_and_b32_e32 v26, 3, v26
	v_cmp_eq_u32_e32 vcc, 0, v7
	v_sub_u32_e32 v27, 30, v29
	v_cndmask_b32_e32 v8, v8, v26, vcc
	v_lshlrev_b32_e32 v26, 24, v50
	v_cndmask_b32_e32 v7, v7, v27, vcc
	v_and_b32_e32 v26, 0x80000000, v26
	v_lshl_add_u32 v7, v7, 23, v26
	v_lshl_or_b32 v7, v8, 21, v7
	v_add_u32_e32 v7, 0x38000000, v7
                                        ; implicit-def: $vgpr8
.LBB6_421:                              ;   in Loop: Header=BB6_129 Depth=2
	s_andn2_saveexec_b64 s[88:89], s[88:89]
; %bb.422:                              ;   in Loop: Header=BB6_129 Depth=2
	v_mov_b32_e32 v7, -1
	v_cmp_gt_i16_sdwa vcc, sext(v50), v7 src0_sel:BYTE_0 src1_sel:DWORD
	v_mov_b32_e32 v7, 0xff800000
	v_mov_b32_e32 v26, 0x7f800000
	v_cndmask_b32_e32 v7, v7, v26, vcc
	v_cmp_eq_u32_e32 vcc, 0, v8
	v_mov_b32_e32 v8, 0x7f800001
	v_cndmask_b32_e32 v7, v8, v7, vcc
; %bb.423:                              ;   in Loop: Header=BB6_129 Depth=2
	s_or_b64 exec, exec, s[88:89]
.LBB6_424:                              ;   in Loop: Header=BB6_129 Depth=2
	s_or_b64 exec, exec, s[78:79]
.LBB6_425:                              ;   in Loop: Header=BB6_129 Depth=2
	s_or_b64 exec, exec, s[20:21]
	v_cmp_ne_u16_sdwa s[78:79], v38, v28 src0_sel:BYTE_0 src1_sel:DWORD
	s_and_saveexec_b64 s[20:21], s[78:79]
	s_cbranch_execz .LBB6_433
; %bb.426:                              ;   in Loop: Header=BB6_129 Depth=2
	v_cmp_ne_u16_sdwa s[88:89], sext(v38), s52 src0_sel:BYTE_0 src1_sel:DWORD
	v_bfrev_b32_e32 v6, 1
	s_and_saveexec_b64 s[78:79], s[88:89]
	s_cbranch_execz .LBB6_432
; %bb.427:                              ;   in Loop: Header=BB6_129 Depth=2
	v_and_b32_e32 v6, 0x7c, v38
	v_and_b32_e32 v8, 3, v38
	v_cmp_ne_u32_e32 vcc, s53, v6
                                        ; implicit-def: $vgpr6
	s_and_saveexec_b64 s[88:89], vcc
	s_xor_b64 s[88:89], exec, s[88:89]
	s_cbranch_execz .LBB6_429
; %bb.428:                              ;   in Loop: Header=BB6_129 Depth=2
	v_ffbh_u32_e32 v26, v8
	v_min_u32_e32 v29, 32, v26
	v_subrev_u32_e32 v26, 29, v29
	v_lshlrev_b64 v[26:27], v26, v[38:39]
	v_bfe_u32 v6, v38, 2, 5
	v_and_b32_e32 v26, 3, v26
	v_cmp_eq_u32_e32 vcc, 0, v6
	v_sub_u32_e32 v27, 30, v29
	v_cndmask_b32_e32 v8, v8, v26, vcc
	v_lshlrev_b32_e32 v26, 24, v38
	v_cndmask_b32_e32 v6, v6, v27, vcc
	v_and_b32_e32 v26, 0x80000000, v26
	v_lshl_add_u32 v6, v6, 23, v26
	v_lshl_or_b32 v6, v8, 21, v6
	v_add_u32_e32 v6, 0x38000000, v6
                                        ; implicit-def: $vgpr8
.LBB6_429:                              ;   in Loop: Header=BB6_129 Depth=2
	s_andn2_saveexec_b64 s[88:89], s[88:89]
; %bb.430:                              ;   in Loop: Header=BB6_129 Depth=2
	v_mov_b32_e32 v6, -1
	v_cmp_gt_i16_sdwa vcc, sext(v38), v6 src0_sel:BYTE_0 src1_sel:DWORD
	v_mov_b32_e32 v6, 0xff800000
	v_mov_b32_e32 v26, 0x7f800000
	v_cndmask_b32_e32 v6, v6, v26, vcc
	v_cmp_eq_u32_e32 vcc, 0, v8
	v_mov_b32_e32 v8, 0x7f800001
	v_cndmask_b32_e32 v6, v8, v6, vcc
; %bb.431:                              ;   in Loop: Header=BB6_129 Depth=2
	s_or_b64 exec, exec, s[88:89]
.LBB6_432:                              ;   in Loop: Header=BB6_129 Depth=2
	s_or_b64 exec, exec, s[78:79]
.LBB6_433:                              ;   in Loop: Header=BB6_129 Depth=2
	s_or_b64 exec, exec, s[20:21]
	v_mul_f32_e32 v6, v7, v6
	v_and_b32_e32 v7, 0x7f800000, v6
	v_mov_b32_e32 v8, v28
	v_cmp_ne_u64_e32 vcc, s[60:61], v[7:8]
	v_and_b32_e32 v27, 0x7fffff, v6
                                        ; implicit-def: $vgpr7
                                        ; kill: killed $vgpr7
	s_and_saveexec_b64 s[20:21], vcc
	s_xor_b64 s[78:79], exec, s[20:21]
	s_cbranch_execz .LBB6_447
; %bb.434:                              ;   in Loop: Header=BB6_129 Depth=2
	v_and_b32_e32 v7, 0x7fffffff, v6
	v_mov_b32_e32 v8, v28
	v_cmp_gt_u64_e32 vcc, s[62:63], v[7:8]
	v_and_b32_sdwa v26, v6, s55 dst_sel:DWORD dst_unused:UNUSED_PAD src0_sel:BYTE_3 src1_sel:DWORD
                                        ; implicit-def: $vgpr7
                                        ; kill: killed $vgpr7
	s_and_saveexec_b64 s[20:21], vcc
	s_xor_b64 s[88:89], exec, s[20:21]
	s_cbranch_execz .LBB6_444
; %bb.435:                              ;   in Loop: Header=BB6_129 Depth=2
	v_mov_b32_e32 v7, 0
	v_cmp_ne_u32_e32 vcc, 0, v6
	buffer_store_dword v7, off, s[0:3], s33 offset:132 ; 4-byte Folded Spill
	s_and_saveexec_b64 s[90:91], vcc
	s_cbranch_execz .LBB6_443
; %bb.436:                              ;   in Loop: Header=BB6_129 Depth=2
	v_bfe_u32 v29, v6, 23, 8
	v_cmp_gt_u32_e64 s[20:21], s64, v29
	v_sub_u32_e32 v6, 0x71, v29
	v_cmp_eq_u32_e32 vcc, 0, v29
	v_cndmask_b32_e64 v6, 0, v6, s[20:21]
	v_mov_b32_e32 v8, 0x70
	v_cndmask_b32_e32 v30, v6, v8, vcc
	v_add_u32_e32 v8, 21, v30
	v_or_b32_e32 v7, 0x800000, v27
	v_lshlrev_b64 v[36:37], v8, -1
	v_cndmask_b32_e32 v6, v7, v27, vcc
	v_mov_b32_e32 v7, v28
	v_add_u32_e32 v8, 20, v30
	v_bfi_b32 v36, v36, 0, v6
	v_lshlrev_b64 v[48:49], v8, 1
	v_lshrrev_b64 v[6:7], v30, v[6:7]
	v_bfi_b32 v37, v37, 0, 0
	v_cmp_eq_u64_e64 s[20:21], v[36:37], v[48:49]
	v_mov_b32_e32 v8, v7
	v_mov_b32_e32 v7, v6
	s_and_saveexec_b64 s[92:93], s[20:21]
; %bb.437:                              ;   in Loop: Header=BB6_129 Depth=2
	v_bfe_u32 v7, v6, 21, 1
	v_add_co_u32_e64 v7, s[20:21], v6, v7
	v_add_co_u32_e64 v7, s[20:21], -1, v7
; %bb.438:                              ;   in Loop: Header=BB6_129 Depth=2
	s_or_b64 exec, exec, s[92:93]
	v_add_u32_e32 v8, 0xffffff81, v29
	v_mov_b32_e32 v27, 0xffffff82
	v_cndmask_b32_e32 v8, v8, v27, vcc
	v_lshrrev_b32_e32 v27, 23, v6
	v_add3_u32 v30, v30, v8, v27
	v_add_u32_e32 v29, 14, v30
	v_and_b32_e32 v7, 0x1fffff, v7
	v_add_u32_e32 v27, v7, v6
	v_cmp_ne_u32_e32 vcc, 0, v29
                                        ; implicit-def: $vgpr6_vgpr7
                                        ; implicit-def: $vgpr8
	s_and_saveexec_b64 s[20:21], vcc
	s_xor_b64 s[20:21], exec, s[20:21]
; %bb.439:                              ;   in Loop: Header=BB6_129 Depth=2
	v_cmp_lt_u64_e32 vcc, s[72:73], v[27:28]
	v_add_u32_e32 v6, 15, v30
	v_cndmask_b32_e32 v8, v29, v6, vcc
	v_cndmask_b32_e64 v6, 0, 1, vcc
	v_lshrrev_b64 v[6:7], v6, v[27:28]
; %bb.440:                              ;   in Loop: Header=BB6_129 Depth=2
	s_andn2_saveexec_b64 s[20:21], s[20:21]
; %bb.441:                              ;   in Loop: Header=BB6_129 Depth=2
	v_mov_b32_e32 v6, v27
	v_mov_b32_e32 v7, v28
	v_bfe_u32 v8, v27, 23, 1
; %bb.442:                              ;   in Loop: Header=BB6_129 Depth=2
	s_or_b64 exec, exec, s[20:21]
	v_lshrrev_b64 v[6:7], 21, v[6:7]
	v_cmp_gt_i32_e32 vcc, 32, v8
	v_cndmask_b32_e32 v7, 0, v7, vcc
	v_cndmask_b32_e32 v6, 3, v6, vcc
	v_cmp_eq_u64_e64 s[20:21], 0, v[6:7]
	v_min_i32_e32 v7, 31, v8
	v_lshlrev_b32_e32 v7, 2, v7
	v_cmp_eq_u32_e32 vcc, 0, v8
	v_and_b32_e32 v7, 0xfc, v7
	v_and_or_b32 v6, v6, 3, v7
	s_and_b64 s[20:21], vcc, s[20:21]
	v_cndmask_b32_e64 v6, v6, 0, s[20:21]
	v_or_b32_e32 v6, v6, v26
	buffer_store_dword v6, off, s[0:3], s33 offset:132 ; 4-byte Folded Spill
.LBB6_443:                              ;   in Loop: Header=BB6_129 Depth=2
	s_or_b64 exec, exec, s[90:91]
                                        ; implicit-def: $vgpr26
.LBB6_444:                              ;   in Loop: Header=BB6_129 Depth=2
	s_andn2_saveexec_b64 s[20:21], s[88:89]
	s_cbranch_execz .LBB6_446
; %bb.445:                              ;   in Loop: Header=BB6_129 Depth=2
	v_or_b32_e32 v6, 0x7b, v26
	buffer_store_dword v6, off, s[0:3], s33 offset:132 ; 4-byte Folded Spill
.LBB6_446:                              ;   in Loop: Header=BB6_129 Depth=2
	s_or_b64 exec, exec, s[20:21]
                                        ; implicit-def: $vgpr6
.LBB6_447:                              ;   in Loop: Header=BB6_129 Depth=2
	s_andn2_saveexec_b64 s[20:21], s[78:79]
	s_cbranch_execz .LBB6_453
; %bb.448:                              ;   in Loop: Header=BB6_129 Depth=2
	v_cmp_ne_u64_e32 vcc, 0, v[27:28]
                                        ; implicit-def: $vgpr7
                                        ; kill: killed $vgpr7
	s_and_saveexec_b64 s[78:79], vcc
	s_xor_b64 s[78:79], exec, s[78:79]
	s_cbranch_execz .LBB6_450
; %bb.449:                              ;   in Loop: Header=BB6_129 Depth=2
	v_or_b32_sdwa v6, v6, s65 dst_sel:DWORD dst_unused:UNUSED_PAD src0_sel:BYTE_3 src1_sel:DWORD
	buffer_store_dword v6, off, s[0:3], s33 offset:132 ; 4-byte Folded Spill
                                        ; implicit-def: $vgpr6
.LBB6_450:                              ;   in Loop: Header=BB6_129 Depth=2
	s_andn2_saveexec_b64 s[78:79], s[78:79]
	s_cbranch_execz .LBB6_452
; %bb.451:                              ;   in Loop: Header=BB6_129 Depth=2
	v_cmp_lt_i32_e32 vcc, -1, v6
	v_bfrev_b32_e32 v6, 0.5
	v_mov_b32_e32 v7, 0x7c
	v_cndmask_b32_e32 v6, v6, v7, vcc
	buffer_store_dword v6, off, s[0:3], s33 offset:132 ; 4-byte Folded Spill
.LBB6_452:                              ;   in Loop: Header=BB6_129 Depth=2
	s_or_b64 exec, exec, s[78:79]
.LBB6_453:                              ;   in Loop: Header=BB6_129 Depth=2
	s_or_b64 exec, exec, s[20:21]
	v_lshrrev_b16_e32 v6, 8, v50
	v_cmp_ne_u16_e32 vcc, 0, v6
	v_mov_b32_e32 v8, 0
	v_mov_b32_e32 v26, 0
	s_and_saveexec_b64 s[20:21], vcc
	s_cbranch_execz .LBB6_461
; %bb.454:                              ;   in Loop: Header=BB6_129 Depth=2
	v_cmp_ne_u16_e32 vcc, s55, v6
	v_bfrev_b32_e32 v26, 1
	s_and_saveexec_b64 s[78:79], vcc
	s_cbranch_execz .LBB6_460
; %bb.455:                              ;   in Loop: Header=BB6_129 Depth=2
	v_and_b32_e32 v7, 0x7c, v6
	v_and_b32_e32 v27, 3, v6
	v_cmp_ne_u32_e32 vcc, s53, v7
                                        ; implicit-def: $vgpr26
	s_and_saveexec_b64 s[88:89], vcc
	s_xor_b64 s[88:89], exec, s[88:89]
	s_cbranch_execz .LBB6_457
; %bb.456:                              ;   in Loop: Header=BB6_129 Depth=2
	v_ffbh_u32_e32 v29, v27
	v_min_u32_e32 v29, 32, v29
	v_mov_b32_e32 v7, v28
	v_subrev_u32_e32 v30, 29, v29
	v_bfe_u32 v26, v6, 2, 5
	v_lshlrev_b64 v[6:7], v30, v[6:7]
	v_sub_u32_e32 v7, 30, v29
	v_cmp_eq_u32_e32 vcc, 0, v26
	v_cndmask_b32_e32 v7, v26, v7, vcc
	v_lshlrev_b32_e32 v26, 16, v50
	v_and_b32_e32 v6, 3, v6
	v_and_b32_e32 v26, 0x80000000, v26
	v_cndmask_b32_e32 v6, v27, v6, vcc
	v_lshl_add_u32 v7, v7, 23, v26
	v_lshl_or_b32 v6, v6, 21, v7
	v_add_u32_e32 v26, 0x38000000, v6
                                        ; implicit-def: $vgpr27
.LBB6_457:                              ;   in Loop: Header=BB6_129 Depth=2
	s_andn2_saveexec_b64 s[88:89], s[88:89]
; %bb.458:                              ;   in Loop: Header=BB6_129 Depth=2
	v_cmp_lt_i16_e32 vcc, -1, v50
	v_mov_b32_e32 v6, 0xff800000
	v_mov_b32_e32 v7, 0x7f800000
	v_cndmask_b32_e32 v6, v6, v7, vcc
	v_cmp_eq_u32_e32 vcc, 0, v27
	v_mov_b32_e32 v7, 0x7f800001
	v_cndmask_b32_e32 v26, v7, v6, vcc
; %bb.459:                              ;   in Loop: Header=BB6_129 Depth=2
	s_or_b64 exec, exec, s[88:89]
.LBB6_460:                              ;   in Loop: Header=BB6_129 Depth=2
	s_or_b64 exec, exec, s[78:79]
.LBB6_461:                              ;   in Loop: Header=BB6_129 Depth=2
	s_or_b64 exec, exec, s[20:21]
	v_lshrrev_b16_e32 v6, 8, v38
	v_cmp_ne_u16_e32 vcc, 0, v6
	s_and_saveexec_b64 s[20:21], vcc
	s_cbranch_execz .LBB6_469
; %bb.462:                              ;   in Loop: Header=BB6_129 Depth=2
	v_cmp_ne_u16_e32 vcc, s55, v6
	v_bfrev_b32_e32 v8, 1
	s_and_saveexec_b64 s[78:79], vcc
	s_cbranch_execz .LBB6_468
; %bb.463:                              ;   in Loop: Header=BB6_129 Depth=2
	v_and_b32_e32 v7, 0x7c, v6
	v_and_b32_e32 v27, 3, v6
	v_cmp_ne_u32_e32 vcc, s53, v7
                                        ; implicit-def: $vgpr8
	s_and_saveexec_b64 s[88:89], vcc
	s_xor_b64 s[88:89], exec, s[88:89]
	s_cbranch_execz .LBB6_465
; %bb.464:                              ;   in Loop: Header=BB6_129 Depth=2
	v_ffbh_u32_e32 v29, v27
	v_min_u32_e32 v29, 32, v29
	v_mov_b32_e32 v7, v28
	v_subrev_u32_e32 v30, 29, v29
	v_bfe_u32 v8, v6, 2, 5
	v_lshlrev_b64 v[6:7], v30, v[6:7]
	v_sub_u32_e32 v7, 30, v29
	v_cmp_eq_u32_e32 vcc, 0, v8
	v_cndmask_b32_e32 v7, v8, v7, vcc
	v_lshlrev_b32_e32 v8, 16, v38
	v_and_b32_e32 v6, 3, v6
	v_and_b32_e32 v8, 0x80000000, v8
	v_cndmask_b32_e32 v6, v27, v6, vcc
	v_lshl_add_u32 v7, v7, 23, v8
	v_lshl_or_b32 v6, v6, 21, v7
	v_add_u32_e32 v8, 0x38000000, v6
                                        ; implicit-def: $vgpr27
.LBB6_465:                              ;   in Loop: Header=BB6_129 Depth=2
	s_andn2_saveexec_b64 s[88:89], s[88:89]
; %bb.466:                              ;   in Loop: Header=BB6_129 Depth=2
	v_cmp_lt_i16_e32 vcc, -1, v38
	v_mov_b32_e32 v6, 0xff800000
	v_mov_b32_e32 v7, 0x7f800000
	v_cndmask_b32_e32 v6, v6, v7, vcc
	v_cmp_eq_u32_e32 vcc, 0, v27
	v_mov_b32_e32 v7, 0x7f800001
	v_cndmask_b32_e32 v8, v7, v6, vcc
; %bb.467:                              ;   in Loop: Header=BB6_129 Depth=2
	s_or_b64 exec, exec, s[88:89]
.LBB6_468:                              ;   in Loop: Header=BB6_129 Depth=2
	s_or_b64 exec, exec, s[78:79]
.LBB6_469:                              ;   in Loop: Header=BB6_129 Depth=2
	s_or_b64 exec, exec, s[20:21]
	v_mul_f32_e32 v6, v26, v8
	v_and_b32_e32 v7, 0x7f800000, v6
	v_mov_b32_e32 v8, v28
	v_cmp_ne_u64_e32 vcc, s[60:61], v[7:8]
	v_and_b32_e32 v27, 0x7fffff, v6
                                        ; implicit-def: $vgpr7
                                        ; kill: killed $vgpr7
	s_and_saveexec_b64 s[20:21], vcc
	s_xor_b64 s[78:79], exec, s[20:21]
	s_cbranch_execz .LBB6_483
; %bb.470:                              ;   in Loop: Header=BB6_129 Depth=2
	v_and_b32_e32 v7, 0x7fffffff, v6
	v_mov_b32_e32 v8, v28
	v_cmp_gt_u64_e32 vcc, s[62:63], v[7:8]
	v_and_b32_sdwa v26, v6, s55 dst_sel:DWORD dst_unused:UNUSED_PAD src0_sel:BYTE_3 src1_sel:DWORD
                                        ; implicit-def: $vgpr7
                                        ; kill: killed $vgpr7
	s_and_saveexec_b64 s[20:21], vcc
	s_xor_b64 s[88:89], exec, s[20:21]
	s_cbranch_execz .LBB6_480
; %bb.471:                              ;   in Loop: Header=BB6_129 Depth=2
	v_mov_b32_e32 v7, 0
	v_cmp_ne_u32_e32 vcc, 0, v6
	buffer_store_dword v7, off, s[0:3], s33 offset:140 ; 4-byte Folded Spill
	s_and_saveexec_b64 s[90:91], vcc
	s_cbranch_execz .LBB6_479
; %bb.472:                              ;   in Loop: Header=BB6_129 Depth=2
	v_bfe_u32 v29, v6, 23, 8
	v_cmp_gt_u32_e64 s[20:21], s64, v29
	v_sub_u32_e32 v6, 0x71, v29
	v_cmp_eq_u32_e32 vcc, 0, v29
	v_cndmask_b32_e64 v6, 0, v6, s[20:21]
	v_mov_b32_e32 v8, 0x70
	v_cndmask_b32_e32 v30, v6, v8, vcc
	v_add_u32_e32 v8, 21, v30
	v_or_b32_e32 v7, 0x800000, v27
	v_lshlrev_b64 v[36:37], v8, -1
	v_cndmask_b32_e32 v6, v7, v27, vcc
	v_mov_b32_e32 v7, v28
	v_add_u32_e32 v8, 20, v30
	v_bfi_b32 v36, v36, 0, v6
	v_lshlrev_b64 v[48:49], v8, 1
	v_lshrrev_b64 v[6:7], v30, v[6:7]
	v_bfi_b32 v37, v37, 0, 0
	v_cmp_eq_u64_e64 s[20:21], v[36:37], v[48:49]
	v_mov_b32_e32 v8, v7
	v_mov_b32_e32 v7, v6
	s_and_saveexec_b64 s[92:93], s[20:21]
; %bb.473:                              ;   in Loop: Header=BB6_129 Depth=2
	v_bfe_u32 v7, v6, 21, 1
	v_add_co_u32_e64 v7, s[20:21], v6, v7
	v_add_co_u32_e64 v7, s[20:21], -1, v7
; %bb.474:                              ;   in Loop: Header=BB6_129 Depth=2
	s_or_b64 exec, exec, s[92:93]
	v_add_u32_e32 v8, 0xffffff81, v29
	v_mov_b32_e32 v27, 0xffffff82
	v_cndmask_b32_e32 v8, v8, v27, vcc
	v_lshrrev_b32_e32 v27, 23, v6
	v_add3_u32 v30, v30, v8, v27
	v_add_u32_e32 v29, 14, v30
	v_and_b32_e32 v7, 0x1fffff, v7
	v_add_u32_e32 v27, v7, v6
	v_cmp_ne_u32_e32 vcc, 0, v29
                                        ; implicit-def: $vgpr6_vgpr7
                                        ; implicit-def: $vgpr8
	s_and_saveexec_b64 s[20:21], vcc
	s_xor_b64 s[20:21], exec, s[20:21]
; %bb.475:                              ;   in Loop: Header=BB6_129 Depth=2
	v_cmp_lt_u64_e32 vcc, s[72:73], v[27:28]
	v_add_u32_e32 v6, 15, v30
	v_cndmask_b32_e32 v8, v29, v6, vcc
	v_cndmask_b32_e64 v6, 0, 1, vcc
	v_lshrrev_b64 v[6:7], v6, v[27:28]
; %bb.476:                              ;   in Loop: Header=BB6_129 Depth=2
	s_andn2_saveexec_b64 s[20:21], s[20:21]
; %bb.477:                              ;   in Loop: Header=BB6_129 Depth=2
	v_mov_b32_e32 v6, v27
	v_mov_b32_e32 v7, v28
	v_bfe_u32 v8, v27, 23, 1
; %bb.478:                              ;   in Loop: Header=BB6_129 Depth=2
	s_or_b64 exec, exec, s[20:21]
	v_lshrrev_b64 v[6:7], 21, v[6:7]
	v_cmp_gt_i32_e32 vcc, 32, v8
	v_cndmask_b32_e32 v7, 0, v7, vcc
	v_cndmask_b32_e32 v6, 3, v6, vcc
	v_cmp_eq_u64_e64 s[20:21], 0, v[6:7]
	v_min_i32_e32 v7, 31, v8
	v_lshlrev_b32_e32 v7, 2, v7
	v_cmp_eq_u32_e32 vcc, 0, v8
	v_and_b32_e32 v7, 0xfc, v7
	v_and_or_b32 v6, v6, 3, v7
	s_and_b64 s[20:21], vcc, s[20:21]
	v_cndmask_b32_e64 v6, v6, 0, s[20:21]
	v_or_b32_e32 v6, v6, v26
	buffer_store_dword v6, off, s[0:3], s33 offset:140 ; 4-byte Folded Spill
.LBB6_479:                              ;   in Loop: Header=BB6_129 Depth=2
	s_or_b64 exec, exec, s[90:91]
                                        ; implicit-def: $vgpr26
.LBB6_480:                              ;   in Loop: Header=BB6_129 Depth=2
	s_andn2_saveexec_b64 s[20:21], s[88:89]
	s_cbranch_execz .LBB6_482
; %bb.481:                              ;   in Loop: Header=BB6_129 Depth=2
	v_or_b32_e32 v6, 0x7b, v26
	buffer_store_dword v6, off, s[0:3], s33 offset:140 ; 4-byte Folded Spill
.LBB6_482:                              ;   in Loop: Header=BB6_129 Depth=2
	s_or_b64 exec, exec, s[20:21]
                                        ; implicit-def: $vgpr6
.LBB6_483:                              ;   in Loop: Header=BB6_129 Depth=2
	s_andn2_saveexec_b64 s[20:21], s[78:79]
	s_cbranch_execz .LBB6_489
; %bb.484:                              ;   in Loop: Header=BB6_129 Depth=2
	v_cmp_ne_u64_e32 vcc, 0, v[27:28]
                                        ; implicit-def: $vgpr7
                                        ; kill: killed $vgpr7
	s_and_saveexec_b64 s[78:79], vcc
	s_xor_b64 s[78:79], exec, s[78:79]
	s_cbranch_execz .LBB6_486
; %bb.485:                              ;   in Loop: Header=BB6_129 Depth=2
	v_or_b32_sdwa v6, v6, s65 dst_sel:DWORD dst_unused:UNUSED_PAD src0_sel:BYTE_3 src1_sel:DWORD
	buffer_store_dword v6, off, s[0:3], s33 offset:140 ; 4-byte Folded Spill
                                        ; implicit-def: $vgpr6
.LBB6_486:                              ;   in Loop: Header=BB6_129 Depth=2
	s_andn2_saveexec_b64 s[78:79], s[78:79]
	s_cbranch_execz .LBB6_488
; %bb.487:                              ;   in Loop: Header=BB6_129 Depth=2
	v_cmp_lt_i32_e32 vcc, -1, v6
	v_bfrev_b32_e32 v6, 0.5
	v_mov_b32_e32 v7, 0x7c
	v_cndmask_b32_e32 v6, v6, v7, vcc
	buffer_store_dword v6, off, s[0:3], s33 offset:140 ; 4-byte Folded Spill
.LBB6_488:                              ;   in Loop: Header=BB6_129 Depth=2
	s_or_b64 exec, exec, s[78:79]
.LBB6_489:                              ;   in Loop: Header=BB6_129 Depth=2
	s_or_b64 exec, exec, s[20:21]
	v_lshrrev_b32_e32 v6, 16, v50
	v_cmp_ne_u16_sdwa s[78:79], v6, v28 src0_sel:BYTE_0 src1_sel:DWORD
	v_mov_b32_e32 v7, 0
	v_mov_b32_e32 v8, 0
	s_and_saveexec_b64 s[20:21], s[78:79]
	s_cbranch_execz .LBB6_497
; %bb.490:                              ;   in Loop: Header=BB6_129 Depth=2
	v_cmp_ne_u16_sdwa s[88:89], v6, s55 src0_sel:BYTE_0 src1_sel:DWORD
	v_bfrev_b32_e32 v8, 1
	s_and_saveexec_b64 s[78:79], s[88:89]
	s_cbranch_execz .LBB6_496
; %bb.491:                              ;   in Loop: Header=BB6_129 Depth=2
	v_and_b32_e32 v8, 0x7c0000, v50
	v_bfe_u32 v26, v50, 16, 2
	v_cmp_ne_u32_e32 vcc, s66, v8
                                        ; implicit-def: $vgpr8
	s_and_saveexec_b64 s[88:89], vcc
	s_xor_b64 s[88:89], exec, s[88:89]
	s_cbranch_execz .LBB6_493
; %bb.492:                              ;   in Loop: Header=BB6_129 Depth=2
	v_ffbh_u32_e32 v27, v26
	v_min_u32_e32 v27, 32, v27
	v_subrev_u32_e32 v29, 29, v27
	v_lshlrev_b64 v[29:30], v29, v[6:7]
	v_bfe_u32 v8, v50, 18, 5
	v_sub_u32_e32 v6, 30, v27
	v_and_b32_e32 v27, 3, v29
	v_cmp_eq_u32_e32 vcc, 0, v8
	v_cndmask_b32_e32 v6, v8, v6, vcc
	v_cndmask_b32_e32 v8, v26, v27, vcc
	v_lshlrev_b32_e32 v26, 8, v50
	v_and_b32_e32 v26, 0x80000000, v26
	v_lshl_add_u32 v6, v6, 23, v26
	v_lshl_or_b32 v6, v8, 21, v6
	v_add_u32_e32 v8, 0x38000000, v6
                                        ; implicit-def: $vgpr26
                                        ; implicit-def: $vgpr6
.LBB6_493:                              ;   in Loop: Header=BB6_129 Depth=2
	s_andn2_saveexec_b64 s[88:89], s[88:89]
; %bb.494:                              ;   in Loop: Header=BB6_129 Depth=2
	v_mov_b32_e32 v8, -1
	v_cmp_gt_i16_sdwa vcc, sext(v6), v8 src0_sel:BYTE_0 src1_sel:DWORD
	v_mov_b32_e32 v6, 0xff800000
	v_mov_b32_e32 v8, 0x7f800000
	v_cndmask_b32_e32 v6, v6, v8, vcc
	v_cmp_eq_u32_e32 vcc, 0, v26
	v_mov_b32_e32 v8, 0x7f800001
	v_cndmask_b32_e32 v8, v8, v6, vcc
; %bb.495:                              ;   in Loop: Header=BB6_129 Depth=2
	s_or_b64 exec, exec, s[88:89]
.LBB6_496:                              ;   in Loop: Header=BB6_129 Depth=2
	s_or_b64 exec, exec, s[78:79]
.LBB6_497:                              ;   in Loop: Header=BB6_129 Depth=2
	s_or_b64 exec, exec, s[20:21]
	v_lshrrev_b32_e32 v6, 16, v38
	v_cmp_ne_u16_sdwa s[78:79], v6, v28 src0_sel:BYTE_0 src1_sel:DWORD
	s_and_saveexec_b64 s[20:21], s[78:79]
	s_cbranch_execz .LBB6_505
; %bb.498:                              ;   in Loop: Header=BB6_129 Depth=2
	v_cmp_ne_u16_sdwa s[88:89], v6, s55 src0_sel:BYTE_0 src1_sel:DWORD
	v_bfrev_b32_e32 v7, 1
	s_and_saveexec_b64 s[78:79], s[88:89]
	s_cbranch_execz .LBB6_504
; %bb.499:                              ;   in Loop: Header=BB6_129 Depth=2
	v_and_b32_e32 v7, 0x7c0000, v38
	v_bfe_u32 v26, v38, 16, 2
	v_cmp_ne_u32_e32 vcc, s66, v7
                                        ; implicit-def: $vgpr7
	s_and_saveexec_b64 s[88:89], vcc
	s_xor_b64 s[88:89], exec, s[88:89]
	s_cbranch_execz .LBB6_501
; %bb.500:                              ;   in Loop: Header=BB6_129 Depth=2
	v_ffbh_u32_e32 v7, v26
	v_min_u32_e32 v29, 32, v7
	v_subrev_u32_e32 v7, 29, v29
	v_lshlrev_b64 v[6:7], v7, v[6:7]
	v_bfe_u32 v27, v38, 18, 5
	v_and_b32_e32 v6, 3, v6
	v_cmp_eq_u32_e32 vcc, 0, v27
	v_sub_u32_e32 v7, 30, v29
	v_cndmask_b32_e32 v6, v26, v6, vcc
	v_lshlrev_b32_e32 v26, 8, v38
	v_cndmask_b32_e32 v7, v27, v7, vcc
	v_and_b32_e32 v26, 0x80000000, v26
	v_lshl_add_u32 v7, v7, 23, v26
	v_lshl_or_b32 v6, v6, 21, v7
	v_add_u32_e32 v7, 0x38000000, v6
                                        ; implicit-def: $vgpr26
                                        ; implicit-def: $vgpr6
.LBB6_501:                              ;   in Loop: Header=BB6_129 Depth=2
	s_andn2_saveexec_b64 s[88:89], s[88:89]
; %bb.502:                              ;   in Loop: Header=BB6_129 Depth=2
	v_mov_b32_e32 v7, -1
	v_cmp_gt_i16_sdwa vcc, sext(v6), v7 src0_sel:BYTE_0 src1_sel:DWORD
	v_mov_b32_e32 v6, 0xff800000
	v_mov_b32_e32 v7, 0x7f800000
	v_cndmask_b32_e32 v6, v6, v7, vcc
	v_cmp_eq_u32_e32 vcc, 0, v26
	v_mov_b32_e32 v7, 0x7f800001
	v_cndmask_b32_e32 v7, v7, v6, vcc
; %bb.503:                              ;   in Loop: Header=BB6_129 Depth=2
	s_or_b64 exec, exec, s[88:89]
.LBB6_504:                              ;   in Loop: Header=BB6_129 Depth=2
	s_or_b64 exec, exec, s[78:79]
.LBB6_505:                              ;   in Loop: Header=BB6_129 Depth=2
	s_or_b64 exec, exec, s[20:21]
	v_mul_f32_e32 v6, v8, v7
	v_and_b32_e32 v7, 0x7f800000, v6
	v_mov_b32_e32 v8, v28
	v_cmp_ne_u64_e32 vcc, s[60:61], v[7:8]
	v_and_b32_e32 v27, 0x7fffff, v6
                                        ; implicit-def: $vgpr7
                                        ; kill: killed $vgpr7
	s_and_saveexec_b64 s[20:21], vcc
	s_xor_b64 s[78:79], exec, s[20:21]
	s_cbranch_execz .LBB6_519
; %bb.506:                              ;   in Loop: Header=BB6_129 Depth=2
	v_and_b32_e32 v7, 0x7fffffff, v6
	v_mov_b32_e32 v8, v28
	v_cmp_gt_u64_e32 vcc, s[62:63], v[7:8]
	v_and_b32_sdwa v26, v6, s55 dst_sel:DWORD dst_unused:UNUSED_PAD src0_sel:BYTE_3 src1_sel:DWORD
                                        ; implicit-def: $vgpr7
                                        ; kill: killed $vgpr7
	s_and_saveexec_b64 s[20:21], vcc
	s_xor_b64 s[88:89], exec, s[20:21]
	s_cbranch_execz .LBB6_516
; %bb.507:                              ;   in Loop: Header=BB6_129 Depth=2
	v_mov_b32_e32 v7, 0
	v_cmp_ne_u32_e32 vcc, 0, v6
	buffer_store_dword v7, off, s[0:3], s33 offset:148 ; 4-byte Folded Spill
	s_and_saveexec_b64 s[90:91], vcc
	s_cbranch_execz .LBB6_515
; %bb.508:                              ;   in Loop: Header=BB6_129 Depth=2
	v_bfe_u32 v29, v6, 23, 8
	v_cmp_gt_u32_e64 s[20:21], s64, v29
	v_sub_u32_e32 v6, 0x71, v29
	v_cmp_eq_u32_e32 vcc, 0, v29
	v_cndmask_b32_e64 v6, 0, v6, s[20:21]
	v_mov_b32_e32 v8, 0x70
	v_cndmask_b32_e32 v30, v6, v8, vcc
	v_add_u32_e32 v8, 21, v30
	v_or_b32_e32 v7, 0x800000, v27
	v_lshlrev_b64 v[36:37], v8, -1
	v_cndmask_b32_e32 v6, v7, v27, vcc
	v_mov_b32_e32 v7, v28
	v_add_u32_e32 v8, 20, v30
	v_bfi_b32 v36, v36, 0, v6
	v_lshlrev_b64 v[48:49], v8, 1
	v_lshrrev_b64 v[6:7], v30, v[6:7]
	v_bfi_b32 v37, v37, 0, 0
	v_cmp_eq_u64_e64 s[20:21], v[36:37], v[48:49]
	v_mov_b32_e32 v8, v7
	v_mov_b32_e32 v7, v6
	s_and_saveexec_b64 s[92:93], s[20:21]
; %bb.509:                              ;   in Loop: Header=BB6_129 Depth=2
	v_bfe_u32 v7, v6, 21, 1
	v_add_co_u32_e64 v7, s[20:21], v6, v7
	v_add_co_u32_e64 v7, s[20:21], -1, v7
; %bb.510:                              ;   in Loop: Header=BB6_129 Depth=2
	s_or_b64 exec, exec, s[92:93]
	v_add_u32_e32 v8, 0xffffff81, v29
	v_mov_b32_e32 v27, 0xffffff82
	v_cndmask_b32_e32 v8, v8, v27, vcc
	v_lshrrev_b32_e32 v27, 23, v6
	v_add3_u32 v30, v30, v8, v27
	v_add_u32_e32 v29, 14, v30
	v_and_b32_e32 v7, 0x1fffff, v7
	v_add_u32_e32 v27, v7, v6
	v_cmp_ne_u32_e32 vcc, 0, v29
                                        ; implicit-def: $vgpr6_vgpr7
                                        ; implicit-def: $vgpr8
	s_and_saveexec_b64 s[20:21], vcc
	s_xor_b64 s[20:21], exec, s[20:21]
; %bb.511:                              ;   in Loop: Header=BB6_129 Depth=2
	v_cmp_lt_u64_e32 vcc, s[72:73], v[27:28]
	v_add_u32_e32 v6, 15, v30
	v_cndmask_b32_e32 v8, v29, v6, vcc
	v_cndmask_b32_e64 v6, 0, 1, vcc
	v_lshrrev_b64 v[6:7], v6, v[27:28]
; %bb.512:                              ;   in Loop: Header=BB6_129 Depth=2
	s_andn2_saveexec_b64 s[20:21], s[20:21]
; %bb.513:                              ;   in Loop: Header=BB6_129 Depth=2
	v_mov_b32_e32 v6, v27
	v_mov_b32_e32 v7, v28
	v_bfe_u32 v8, v27, 23, 1
; %bb.514:                              ;   in Loop: Header=BB6_129 Depth=2
	s_or_b64 exec, exec, s[20:21]
	v_lshrrev_b64 v[6:7], 21, v[6:7]
	v_cmp_gt_i32_e32 vcc, 32, v8
	v_cndmask_b32_e32 v7, 0, v7, vcc
	v_cndmask_b32_e32 v6, 3, v6, vcc
	v_cmp_eq_u64_e64 s[20:21], 0, v[6:7]
	v_min_i32_e32 v7, 31, v8
	v_lshlrev_b32_e32 v7, 2, v7
	v_cmp_eq_u32_e32 vcc, 0, v8
	v_and_b32_e32 v7, 0xfc, v7
	v_and_or_b32 v6, v6, 3, v7
	s_and_b64 s[20:21], vcc, s[20:21]
	v_cndmask_b32_e64 v6, v6, 0, s[20:21]
	v_or_b32_e32 v6, v6, v26
	buffer_store_dword v6, off, s[0:3], s33 offset:148 ; 4-byte Folded Spill
.LBB6_515:                              ;   in Loop: Header=BB6_129 Depth=2
	s_or_b64 exec, exec, s[90:91]
                                        ; implicit-def: $vgpr26
.LBB6_516:                              ;   in Loop: Header=BB6_129 Depth=2
	s_andn2_saveexec_b64 s[20:21], s[88:89]
	s_cbranch_execz .LBB6_518
; %bb.517:                              ;   in Loop: Header=BB6_129 Depth=2
	v_or_b32_e32 v6, 0x7b, v26
	buffer_store_dword v6, off, s[0:3], s33 offset:148 ; 4-byte Folded Spill
.LBB6_518:                              ;   in Loop: Header=BB6_129 Depth=2
	s_or_b64 exec, exec, s[20:21]
                                        ; implicit-def: $vgpr6
.LBB6_519:                              ;   in Loop: Header=BB6_129 Depth=2
	s_andn2_saveexec_b64 s[20:21], s[78:79]
	s_cbranch_execz .LBB6_525
; %bb.520:                              ;   in Loop: Header=BB6_129 Depth=2
	v_cmp_ne_u64_e32 vcc, 0, v[27:28]
                                        ; implicit-def: $vgpr7
                                        ; kill: killed $vgpr7
	s_and_saveexec_b64 s[78:79], vcc
	s_xor_b64 s[78:79], exec, s[78:79]
	s_cbranch_execz .LBB6_522
; %bb.521:                              ;   in Loop: Header=BB6_129 Depth=2
	v_or_b32_sdwa v6, v6, s65 dst_sel:DWORD dst_unused:UNUSED_PAD src0_sel:BYTE_3 src1_sel:DWORD
	buffer_store_dword v6, off, s[0:3], s33 offset:148 ; 4-byte Folded Spill
                                        ; implicit-def: $vgpr6
.LBB6_522:                              ;   in Loop: Header=BB6_129 Depth=2
	s_andn2_saveexec_b64 s[78:79], s[78:79]
	s_cbranch_execz .LBB6_524
; %bb.523:                              ;   in Loop: Header=BB6_129 Depth=2
	v_cmp_lt_i32_e32 vcc, -1, v6
	v_bfrev_b32_e32 v6, 0.5
	v_mov_b32_e32 v7, 0x7c
	v_cndmask_b32_e32 v6, v6, v7, vcc
	buffer_store_dword v6, off, s[0:3], s33 offset:148 ; 4-byte Folded Spill
.LBB6_524:                              ;   in Loop: Header=BB6_129 Depth=2
	s_or_b64 exec, exec, s[78:79]
.LBB6_525:                              ;   in Loop: Header=BB6_129 Depth=2
	s_or_b64 exec, exec, s[20:21]
	v_cmp_lt_u32_e32 vcc, s59, v50
	v_mov_b32_e32 v7, 0
	v_mov_b32_e32 v8, 0
	s_and_saveexec_b64 s[20:21], vcc
	s_cbranch_execz .LBB6_533
; %bb.526:                              ;   in Loop: Header=BB6_129 Depth=2
	v_lshrrev_b32_e32 v6, 24, v50
	v_cmp_ne_u32_e32 vcc, s55, v6
	v_bfrev_b32_e32 v8, 1
	s_and_saveexec_b64 s[78:79], vcc
	s_cbranch_execz .LBB6_532
; %bb.527:                              ;   in Loop: Header=BB6_129 Depth=2
	v_and_b32_e32 v8, 0x7c000000, v50
	v_bfe_u32 v26, v50, 24, 2
	v_cmp_ne_u32_e32 vcc, s67, v8
                                        ; implicit-def: $vgpr8
	s_and_saveexec_b64 s[88:89], vcc
	s_xor_b64 s[88:89], exec, s[88:89]
	s_cbranch_execz .LBB6_529
; %bb.528:                              ;   in Loop: Header=BB6_129 Depth=2
	v_ffbh_u32_e32 v27, v26
	v_min_u32_e32 v27, 32, v27
	v_subrev_u32_e32 v29, 29, v27
	v_lshlrev_b64 v[29:30], v29, v[6:7]
	v_bfe_u32 v8, v50, 26, 5
	v_sub_u32_e32 v6, 30, v27
	v_and_b32_e32 v27, 3, v29
	v_cmp_eq_u32_e32 vcc, 0, v8
	v_cndmask_b32_e32 v6, v8, v6, vcc
	v_cndmask_b32_e32 v8, v26, v27, vcc
	v_and_b32_e32 v26, 0x80000000, v50
	v_lshl_add_u32 v6, v6, 23, v26
	v_lshl_or_b32 v6, v8, 21, v6
	v_add_u32_e32 v8, 0x38000000, v6
                                        ; implicit-def: $vgpr26
.LBB6_529:                              ;   in Loop: Header=BB6_129 Depth=2
	s_andn2_saveexec_b64 s[88:89], s[88:89]
; %bb.530:                              ;   in Loop: Header=BB6_129 Depth=2
	v_cmp_lt_i32_e32 vcc, -1, v50
	v_mov_b32_e32 v6, 0xff800000
	v_mov_b32_e32 v8, 0x7f800000
	v_cndmask_b32_e32 v6, v6, v8, vcc
	v_cmp_eq_u32_e32 vcc, 0, v26
	v_mov_b32_e32 v8, 0x7f800001
	v_cndmask_b32_e32 v8, v8, v6, vcc
; %bb.531:                              ;   in Loop: Header=BB6_129 Depth=2
	s_or_b64 exec, exec, s[88:89]
.LBB6_532:                              ;   in Loop: Header=BB6_129 Depth=2
	s_or_b64 exec, exec, s[78:79]
.LBB6_533:                              ;   in Loop: Header=BB6_129 Depth=2
	s_or_b64 exec, exec, s[20:21]
	v_cmp_lt_u32_e32 vcc, s59, v38
	s_and_saveexec_b64 s[20:21], vcc
	s_cbranch_execz .LBB6_541
; %bb.534:                              ;   in Loop: Header=BB6_129 Depth=2
	v_lshrrev_b32_e32 v6, 24, v38
	v_cmp_ne_u32_e32 vcc, s55, v6
	v_bfrev_b32_e32 v7, 1
	s_and_saveexec_b64 s[78:79], vcc
	s_cbranch_execz .LBB6_540
; %bb.535:                              ;   in Loop: Header=BB6_129 Depth=2
	v_and_b32_e32 v7, 0x7c000000, v38
	v_bfe_u32 v26, v38, 24, 2
	v_cmp_ne_u32_e32 vcc, s67, v7
                                        ; implicit-def: $vgpr7
	s_and_saveexec_b64 s[88:89], vcc
	s_xor_b64 s[88:89], exec, s[88:89]
	s_cbranch_execz .LBB6_537
; %bb.536:                              ;   in Loop: Header=BB6_129 Depth=2
	v_ffbh_u32_e32 v7, v26
	v_min_u32_e32 v29, 32, v7
	v_subrev_u32_e32 v7, 29, v29
	v_lshlrev_b64 v[6:7], v7, v[6:7]
	v_bfe_u32 v27, v38, 26, 5
	v_sub_u32_e32 v7, 30, v29
	v_and_b32_e32 v6, 3, v6
	v_cmp_eq_u32_e32 vcc, 0, v27
	v_cndmask_b32_e32 v7, v27, v7, vcc
	v_cndmask_b32_e32 v6, v26, v6, vcc
	v_and_b32_e32 v26, 0x80000000, v38
	v_lshl_add_u32 v7, v7, 23, v26
	v_lshl_or_b32 v6, v6, 21, v7
	v_add_u32_e32 v7, 0x38000000, v6
                                        ; implicit-def: $vgpr26
.LBB6_537:                              ;   in Loop: Header=BB6_129 Depth=2
	s_andn2_saveexec_b64 s[88:89], s[88:89]
; %bb.538:                              ;   in Loop: Header=BB6_129 Depth=2
	v_cmp_lt_i32_e32 vcc, -1, v38
	v_mov_b32_e32 v6, 0xff800000
	v_mov_b32_e32 v7, 0x7f800000
	v_cndmask_b32_e32 v6, v6, v7, vcc
	v_cmp_eq_u32_e32 vcc, 0, v26
	v_mov_b32_e32 v7, 0x7f800001
	v_cndmask_b32_e32 v7, v7, v6, vcc
; %bb.539:                              ;   in Loop: Header=BB6_129 Depth=2
	s_or_b64 exec, exec, s[88:89]
.LBB6_540:                              ;   in Loop: Header=BB6_129 Depth=2
	s_or_b64 exec, exec, s[78:79]
.LBB6_541:                              ;   in Loop: Header=BB6_129 Depth=2
	s_or_b64 exec, exec, s[20:21]
	v_mul_f32_e32 v6, v8, v7
	v_and_b32_e32 v7, 0x7f800000, v6
	v_mov_b32_e32 v8, v28
	v_cmp_ne_u64_e32 vcc, s[60:61], v[7:8]
	v_and_b32_e32 v27, 0x7fffff, v6
                                        ; implicit-def: $vgpr7
                                        ; kill: killed $vgpr7
	s_and_saveexec_b64 s[20:21], vcc
	s_xor_b64 s[78:79], exec, s[20:21]
	s_cbranch_execz .LBB6_555
; %bb.542:                              ;   in Loop: Header=BB6_129 Depth=2
	v_and_b32_e32 v7, 0x7fffffff, v6
	v_mov_b32_e32 v8, v28
	v_cmp_gt_u64_e32 vcc, s[62:63], v[7:8]
	v_and_b32_sdwa v26, v6, s55 dst_sel:DWORD dst_unused:UNUSED_PAD src0_sel:BYTE_3 src1_sel:DWORD
                                        ; implicit-def: $vgpr7
                                        ; kill: killed $vgpr7
	s_and_saveexec_b64 s[20:21], vcc
	s_xor_b64 s[88:89], exec, s[20:21]
	s_cbranch_execz .LBB6_552
; %bb.543:                              ;   in Loop: Header=BB6_129 Depth=2
	v_mov_b32_e32 v7, 0
	v_cmp_ne_u32_e32 vcc, 0, v6
	buffer_store_dword v7, off, s[0:3], s33 offset:156 ; 4-byte Folded Spill
	s_and_saveexec_b64 s[90:91], vcc
	s_cbranch_execz .LBB6_551
; %bb.544:                              ;   in Loop: Header=BB6_129 Depth=2
	v_bfe_u32 v29, v6, 23, 8
	v_cmp_gt_u32_e64 s[20:21], s64, v29
	v_sub_u32_e32 v6, 0x71, v29
	v_cmp_eq_u32_e32 vcc, 0, v29
	v_cndmask_b32_e64 v6, 0, v6, s[20:21]
	v_mov_b32_e32 v8, 0x70
	v_cndmask_b32_e32 v30, v6, v8, vcc
	v_add_u32_e32 v8, 21, v30
	v_or_b32_e32 v7, 0x800000, v27
	v_lshlrev_b64 v[36:37], v8, -1
	v_cndmask_b32_e32 v6, v7, v27, vcc
	v_mov_b32_e32 v7, v28
	v_add_u32_e32 v8, 20, v30
	v_bfi_b32 v36, v36, 0, v6
	v_lshlrev_b64 v[48:49], v8, 1
	v_lshrrev_b64 v[6:7], v30, v[6:7]
	v_bfi_b32 v37, v37, 0, 0
	v_cmp_eq_u64_e64 s[20:21], v[36:37], v[48:49]
	v_mov_b32_e32 v8, v7
	v_mov_b32_e32 v7, v6
	s_and_saveexec_b64 s[92:93], s[20:21]
; %bb.545:                              ;   in Loop: Header=BB6_129 Depth=2
	v_bfe_u32 v7, v6, 21, 1
	v_add_co_u32_e64 v7, s[20:21], v6, v7
	v_add_co_u32_e64 v7, s[20:21], -1, v7
; %bb.546:                              ;   in Loop: Header=BB6_129 Depth=2
	s_or_b64 exec, exec, s[92:93]
	v_add_u32_e32 v8, 0xffffff81, v29
	v_mov_b32_e32 v27, 0xffffff82
	v_cndmask_b32_e32 v8, v8, v27, vcc
	v_lshrrev_b32_e32 v27, 23, v6
	v_add3_u32 v30, v30, v8, v27
	v_add_u32_e32 v29, 14, v30
	v_and_b32_e32 v7, 0x1fffff, v7
	v_add_u32_e32 v27, v7, v6
	v_cmp_ne_u32_e32 vcc, 0, v29
                                        ; implicit-def: $vgpr6_vgpr7
                                        ; implicit-def: $vgpr8
	s_and_saveexec_b64 s[20:21], vcc
	s_xor_b64 s[20:21], exec, s[20:21]
; %bb.547:                              ;   in Loop: Header=BB6_129 Depth=2
	v_cmp_lt_u64_e32 vcc, s[72:73], v[27:28]
	v_add_u32_e32 v6, 15, v30
	v_cndmask_b32_e32 v8, v29, v6, vcc
	v_cndmask_b32_e64 v6, 0, 1, vcc
	v_lshrrev_b64 v[6:7], v6, v[27:28]
; %bb.548:                              ;   in Loop: Header=BB6_129 Depth=2
	s_andn2_saveexec_b64 s[20:21], s[20:21]
; %bb.549:                              ;   in Loop: Header=BB6_129 Depth=2
	v_mov_b32_e32 v6, v27
	v_mov_b32_e32 v7, v28
	v_bfe_u32 v8, v27, 23, 1
; %bb.550:                              ;   in Loop: Header=BB6_129 Depth=2
	s_or_b64 exec, exec, s[20:21]
	v_lshrrev_b64 v[6:7], 21, v[6:7]
	v_cmp_gt_i32_e32 vcc, 32, v8
	v_cndmask_b32_e32 v7, 0, v7, vcc
	v_cndmask_b32_e32 v6, 3, v6, vcc
	v_cmp_eq_u64_e64 s[20:21], 0, v[6:7]
	v_min_i32_e32 v7, 31, v8
	v_lshlrev_b32_e32 v7, 2, v7
	v_cmp_eq_u32_e32 vcc, 0, v8
	v_and_b32_e32 v7, 0xfc, v7
	v_and_or_b32 v6, v6, 3, v7
	s_and_b64 s[20:21], vcc, s[20:21]
	v_cndmask_b32_e64 v6, v6, 0, s[20:21]
	v_or_b32_e32 v6, v6, v26
	buffer_store_dword v6, off, s[0:3], s33 offset:156 ; 4-byte Folded Spill
.LBB6_551:                              ;   in Loop: Header=BB6_129 Depth=2
	s_or_b64 exec, exec, s[90:91]
                                        ; implicit-def: $vgpr26
.LBB6_552:                              ;   in Loop: Header=BB6_129 Depth=2
	s_andn2_saveexec_b64 s[20:21], s[88:89]
	s_cbranch_execz .LBB6_554
; %bb.553:                              ;   in Loop: Header=BB6_129 Depth=2
	v_or_b32_e32 v6, 0x7b, v26
	buffer_store_dword v6, off, s[0:3], s33 offset:156 ; 4-byte Folded Spill
.LBB6_554:                              ;   in Loop: Header=BB6_129 Depth=2
	s_or_b64 exec, exec, s[20:21]
                                        ; implicit-def: $vgpr6
.LBB6_555:                              ;   in Loop: Header=BB6_129 Depth=2
	s_andn2_saveexec_b64 s[20:21], s[78:79]
	s_cbranch_execz .LBB6_561
; %bb.556:                              ;   in Loop: Header=BB6_129 Depth=2
	v_cmp_ne_u64_e32 vcc, 0, v[27:28]
                                        ; implicit-def: $vgpr7
                                        ; kill: killed $vgpr7
	s_and_saveexec_b64 s[78:79], vcc
	s_xor_b64 s[78:79], exec, s[78:79]
	s_cbranch_execz .LBB6_558
; %bb.557:                              ;   in Loop: Header=BB6_129 Depth=2
	v_or_b32_sdwa v6, v6, s65 dst_sel:DWORD dst_unused:UNUSED_PAD src0_sel:BYTE_3 src1_sel:DWORD
	buffer_store_dword v6, off, s[0:3], s33 offset:156 ; 4-byte Folded Spill
                                        ; implicit-def: $vgpr6
.LBB6_558:                              ;   in Loop: Header=BB6_129 Depth=2
	s_andn2_saveexec_b64 s[78:79], s[78:79]
	s_cbranch_execz .LBB6_560
; %bb.559:                              ;   in Loop: Header=BB6_129 Depth=2
	v_cmp_lt_i32_e32 vcc, -1, v6
	v_bfrev_b32_e32 v6, 0.5
	v_mov_b32_e32 v7, 0x7c
	v_cndmask_b32_e32 v6, v6, v7, vcc
	buffer_store_dword v6, off, s[0:3], s33 offset:156 ; 4-byte Folded Spill
.LBB6_560:                              ;   in Loop: Header=BB6_129 Depth=2
	s_or_b64 exec, exec, s[78:79]
.LBB6_561:                              ;   in Loop: Header=BB6_129 Depth=2
	s_or_b64 exec, exec, s[20:21]
	v_mov_b32_e32 v27, v51
	v_cmp_ne_u16_sdwa s[78:79], v51, v28 src0_sel:BYTE_0 src1_sel:DWORD
	v_mov_b32_e32 v7, 0
	v_mov_b32_e32 v6, 0
	s_and_saveexec_b64 s[20:21], s[78:79]
	s_cbranch_execz .LBB6_569
; %bb.562:                              ;   in Loop: Header=BB6_129 Depth=2
	v_cmp_ne_u16_sdwa s[88:89], v51, s55 src0_sel:BYTE_0 src1_sel:DWORD
	v_bfrev_b32_e32 v6, 1
	s_and_saveexec_b64 s[78:79], s[88:89]
	s_cbranch_execz .LBB6_568
; %bb.563:                              ;   in Loop: Header=BB6_129 Depth=2
	v_and_b32_e32 v6, 0x7c, v51
	v_and_b32_e32 v8, 3, v51
	v_cmp_ne_u32_e32 vcc, s53, v6
                                        ; implicit-def: $vgpr6
	s_and_saveexec_b64 s[88:89], vcc
	s_xor_b64 s[88:89], exec, s[88:89]
	s_cbranch_execz .LBB6_565
; %bb.564:                              ;   in Loop: Header=BB6_129 Depth=2
	v_ffbh_u32_e32 v26, v8
	v_min_u32_e32 v26, 32, v26
	v_bfe_u32 v6, v51, 2, 5
	v_subrev_u32_e32 v29, 29, v26
	v_lshlrev_b64 v[29:30], v29, v[27:28]
	v_sub_u32_e32 v26, 30, v26
	v_cmp_eq_u32_e32 vcc, 0, v6
	v_cndmask_b32_e32 v6, v6, v26, vcc
	v_lshlrev_b32_e32 v26, 24, v51
	v_and_b32_e32 v29, 3, v29
	v_and_b32_e32 v26, 0x80000000, v26
	v_cndmask_b32_e32 v8, v8, v29, vcc
	v_lshl_add_u32 v6, v6, 23, v26
	v_lshl_or_b32 v6, v8, 21, v6
	v_add_u32_e32 v6, 0x38000000, v6
                                        ; implicit-def: $vgpr8
.LBB6_565:                              ;   in Loop: Header=BB6_129 Depth=2
	s_andn2_saveexec_b64 s[88:89], s[88:89]
; %bb.566:                              ;   in Loop: Header=BB6_129 Depth=2
	v_mov_b32_e32 v6, -1
	v_cmp_gt_i16_sdwa vcc, sext(v51), v6 src0_sel:BYTE_0 src1_sel:DWORD
	v_mov_b32_e32 v6, 0xff800000
	v_mov_b32_e32 v26, 0x7f800000
	v_cndmask_b32_e32 v6, v6, v26, vcc
	v_cmp_eq_u32_e32 vcc, 0, v8
	v_mov_b32_e32 v8, 0x7f800001
	v_cndmask_b32_e32 v6, v8, v6, vcc
; %bb.567:                              ;   in Loop: Header=BB6_129 Depth=2
	s_or_b64 exec, exec, s[88:89]
.LBB6_568:                              ;   in Loop: Header=BB6_129 Depth=2
	s_or_b64 exec, exec, s[78:79]
.LBB6_569:                              ;   in Loop: Header=BB6_129 Depth=2
	s_or_b64 exec, exec, s[20:21]
	v_cmp_ne_u16_sdwa s[78:79], v39, v28 src0_sel:BYTE_0 src1_sel:DWORD
	s_and_saveexec_b64 s[20:21], s[78:79]
	s_cbranch_execz .LBB6_577
; %bb.570:                              ;   in Loop: Header=BB6_129 Depth=2
	v_cmp_ne_u16_sdwa s[88:89], v39, s55 src0_sel:BYTE_0 src1_sel:DWORD
	v_bfrev_b32_e32 v7, 1
	s_and_saveexec_b64 s[78:79], s[88:89]
	s_cbranch_execz .LBB6_576
; %bb.571:                              ;   in Loop: Header=BB6_129 Depth=2
	v_and_b32_e32 v7, 0x7c, v39
	v_and_b32_e32 v8, 3, v39
	v_cmp_ne_u32_e32 vcc, s53, v7
                                        ; implicit-def: $vgpr7
	s_and_saveexec_b64 s[88:89], vcc
	s_xor_b64 s[88:89], exec, s[88:89]
	s_cbranch_execz .LBB6_573
; %bb.572:                              ;   in Loop: Header=BB6_129 Depth=2
	v_ffbh_u32_e32 v26, v8
	v_min_u32_e32 v26, 32, v26
	v_mov_b32_e32 v29, v39
	v_mov_b32_e32 v30, v28
	v_bfe_u32 v7, v39, 2, 5
	v_subrev_u32_e32 v31, 29, v26
	v_lshlrev_b64 v[29:30], v31, v[29:30]
	v_sub_u32_e32 v26, 30, v26
	v_cmp_eq_u32_e32 vcc, 0, v7
	v_cndmask_b32_e32 v7, v7, v26, vcc
	v_lshlrev_b32_e32 v26, 24, v39
	v_and_b32_e32 v29, 3, v29
	v_and_b32_e32 v26, 0x80000000, v26
	v_cndmask_b32_e32 v8, v8, v29, vcc
	v_lshl_add_u32 v7, v7, 23, v26
	v_lshl_or_b32 v7, v8, 21, v7
	v_add_u32_e32 v7, 0x38000000, v7
                                        ; implicit-def: $vgpr8
.LBB6_573:                              ;   in Loop: Header=BB6_129 Depth=2
	s_andn2_saveexec_b64 s[88:89], s[88:89]
; %bb.574:                              ;   in Loop: Header=BB6_129 Depth=2
	v_mov_b32_e32 v7, -1
	v_cmp_gt_i16_sdwa vcc, sext(v39), v7 src0_sel:BYTE_0 src1_sel:DWORD
	v_mov_b32_e32 v7, 0xff800000
	v_mov_b32_e32 v26, 0x7f800000
	v_cndmask_b32_e32 v7, v7, v26, vcc
	v_cmp_eq_u32_e32 vcc, 0, v8
	v_mov_b32_e32 v8, 0x7f800001
	v_cndmask_b32_e32 v7, v8, v7, vcc
; %bb.575:                              ;   in Loop: Header=BB6_129 Depth=2
	s_or_b64 exec, exec, s[88:89]
.LBB6_576:                              ;   in Loop: Header=BB6_129 Depth=2
	s_or_b64 exec, exec, s[78:79]
.LBB6_577:                              ;   in Loop: Header=BB6_129 Depth=2
	s_or_b64 exec, exec, s[20:21]
	v_mul_f32_e32 v8, v6, v7
	v_and_b32_e32 v29, 0x7f800000, v8
	v_mov_b32_e32 v30, v28
	v_cmp_ne_u64_e32 vcc, s[60:61], v[29:30]
	v_and_b32_e32 v6, 0x7fffff, v8
	v_mov_b32_e32 v7, v28
                                        ; implicit-def: $vgpr26
                                        ; kill: killed $vgpr26
	s_and_saveexec_b64 s[20:21], vcc
	s_xor_b64 s[78:79], exec, s[20:21]
	s_cbranch_execz .LBB6_591
; %bb.578:                              ;   in Loop: Header=BB6_129 Depth=2
	v_and_b32_e32 v29, 0x7fffffff, v8
	v_mov_b32_e32 v30, v28
	v_cmp_gt_u64_e32 vcc, s[62:63], v[29:30]
	v_and_b32_sdwa v26, v8, s55 dst_sel:DWORD dst_unused:UNUSED_PAD src0_sel:BYTE_3 src1_sel:DWORD
                                        ; implicit-def: $vgpr29
                                        ; kill: killed $vgpr29
	s_and_saveexec_b64 s[20:21], vcc
	s_xor_b64 s[88:89], exec, s[20:21]
	s_cbranch_execz .LBB6_588
; %bb.579:                              ;   in Loop: Header=BB6_129 Depth=2
	v_mov_b32_e32 v29, 0
	v_cmp_ne_u32_e32 vcc, 0, v8
	buffer_store_dword v29, off, s[0:3], s33 offset:164 ; 4-byte Folded Spill
	s_and_saveexec_b64 s[90:91], vcc
	s_cbranch_execz .LBB6_587
; %bb.580:                              ;   in Loop: Header=BB6_129 Depth=2
	v_bfe_u32 v29, v8, 23, 8
	v_cmp_gt_u32_e64 s[20:21], s64, v29
	v_sub_u32_e32 v8, 0x71, v29
	v_cmp_eq_u32_e32 vcc, 0, v29
	v_cndmask_b32_e64 v8, 0, v8, s[20:21]
	v_mov_b32_e32 v30, 0x70
	v_cndmask_b32_e32 v30, v8, v30, vcc
	v_add_u32_e32 v8, 21, v30
	v_or_b32_e32 v31, 0x800000, v6
	v_lshlrev_b64 v[36:37], v8, -1
	v_cndmask_b32_e32 v6, v31, v6, vcc
	v_add_u32_e32 v8, 20, v30
	v_bfi_b32 v36, v36, 0, v6
	v_lshlrev_b64 v[48:49], v8, 1
	v_lshrrev_b64 v[6:7], v30, v[6:7]
	v_bfi_b32 v37, v37, 0, 0
	v_cmp_eq_u64_e64 s[20:21], v[36:37], v[48:49]
	v_mov_b32_e32 v8, v7
	v_mov_b32_e32 v7, v6
	s_and_saveexec_b64 s[92:93], s[20:21]
; %bb.581:                              ;   in Loop: Header=BB6_129 Depth=2
	v_bfe_u32 v7, v6, 21, 1
	v_add_co_u32_e64 v7, s[20:21], v6, v7
	v_add_co_u32_e64 v7, s[20:21], -1, v7
; %bb.582:                              ;   in Loop: Header=BB6_129 Depth=2
	s_or_b64 exec, exec, s[92:93]
	v_add_u32_e32 v8, 0xffffff81, v29
	v_mov_b32_e32 v29, 0xffffff82
	v_cndmask_b32_e32 v8, v8, v29, vcc
	v_lshrrev_b32_e32 v29, 23, v6
	v_add3_u32 v30, v30, v8, v29
	v_add_u32_e32 v29, 14, v30
	v_and_b32_e32 v7, 0x1fffff, v7
	v_add_u32_e32 v6, v7, v6
	v_mov_b32_e32 v7, v28
	v_cmp_ne_u32_e32 vcc, 0, v29
                                        ; implicit-def: $vgpr8
	s_and_saveexec_b64 s[20:21], vcc
	s_xor_b64 s[20:21], exec, s[20:21]
; %bb.583:                              ;   in Loop: Header=BB6_129 Depth=2
	v_cmp_lt_u64_e32 vcc, s[72:73], v[6:7]
	v_add_u32_e32 v8, 15, v30
	v_cndmask_b32_e32 v8, v29, v8, vcc
	v_cndmask_b32_e64 v29, 0, 1, vcc
	v_lshrrev_b64 v[6:7], v29, v[6:7]
; %bb.584:                              ;   in Loop: Header=BB6_129 Depth=2
	s_andn2_saveexec_b64 s[20:21], s[20:21]
; %bb.585:                              ;   in Loop: Header=BB6_129 Depth=2
	v_bfe_u32 v8, v6, 23, 1
; %bb.586:                              ;   in Loop: Header=BB6_129 Depth=2
	s_or_b64 exec, exec, s[20:21]
	v_lshrrev_b64 v[6:7], 21, v[6:7]
	v_cmp_gt_i32_e32 vcc, 32, v8
	v_cndmask_b32_e32 v7, 0, v7, vcc
	v_cndmask_b32_e32 v6, 3, v6, vcc
	v_cmp_eq_u64_e64 s[20:21], 0, v[6:7]
	v_min_i32_e32 v7, 31, v8
	v_lshlrev_b32_e32 v7, 2, v7
	v_cmp_eq_u32_e32 vcc, 0, v8
	v_and_b32_e32 v7, 0xfc, v7
	v_and_or_b32 v6, v6, 3, v7
	s_and_b64 s[20:21], vcc, s[20:21]
	v_cndmask_b32_e64 v6, v6, 0, s[20:21]
	v_or_b32_e32 v6, v6, v26
	buffer_store_dword v6, off, s[0:3], s33 offset:164 ; 4-byte Folded Spill
.LBB6_587:                              ;   in Loop: Header=BB6_129 Depth=2
	s_or_b64 exec, exec, s[90:91]
                                        ; implicit-def: $vgpr26
.LBB6_588:                              ;   in Loop: Header=BB6_129 Depth=2
	s_andn2_saveexec_b64 s[20:21], s[88:89]
	s_cbranch_execz .LBB6_590
; %bb.589:                              ;   in Loop: Header=BB6_129 Depth=2
	v_or_b32_e32 v6, 0x7b, v26
	buffer_store_dword v6, off, s[0:3], s33 offset:164 ; 4-byte Folded Spill
.LBB6_590:                              ;   in Loop: Header=BB6_129 Depth=2
	s_or_b64 exec, exec, s[20:21]
                                        ; implicit-def: $vgpr8
                                        ; implicit-def: $vgpr6_vgpr7
.LBB6_591:                              ;   in Loop: Header=BB6_129 Depth=2
	s_andn2_saveexec_b64 s[20:21], s[78:79]
	s_cbranch_execz .LBB6_597
; %bb.592:                              ;   in Loop: Header=BB6_129 Depth=2
	v_cmp_ne_u64_e32 vcc, 0, v[6:7]
                                        ; implicit-def: $vgpr6
                                        ; kill: killed $vgpr6
	s_and_saveexec_b64 s[78:79], vcc
	s_xor_b64 s[78:79], exec, s[78:79]
	s_cbranch_execz .LBB6_594
; %bb.593:                              ;   in Loop: Header=BB6_129 Depth=2
	v_or_b32_sdwa v6, v8, s65 dst_sel:DWORD dst_unused:UNUSED_PAD src0_sel:BYTE_3 src1_sel:DWORD
	buffer_store_dword v6, off, s[0:3], s33 offset:164 ; 4-byte Folded Spill
                                        ; implicit-def: $vgpr8
.LBB6_594:                              ;   in Loop: Header=BB6_129 Depth=2
	s_andn2_saveexec_b64 s[78:79], s[78:79]
	s_cbranch_execz .LBB6_596
; %bb.595:                              ;   in Loop: Header=BB6_129 Depth=2
	v_cmp_lt_i32_e32 vcc, -1, v8
	v_bfrev_b32_e32 v6, 0.5
	v_mov_b32_e32 v7, 0x7c
	v_cndmask_b32_e32 v6, v6, v7, vcc
	buffer_store_dword v6, off, s[0:3], s33 offset:164 ; 4-byte Folded Spill
.LBB6_596:                              ;   in Loop: Header=BB6_129 Depth=2
	s_or_b64 exec, exec, s[78:79]
.LBB6_597:                              ;   in Loop: Header=BB6_129 Depth=2
	s_or_b64 exec, exec, s[20:21]
	v_lshrrev_b16_e32 v6, 8, v27
	v_cmp_ne_u16_e32 vcc, 0, v6
	v_mov_b32_e32 v8, 0
	v_mov_b32_e32 v26, 0
	s_and_saveexec_b64 s[20:21], vcc
	s_cbranch_execz .LBB6_605
; %bb.598:                              ;   in Loop: Header=BB6_129 Depth=2
	v_cmp_ne_u16_e32 vcc, s55, v6
	v_bfrev_b32_e32 v26, 1
	s_and_saveexec_b64 s[78:79], vcc
	s_cbranch_execz .LBB6_604
; %bb.599:                              ;   in Loop: Header=BB6_129 Depth=2
	v_and_b32_e32 v7, 0x7c, v6
	v_and_b32_e32 v29, 3, v6
	v_cmp_ne_u32_e32 vcc, s53, v7
                                        ; implicit-def: $vgpr26
	s_and_saveexec_b64 s[88:89], vcc
	s_xor_b64 s[88:89], exec, s[88:89]
	s_cbranch_execz .LBB6_601
; %bb.600:                              ;   in Loop: Header=BB6_129 Depth=2
	v_ffbh_u32_e32 v30, v29
	v_min_u32_e32 v30, 32, v30
	v_mov_b32_e32 v7, v28
	v_subrev_u32_e32 v31, 29, v30
	v_bfe_u32 v26, v6, 2, 5
	v_lshlrev_b64 v[6:7], v31, v[6:7]
	v_sub_u32_e32 v7, 30, v30
	v_cmp_eq_u32_e32 vcc, 0, v26
	v_cndmask_b32_e32 v7, v26, v7, vcc
	v_lshlrev_b32_e32 v26, 16, v27
	v_and_b32_e32 v6, 3, v6
	v_and_b32_e32 v26, 0x80000000, v26
	v_cndmask_b32_e32 v6, v29, v6, vcc
	v_lshl_add_u32 v7, v7, 23, v26
	v_lshl_or_b32 v6, v6, 21, v7
	v_add_u32_e32 v26, 0x38000000, v6
                                        ; implicit-def: $vgpr29
.LBB6_601:                              ;   in Loop: Header=BB6_129 Depth=2
	s_andn2_saveexec_b64 s[88:89], s[88:89]
; %bb.602:                              ;   in Loop: Header=BB6_129 Depth=2
	v_cmp_lt_i16_e32 vcc, -1, v27
	v_mov_b32_e32 v6, 0xff800000
	v_mov_b32_e32 v7, 0x7f800000
	v_cndmask_b32_e32 v6, v6, v7, vcc
	v_cmp_eq_u32_e32 vcc, 0, v29
	v_mov_b32_e32 v7, 0x7f800001
	v_cndmask_b32_e32 v26, v7, v6, vcc
; %bb.603:                              ;   in Loop: Header=BB6_129 Depth=2
	s_or_b64 exec, exec, s[88:89]
.LBB6_604:                              ;   in Loop: Header=BB6_129 Depth=2
	s_or_b64 exec, exec, s[78:79]
.LBB6_605:                              ;   in Loop: Header=BB6_129 Depth=2
	s_or_b64 exec, exec, s[20:21]
	v_lshrrev_b16_e32 v6, 8, v39
	v_cmp_ne_u16_e32 vcc, 0, v6
	s_and_saveexec_b64 s[20:21], vcc
	s_cbranch_execz .LBB6_613
; %bb.606:                              ;   in Loop: Header=BB6_129 Depth=2
	v_cmp_ne_u16_e32 vcc, s55, v6
	v_bfrev_b32_e32 v8, 1
	s_and_saveexec_b64 s[78:79], vcc
	s_cbranch_execz .LBB6_612
; %bb.607:                              ;   in Loop: Header=BB6_129 Depth=2
	v_and_b32_e32 v7, 0x7c, v6
	v_and_b32_e32 v27, 3, v6
	v_cmp_ne_u32_e32 vcc, s53, v7
                                        ; implicit-def: $vgpr8
	s_and_saveexec_b64 s[88:89], vcc
	s_xor_b64 s[88:89], exec, s[88:89]
	s_cbranch_execz .LBB6_609
; %bb.608:                              ;   in Loop: Header=BB6_129 Depth=2
	v_ffbh_u32_e32 v29, v27
	v_min_u32_e32 v29, 32, v29
	v_mov_b32_e32 v7, v28
	v_subrev_u32_e32 v30, 29, v29
	v_bfe_u32 v8, v6, 2, 5
	v_lshlrev_b64 v[6:7], v30, v[6:7]
	v_sub_u32_e32 v7, 30, v29
	v_cmp_eq_u32_e32 vcc, 0, v8
	v_cndmask_b32_e32 v7, v8, v7, vcc
	v_lshlrev_b32_e32 v8, 16, v39
	v_and_b32_e32 v6, 3, v6
	v_and_b32_e32 v8, 0x80000000, v8
	v_cndmask_b32_e32 v6, v27, v6, vcc
	v_lshl_add_u32 v7, v7, 23, v8
	v_lshl_or_b32 v6, v6, 21, v7
	v_add_u32_e32 v8, 0x38000000, v6
                                        ; implicit-def: $vgpr27
.LBB6_609:                              ;   in Loop: Header=BB6_129 Depth=2
	s_andn2_saveexec_b64 s[88:89], s[88:89]
; %bb.610:                              ;   in Loop: Header=BB6_129 Depth=2
	v_cmp_lt_i16_e32 vcc, -1, v39
	v_mov_b32_e32 v6, 0xff800000
	v_mov_b32_e32 v7, 0x7f800000
	v_cndmask_b32_e32 v6, v6, v7, vcc
	v_cmp_eq_u32_e32 vcc, 0, v27
	v_mov_b32_e32 v7, 0x7f800001
	v_cndmask_b32_e32 v8, v7, v6, vcc
; %bb.611:                              ;   in Loop: Header=BB6_129 Depth=2
	s_or_b64 exec, exec, s[88:89]
.LBB6_612:                              ;   in Loop: Header=BB6_129 Depth=2
	s_or_b64 exec, exec, s[78:79]
.LBB6_613:                              ;   in Loop: Header=BB6_129 Depth=2
	s_or_b64 exec, exec, s[20:21]
	v_mul_f32_e32 v6, v26, v8
	v_and_b32_e32 v7, 0x7f800000, v6
	v_mov_b32_e32 v8, v28
	v_cmp_ne_u64_e32 vcc, s[60:61], v[7:8]
	v_and_b32_e32 v27, 0x7fffff, v6
                                        ; implicit-def: $vgpr7
                                        ; kill: killed $vgpr7
	s_and_saveexec_b64 s[20:21], vcc
	s_xor_b64 s[78:79], exec, s[20:21]
	s_cbranch_execz .LBB6_627
; %bb.614:                              ;   in Loop: Header=BB6_129 Depth=2
	v_and_b32_e32 v7, 0x7fffffff, v6
	v_mov_b32_e32 v8, v28
	v_cmp_gt_u64_e32 vcc, s[62:63], v[7:8]
	v_and_b32_sdwa v26, v6, s55 dst_sel:DWORD dst_unused:UNUSED_PAD src0_sel:BYTE_3 src1_sel:DWORD
                                        ; implicit-def: $vgpr7
                                        ; kill: killed $vgpr7
	s_and_saveexec_b64 s[20:21], vcc
	s_xor_b64 s[88:89], exec, s[20:21]
	s_cbranch_execz .LBB6_624
; %bb.615:                              ;   in Loop: Header=BB6_129 Depth=2
	v_mov_b32_e32 v7, 0
	v_cmp_ne_u32_e32 vcc, 0, v6
	buffer_store_dword v7, off, s[0:3], s33 offset:172 ; 4-byte Folded Spill
	s_and_saveexec_b64 s[90:91], vcc
	s_cbranch_execz .LBB6_623
; %bb.616:                              ;   in Loop: Header=BB6_129 Depth=2
	v_bfe_u32 v29, v6, 23, 8
	v_cmp_gt_u32_e64 s[20:21], s64, v29
	v_sub_u32_e32 v6, 0x71, v29
	v_cmp_eq_u32_e32 vcc, 0, v29
	v_cndmask_b32_e64 v6, 0, v6, s[20:21]
	v_mov_b32_e32 v8, 0x70
	v_cndmask_b32_e32 v30, v6, v8, vcc
	v_add_u32_e32 v8, 21, v30
	v_or_b32_e32 v7, 0x800000, v27
	v_lshlrev_b64 v[36:37], v8, -1
	v_cndmask_b32_e32 v6, v7, v27, vcc
	v_mov_b32_e32 v7, v28
	v_add_u32_e32 v8, 20, v30
	v_bfi_b32 v36, v36, 0, v6
	v_lshlrev_b64 v[48:49], v8, 1
	v_lshrrev_b64 v[6:7], v30, v[6:7]
	v_bfi_b32 v37, v37, 0, 0
	v_cmp_eq_u64_e64 s[20:21], v[36:37], v[48:49]
	v_mov_b32_e32 v8, v7
	v_mov_b32_e32 v7, v6
	s_and_saveexec_b64 s[92:93], s[20:21]
; %bb.617:                              ;   in Loop: Header=BB6_129 Depth=2
	v_bfe_u32 v7, v6, 21, 1
	v_add_co_u32_e64 v7, s[20:21], v6, v7
	v_add_co_u32_e64 v7, s[20:21], -1, v7
; %bb.618:                              ;   in Loop: Header=BB6_129 Depth=2
	s_or_b64 exec, exec, s[92:93]
	v_add_u32_e32 v8, 0xffffff81, v29
	v_mov_b32_e32 v27, 0xffffff82
	v_cndmask_b32_e32 v8, v8, v27, vcc
	v_lshrrev_b32_e32 v27, 23, v6
	v_add3_u32 v30, v30, v8, v27
	v_add_u32_e32 v29, 14, v30
	v_and_b32_e32 v7, 0x1fffff, v7
	v_add_u32_e32 v27, v7, v6
	v_cmp_ne_u32_e32 vcc, 0, v29
                                        ; implicit-def: $vgpr6_vgpr7
                                        ; implicit-def: $vgpr8
	s_and_saveexec_b64 s[20:21], vcc
	s_xor_b64 s[20:21], exec, s[20:21]
; %bb.619:                              ;   in Loop: Header=BB6_129 Depth=2
	v_cmp_lt_u64_e32 vcc, s[72:73], v[27:28]
	v_add_u32_e32 v6, 15, v30
	v_cndmask_b32_e32 v8, v29, v6, vcc
	v_cndmask_b32_e64 v6, 0, 1, vcc
	v_lshrrev_b64 v[6:7], v6, v[27:28]
; %bb.620:                              ;   in Loop: Header=BB6_129 Depth=2
	s_andn2_saveexec_b64 s[20:21], s[20:21]
; %bb.621:                              ;   in Loop: Header=BB6_129 Depth=2
	v_mov_b32_e32 v6, v27
	v_mov_b32_e32 v7, v28
	v_bfe_u32 v8, v27, 23, 1
; %bb.622:                              ;   in Loop: Header=BB6_129 Depth=2
	s_or_b64 exec, exec, s[20:21]
	v_lshrrev_b64 v[6:7], 21, v[6:7]
	v_cmp_gt_i32_e32 vcc, 32, v8
	v_cndmask_b32_e32 v7, 0, v7, vcc
	v_cndmask_b32_e32 v6, 3, v6, vcc
	v_cmp_eq_u64_e64 s[20:21], 0, v[6:7]
	v_min_i32_e32 v7, 31, v8
	v_lshlrev_b32_e32 v7, 2, v7
	v_cmp_eq_u32_e32 vcc, 0, v8
	v_and_b32_e32 v7, 0xfc, v7
	v_and_or_b32 v6, v6, 3, v7
	s_and_b64 s[20:21], vcc, s[20:21]
	v_cndmask_b32_e64 v6, v6, 0, s[20:21]
	v_or_b32_e32 v6, v6, v26
	buffer_store_dword v6, off, s[0:3], s33 offset:172 ; 4-byte Folded Spill
.LBB6_623:                              ;   in Loop: Header=BB6_129 Depth=2
	s_or_b64 exec, exec, s[90:91]
                                        ; implicit-def: $vgpr26
.LBB6_624:                              ;   in Loop: Header=BB6_129 Depth=2
	s_andn2_saveexec_b64 s[20:21], s[88:89]
	s_cbranch_execz .LBB6_626
; %bb.625:                              ;   in Loop: Header=BB6_129 Depth=2
	v_or_b32_e32 v6, 0x7b, v26
	buffer_store_dword v6, off, s[0:3], s33 offset:172 ; 4-byte Folded Spill
.LBB6_626:                              ;   in Loop: Header=BB6_129 Depth=2
	s_or_b64 exec, exec, s[20:21]
                                        ; implicit-def: $vgpr6
.LBB6_627:                              ;   in Loop: Header=BB6_129 Depth=2
	s_andn2_saveexec_b64 s[20:21], s[78:79]
	s_cbranch_execz .LBB6_633
; %bb.628:                              ;   in Loop: Header=BB6_129 Depth=2
	v_cmp_ne_u64_e32 vcc, 0, v[27:28]
                                        ; implicit-def: $vgpr7
                                        ; kill: killed $vgpr7
	s_and_saveexec_b64 s[78:79], vcc
	s_xor_b64 s[78:79], exec, s[78:79]
	s_cbranch_execz .LBB6_630
; %bb.629:                              ;   in Loop: Header=BB6_129 Depth=2
	v_or_b32_sdwa v6, v6, s65 dst_sel:DWORD dst_unused:UNUSED_PAD src0_sel:BYTE_3 src1_sel:DWORD
	buffer_store_dword v6, off, s[0:3], s33 offset:172 ; 4-byte Folded Spill
                                        ; implicit-def: $vgpr6
.LBB6_630:                              ;   in Loop: Header=BB6_129 Depth=2
	s_andn2_saveexec_b64 s[78:79], s[78:79]
	s_cbranch_execz .LBB6_632
; %bb.631:                              ;   in Loop: Header=BB6_129 Depth=2
	v_cmp_lt_i32_e32 vcc, -1, v6
	v_bfrev_b32_e32 v6, 0.5
	v_mov_b32_e32 v7, 0x7c
	v_cndmask_b32_e32 v6, v6, v7, vcc
	buffer_store_dword v6, off, s[0:3], s33 offset:172 ; 4-byte Folded Spill
.LBB6_632:                              ;   in Loop: Header=BB6_129 Depth=2
	s_or_b64 exec, exec, s[78:79]
.LBB6_633:                              ;   in Loop: Header=BB6_129 Depth=2
	s_or_b64 exec, exec, s[20:21]
	v_lshrrev_b32_e32 v6, 16, v51
	v_cmp_ne_u16_sdwa s[78:79], v6, v28 src0_sel:BYTE_0 src1_sel:DWORD
	v_mov_b32_e32 v7, 0
	v_mov_b32_e32 v8, 0
	s_and_saveexec_b64 s[20:21], s[78:79]
	s_cbranch_execz .LBB6_641
; %bb.634:                              ;   in Loop: Header=BB6_129 Depth=2
	v_cmp_ne_u16_sdwa s[88:89], v6, s55 src0_sel:BYTE_0 src1_sel:DWORD
	v_bfrev_b32_e32 v8, 1
	s_and_saveexec_b64 s[78:79], s[88:89]
	s_cbranch_execz .LBB6_640
; %bb.635:                              ;   in Loop: Header=BB6_129 Depth=2
	v_and_b32_e32 v8, 0x7c0000, v51
	v_bfe_u32 v26, v51, 16, 2
	v_cmp_ne_u32_e32 vcc, s66, v8
                                        ; implicit-def: $vgpr8
	s_and_saveexec_b64 s[88:89], vcc
	s_xor_b64 s[88:89], exec, s[88:89]
	s_cbranch_execz .LBB6_637
; %bb.636:                              ;   in Loop: Header=BB6_129 Depth=2
	v_ffbh_u32_e32 v27, v26
	v_min_u32_e32 v27, 32, v27
	v_subrev_u32_e32 v29, 29, v27
	v_lshlrev_b64 v[29:30], v29, v[6:7]
	v_bfe_u32 v8, v51, 18, 5
	v_sub_u32_e32 v6, 30, v27
	v_and_b32_e32 v27, 3, v29
	v_cmp_eq_u32_e32 vcc, 0, v8
	v_cndmask_b32_e32 v6, v8, v6, vcc
	v_cndmask_b32_e32 v8, v26, v27, vcc
	v_lshlrev_b32_e32 v26, 8, v51
	v_and_b32_e32 v26, 0x80000000, v26
	v_lshl_add_u32 v6, v6, 23, v26
	v_lshl_or_b32 v6, v8, 21, v6
	v_add_u32_e32 v8, 0x38000000, v6
                                        ; implicit-def: $vgpr26
                                        ; implicit-def: $vgpr6
.LBB6_637:                              ;   in Loop: Header=BB6_129 Depth=2
	s_andn2_saveexec_b64 s[88:89], s[88:89]
; %bb.638:                              ;   in Loop: Header=BB6_129 Depth=2
	v_mov_b32_e32 v8, -1
	v_cmp_gt_i16_sdwa vcc, sext(v6), v8 src0_sel:BYTE_0 src1_sel:DWORD
	v_mov_b32_e32 v6, 0xff800000
	v_mov_b32_e32 v8, 0x7f800000
	v_cndmask_b32_e32 v6, v6, v8, vcc
	v_cmp_eq_u32_e32 vcc, 0, v26
	v_mov_b32_e32 v8, 0x7f800001
	v_cndmask_b32_e32 v8, v8, v6, vcc
; %bb.639:                              ;   in Loop: Header=BB6_129 Depth=2
	s_or_b64 exec, exec, s[88:89]
.LBB6_640:                              ;   in Loop: Header=BB6_129 Depth=2
	s_or_b64 exec, exec, s[78:79]
.LBB6_641:                              ;   in Loop: Header=BB6_129 Depth=2
	s_or_b64 exec, exec, s[20:21]
	v_lshrrev_b32_e32 v6, 16, v39
	v_cmp_ne_u16_sdwa s[78:79], v6, v28 src0_sel:BYTE_0 src1_sel:DWORD
	s_and_saveexec_b64 s[20:21], s[78:79]
	s_cbranch_execz .LBB6_649
; %bb.642:                              ;   in Loop: Header=BB6_129 Depth=2
	v_cmp_ne_u16_sdwa s[88:89], v6, s55 src0_sel:BYTE_0 src1_sel:DWORD
	v_bfrev_b32_e32 v7, 1
	s_and_saveexec_b64 s[78:79], s[88:89]
	s_cbranch_execz .LBB6_648
; %bb.643:                              ;   in Loop: Header=BB6_129 Depth=2
	v_and_b32_e32 v7, 0x7c0000, v39
	v_bfe_u32 v26, v39, 16, 2
	v_cmp_ne_u32_e32 vcc, s66, v7
                                        ; implicit-def: $vgpr7
	s_and_saveexec_b64 s[88:89], vcc
	s_xor_b64 s[88:89], exec, s[88:89]
	s_cbranch_execz .LBB6_645
; %bb.644:                              ;   in Loop: Header=BB6_129 Depth=2
	v_ffbh_u32_e32 v7, v26
	v_min_u32_e32 v29, 32, v7
	v_subrev_u32_e32 v7, 29, v29
	v_lshlrev_b64 v[6:7], v7, v[6:7]
	v_bfe_u32 v27, v39, 18, 5
	v_and_b32_e32 v6, 3, v6
	v_cmp_eq_u32_e32 vcc, 0, v27
	v_sub_u32_e32 v7, 30, v29
	v_cndmask_b32_e32 v6, v26, v6, vcc
	v_lshlrev_b32_e32 v26, 8, v39
	v_cndmask_b32_e32 v7, v27, v7, vcc
	v_and_b32_e32 v26, 0x80000000, v26
	v_lshl_add_u32 v7, v7, 23, v26
	v_lshl_or_b32 v6, v6, 21, v7
	v_add_u32_e32 v7, 0x38000000, v6
                                        ; implicit-def: $vgpr26
                                        ; implicit-def: $vgpr6
.LBB6_645:                              ;   in Loop: Header=BB6_129 Depth=2
	s_andn2_saveexec_b64 s[88:89], s[88:89]
; %bb.646:                              ;   in Loop: Header=BB6_129 Depth=2
	v_mov_b32_e32 v7, -1
	v_cmp_gt_i16_sdwa vcc, sext(v6), v7 src0_sel:BYTE_0 src1_sel:DWORD
	v_mov_b32_e32 v6, 0xff800000
	v_mov_b32_e32 v7, 0x7f800000
	v_cndmask_b32_e32 v6, v6, v7, vcc
	v_cmp_eq_u32_e32 vcc, 0, v26
	v_mov_b32_e32 v7, 0x7f800001
	v_cndmask_b32_e32 v7, v7, v6, vcc
; %bb.647:                              ;   in Loop: Header=BB6_129 Depth=2
	s_or_b64 exec, exec, s[88:89]
.LBB6_648:                              ;   in Loop: Header=BB6_129 Depth=2
	s_or_b64 exec, exec, s[78:79]
.LBB6_649:                              ;   in Loop: Header=BB6_129 Depth=2
	s_or_b64 exec, exec, s[20:21]
	v_mul_f32_e32 v6, v8, v7
	v_and_b32_e32 v7, 0x7f800000, v6
	v_mov_b32_e32 v8, v28
	v_cmp_ne_u64_e32 vcc, s[60:61], v[7:8]
	v_and_b32_e32 v27, 0x7fffff, v6
                                        ; implicit-def: $vgpr7
                                        ; kill: killed $vgpr7
	s_and_saveexec_b64 s[20:21], vcc
	s_xor_b64 s[78:79], exec, s[20:21]
	s_cbranch_execz .LBB6_663
; %bb.650:                              ;   in Loop: Header=BB6_129 Depth=2
	v_and_b32_e32 v7, 0x7fffffff, v6
	v_mov_b32_e32 v8, v28
	v_cmp_gt_u64_e32 vcc, s[62:63], v[7:8]
	v_and_b32_sdwa v26, v6, s55 dst_sel:DWORD dst_unused:UNUSED_PAD src0_sel:BYTE_3 src1_sel:DWORD
                                        ; implicit-def: $vgpr7
                                        ; kill: killed $vgpr7
	s_and_saveexec_b64 s[20:21], vcc
	s_xor_b64 s[88:89], exec, s[20:21]
	s_cbranch_execz .LBB6_660
; %bb.651:                              ;   in Loop: Header=BB6_129 Depth=2
	v_mov_b32_e32 v7, 0
	v_cmp_ne_u32_e32 vcc, 0, v6
	buffer_store_dword v7, off, s[0:3], s33 offset:180 ; 4-byte Folded Spill
	s_and_saveexec_b64 s[90:91], vcc
	s_cbranch_execz .LBB6_659
; %bb.652:                              ;   in Loop: Header=BB6_129 Depth=2
	v_bfe_u32 v29, v6, 23, 8
	v_cmp_gt_u32_e64 s[20:21], s64, v29
	v_sub_u32_e32 v6, 0x71, v29
	v_cmp_eq_u32_e32 vcc, 0, v29
	v_cndmask_b32_e64 v6, 0, v6, s[20:21]
	v_mov_b32_e32 v8, 0x70
	v_cndmask_b32_e32 v30, v6, v8, vcc
	v_add_u32_e32 v8, 21, v30
	v_or_b32_e32 v7, 0x800000, v27
	v_lshlrev_b64 v[36:37], v8, -1
	v_cndmask_b32_e32 v6, v7, v27, vcc
	v_mov_b32_e32 v7, v28
	v_add_u32_e32 v8, 20, v30
	v_bfi_b32 v36, v36, 0, v6
	v_lshlrev_b64 v[48:49], v8, 1
	v_lshrrev_b64 v[6:7], v30, v[6:7]
	v_bfi_b32 v37, v37, 0, 0
	v_cmp_eq_u64_e64 s[20:21], v[36:37], v[48:49]
	v_mov_b32_e32 v8, v7
	v_mov_b32_e32 v7, v6
	s_and_saveexec_b64 s[92:93], s[20:21]
; %bb.653:                              ;   in Loop: Header=BB6_129 Depth=2
	v_bfe_u32 v7, v6, 21, 1
	v_add_co_u32_e64 v7, s[20:21], v6, v7
	v_add_co_u32_e64 v7, s[20:21], -1, v7
; %bb.654:                              ;   in Loop: Header=BB6_129 Depth=2
	s_or_b64 exec, exec, s[92:93]
	v_add_u32_e32 v8, 0xffffff81, v29
	v_mov_b32_e32 v27, 0xffffff82
	v_cndmask_b32_e32 v8, v8, v27, vcc
	v_lshrrev_b32_e32 v27, 23, v6
	v_add3_u32 v30, v30, v8, v27
	v_add_u32_e32 v29, 14, v30
	v_and_b32_e32 v7, 0x1fffff, v7
	v_add_u32_e32 v27, v7, v6
	v_cmp_ne_u32_e32 vcc, 0, v29
                                        ; implicit-def: $vgpr6_vgpr7
                                        ; implicit-def: $vgpr8
	s_and_saveexec_b64 s[20:21], vcc
	s_xor_b64 s[20:21], exec, s[20:21]
; %bb.655:                              ;   in Loop: Header=BB6_129 Depth=2
	v_cmp_lt_u64_e32 vcc, s[72:73], v[27:28]
	v_add_u32_e32 v6, 15, v30
	v_cndmask_b32_e32 v8, v29, v6, vcc
	v_cndmask_b32_e64 v6, 0, 1, vcc
	v_lshrrev_b64 v[6:7], v6, v[27:28]
; %bb.656:                              ;   in Loop: Header=BB6_129 Depth=2
	s_andn2_saveexec_b64 s[20:21], s[20:21]
; %bb.657:                              ;   in Loop: Header=BB6_129 Depth=2
	v_mov_b32_e32 v6, v27
	v_mov_b32_e32 v7, v28
	v_bfe_u32 v8, v27, 23, 1
; %bb.658:                              ;   in Loop: Header=BB6_129 Depth=2
	s_or_b64 exec, exec, s[20:21]
	v_lshrrev_b64 v[6:7], 21, v[6:7]
	v_cmp_gt_i32_e32 vcc, 32, v8
	v_cndmask_b32_e32 v7, 0, v7, vcc
	v_cndmask_b32_e32 v6, 3, v6, vcc
	v_cmp_eq_u64_e64 s[20:21], 0, v[6:7]
	v_min_i32_e32 v7, 31, v8
	v_lshlrev_b32_e32 v7, 2, v7
	v_cmp_eq_u32_e32 vcc, 0, v8
	v_and_b32_e32 v7, 0xfc, v7
	v_and_or_b32 v6, v6, 3, v7
	s_and_b64 s[20:21], vcc, s[20:21]
	v_cndmask_b32_e64 v6, v6, 0, s[20:21]
	v_or_b32_e32 v6, v6, v26
	buffer_store_dword v6, off, s[0:3], s33 offset:180 ; 4-byte Folded Spill
.LBB6_659:                              ;   in Loop: Header=BB6_129 Depth=2
	s_or_b64 exec, exec, s[90:91]
                                        ; implicit-def: $vgpr26
.LBB6_660:                              ;   in Loop: Header=BB6_129 Depth=2
	s_andn2_saveexec_b64 s[20:21], s[88:89]
	s_cbranch_execz .LBB6_662
; %bb.661:                              ;   in Loop: Header=BB6_129 Depth=2
	v_or_b32_e32 v6, 0x7b, v26
	buffer_store_dword v6, off, s[0:3], s33 offset:180 ; 4-byte Folded Spill
.LBB6_662:                              ;   in Loop: Header=BB6_129 Depth=2
	s_or_b64 exec, exec, s[20:21]
                                        ; implicit-def: $vgpr6
.LBB6_663:                              ;   in Loop: Header=BB6_129 Depth=2
	s_andn2_saveexec_b64 s[20:21], s[78:79]
	s_cbranch_execz .LBB6_669
; %bb.664:                              ;   in Loop: Header=BB6_129 Depth=2
	v_cmp_ne_u64_e32 vcc, 0, v[27:28]
                                        ; implicit-def: $vgpr7
                                        ; kill: killed $vgpr7
	s_and_saveexec_b64 s[78:79], vcc
	s_xor_b64 s[78:79], exec, s[78:79]
	s_cbranch_execz .LBB6_666
; %bb.665:                              ;   in Loop: Header=BB6_129 Depth=2
	v_or_b32_sdwa v6, v6, s65 dst_sel:DWORD dst_unused:UNUSED_PAD src0_sel:BYTE_3 src1_sel:DWORD
	buffer_store_dword v6, off, s[0:3], s33 offset:180 ; 4-byte Folded Spill
                                        ; implicit-def: $vgpr6
.LBB6_666:                              ;   in Loop: Header=BB6_129 Depth=2
	s_andn2_saveexec_b64 s[78:79], s[78:79]
	s_cbranch_execz .LBB6_668
; %bb.667:                              ;   in Loop: Header=BB6_129 Depth=2
	v_cmp_lt_i32_e32 vcc, -1, v6
	v_bfrev_b32_e32 v6, 0.5
	v_mov_b32_e32 v7, 0x7c
	v_cndmask_b32_e32 v6, v6, v7, vcc
	buffer_store_dword v6, off, s[0:3], s33 offset:180 ; 4-byte Folded Spill
.LBB6_668:                              ;   in Loop: Header=BB6_129 Depth=2
	s_or_b64 exec, exec, s[78:79]
.LBB6_669:                              ;   in Loop: Header=BB6_129 Depth=2
	s_or_b64 exec, exec, s[20:21]
	v_cmp_lt_u64_e32 vcc, s[58:59], v[50:51]
	v_mov_b32_e32 v7, 0
	v_mov_b32_e32 v8, 0
	s_and_saveexec_b64 s[20:21], vcc
	s_cbranch_execz .LBB6_677
; %bb.670:                              ;   in Loop: Header=BB6_129 Depth=2
	v_lshrrev_b32_e32 v6, 24, v51
	v_cmp_ne_u32_e32 vcc, s55, v6
	v_bfrev_b32_e32 v8, 1
	s_and_saveexec_b64 s[78:79], vcc
	s_cbranch_execz .LBB6_676
; %bb.671:                              ;   in Loop: Header=BB6_129 Depth=2
	v_and_b32_e32 v8, 0x7c000000, v51
	v_bfe_u32 v26, v51, 24, 2
	v_cmp_ne_u32_e32 vcc, s67, v8
                                        ; implicit-def: $vgpr8
	s_and_saveexec_b64 s[88:89], vcc
	s_xor_b64 s[88:89], exec, s[88:89]
	s_cbranch_execz .LBB6_673
; %bb.672:                              ;   in Loop: Header=BB6_129 Depth=2
	v_ffbh_u32_e32 v27, v26
	v_min_u32_e32 v27, 32, v27
	v_subrev_u32_e32 v29, 29, v27
	v_lshlrev_b64 v[29:30], v29, v[6:7]
	v_bfe_u32 v8, v51, 26, 5
	v_sub_u32_e32 v6, 30, v27
	v_and_b32_e32 v27, 3, v29
	v_cmp_eq_u32_e32 vcc, 0, v8
	v_cndmask_b32_e32 v6, v8, v6, vcc
	v_cndmask_b32_e32 v8, v26, v27, vcc
	v_and_b32_e32 v26, 0x80000000, v51
	v_lshl_add_u32 v6, v6, 23, v26
	v_lshl_or_b32 v6, v8, 21, v6
	v_add_u32_e32 v8, 0x38000000, v6
                                        ; implicit-def: $vgpr26
                                        ; implicit-def: $vgpr50_vgpr51
.LBB6_673:                              ;   in Loop: Header=BB6_129 Depth=2
	s_andn2_saveexec_b64 s[88:89], s[88:89]
; %bb.674:                              ;   in Loop: Header=BB6_129 Depth=2
	v_cmp_lt_i64_e32 vcc, -1, v[50:51]
	v_mov_b32_e32 v6, 0xff800000
	v_mov_b32_e32 v8, 0x7f800000
	v_cndmask_b32_e32 v6, v6, v8, vcc
	v_cmp_eq_u32_e32 vcc, 0, v26
	v_mov_b32_e32 v8, 0x7f800001
	v_cndmask_b32_e32 v8, v8, v6, vcc
; %bb.675:                              ;   in Loop: Header=BB6_129 Depth=2
	s_or_b64 exec, exec, s[88:89]
.LBB6_676:                              ;   in Loop: Header=BB6_129 Depth=2
	s_or_b64 exec, exec, s[78:79]
.LBB6_677:                              ;   in Loop: Header=BB6_129 Depth=2
	s_or_b64 exec, exec, s[20:21]
	v_cmp_lt_u64_e32 vcc, s[58:59], v[38:39]
	s_and_saveexec_b64 s[20:21], vcc
	s_cbranch_execz .LBB6_685
; %bb.678:                              ;   in Loop: Header=BB6_129 Depth=2
	v_lshrrev_b32_e32 v6, 24, v39
	v_cmp_ne_u32_e32 vcc, s55, v6
	v_bfrev_b32_e32 v7, 1
	s_and_saveexec_b64 s[78:79], vcc
	s_cbranch_execz .LBB6_684
; %bb.679:                              ;   in Loop: Header=BB6_129 Depth=2
	v_and_b32_e32 v7, 0x7c000000, v39
	v_bfe_u32 v26, v39, 24, 2
	v_cmp_ne_u32_e32 vcc, s67, v7
                                        ; implicit-def: $vgpr7
	s_and_saveexec_b64 s[88:89], vcc
	s_xor_b64 s[88:89], exec, s[88:89]
	s_cbranch_execz .LBB6_681
; %bb.680:                              ;   in Loop: Header=BB6_129 Depth=2
	v_ffbh_u32_e32 v7, v26
	v_min_u32_e32 v29, 32, v7
	v_subrev_u32_e32 v7, 29, v29
	v_lshlrev_b64 v[6:7], v7, v[6:7]
	v_bfe_u32 v27, v39, 26, 5
	v_sub_u32_e32 v7, 30, v29
	v_and_b32_e32 v6, 3, v6
	v_cmp_eq_u32_e32 vcc, 0, v27
	v_cndmask_b32_e32 v7, v27, v7, vcc
	v_cndmask_b32_e32 v6, v26, v6, vcc
	v_and_b32_e32 v26, 0x80000000, v39
	v_lshl_add_u32 v7, v7, 23, v26
	v_lshl_or_b32 v6, v6, 21, v7
	v_add_u32_e32 v7, 0x38000000, v6
                                        ; implicit-def: $vgpr26
                                        ; implicit-def: $vgpr38_vgpr39
.LBB6_681:                              ;   in Loop: Header=BB6_129 Depth=2
	s_andn2_saveexec_b64 s[88:89], s[88:89]
; %bb.682:                              ;   in Loop: Header=BB6_129 Depth=2
	v_cmp_lt_i64_e32 vcc, -1, v[38:39]
	v_mov_b32_e32 v6, 0xff800000
	v_mov_b32_e32 v7, 0x7f800000
	v_cndmask_b32_e32 v6, v6, v7, vcc
	v_cmp_eq_u32_e32 vcc, 0, v26
	v_mov_b32_e32 v7, 0x7f800001
	v_cndmask_b32_e32 v7, v7, v6, vcc
; %bb.683:                              ;   in Loop: Header=BB6_129 Depth=2
	s_or_b64 exec, exec, s[88:89]
.LBB6_684:                              ;   in Loop: Header=BB6_129 Depth=2
	s_or_b64 exec, exec, s[78:79]
.LBB6_685:                              ;   in Loop: Header=BB6_129 Depth=2
	s_or_b64 exec, exec, s[20:21]
	v_mul_f32_e32 v6, v8, v7
	v_and_b32_e32 v7, 0x7f800000, v6
	v_mov_b32_e32 v8, v28
	v_cmp_ne_u64_e32 vcc, s[60:61], v[7:8]
	v_and_b32_e32 v27, 0x7fffff, v6
                                        ; implicit-def: $vgpr7
                                        ; kill: killed $vgpr7
	s_and_saveexec_b64 s[20:21], vcc
	s_xor_b64 s[78:79], exec, s[20:21]
	s_cbranch_execz .LBB6_699
; %bb.686:                              ;   in Loop: Header=BB6_129 Depth=2
	v_and_b32_e32 v7, 0x7fffffff, v6
	v_mov_b32_e32 v8, v28
	v_cmp_gt_u64_e32 vcc, s[62:63], v[7:8]
	v_and_b32_sdwa v26, v6, s55 dst_sel:DWORD dst_unused:UNUSED_PAD src0_sel:BYTE_3 src1_sel:DWORD
                                        ; implicit-def: $vgpr7
                                        ; kill: killed $vgpr7
	s_and_saveexec_b64 s[20:21], vcc
	s_xor_b64 s[88:89], exec, s[20:21]
	s_cbranch_execz .LBB6_696
; %bb.687:                              ;   in Loop: Header=BB6_129 Depth=2
	v_mov_b32_e32 v7, 0
	v_cmp_ne_u32_e32 vcc, 0, v6
	buffer_store_dword v7, off, s[0:3], s33 offset:188 ; 4-byte Folded Spill
	s_and_saveexec_b64 s[90:91], vcc
	s_cbranch_execz .LBB6_695
; %bb.688:                              ;   in Loop: Header=BB6_129 Depth=2
	v_bfe_u32 v29, v6, 23, 8
	v_cmp_gt_u32_e64 s[20:21], s64, v29
	v_sub_u32_e32 v6, 0x71, v29
	v_cmp_eq_u32_e32 vcc, 0, v29
	v_cndmask_b32_e64 v6, 0, v6, s[20:21]
	v_mov_b32_e32 v8, 0x70
	v_cndmask_b32_e32 v30, v6, v8, vcc
	v_add_u32_e32 v8, 21, v30
	v_or_b32_e32 v7, 0x800000, v27
	v_lshlrev_b64 v[36:37], v8, -1
	v_cndmask_b32_e32 v6, v7, v27, vcc
	v_mov_b32_e32 v7, v28
	v_add_u32_e32 v8, 20, v30
	v_bfi_b32 v36, v36, 0, v6
	v_lshlrev_b64 v[38:39], v8, 1
	v_lshrrev_b64 v[6:7], v30, v[6:7]
	v_bfi_b32 v37, v37, 0, 0
	v_cmp_eq_u64_e64 s[20:21], v[36:37], v[38:39]
	v_mov_b32_e32 v8, v7
	v_mov_b32_e32 v7, v6
	s_and_saveexec_b64 s[92:93], s[20:21]
; %bb.689:                              ;   in Loop: Header=BB6_129 Depth=2
	v_bfe_u32 v7, v6, 21, 1
	v_add_co_u32_e64 v7, s[20:21], v6, v7
	v_add_co_u32_e64 v7, s[20:21], -1, v7
; %bb.690:                              ;   in Loop: Header=BB6_129 Depth=2
	s_or_b64 exec, exec, s[92:93]
	v_add_u32_e32 v8, 0xffffff81, v29
	v_mov_b32_e32 v27, 0xffffff82
	v_cndmask_b32_e32 v8, v8, v27, vcc
	v_lshrrev_b32_e32 v27, 23, v6
	v_add3_u32 v30, v30, v8, v27
	v_add_u32_e32 v29, 14, v30
	v_and_b32_e32 v7, 0x1fffff, v7
	v_add_u32_e32 v27, v7, v6
	v_cmp_ne_u32_e32 vcc, 0, v29
                                        ; implicit-def: $vgpr6_vgpr7
                                        ; implicit-def: $vgpr8
	s_and_saveexec_b64 s[20:21], vcc
	s_xor_b64 s[20:21], exec, s[20:21]
; %bb.691:                              ;   in Loop: Header=BB6_129 Depth=2
	v_cmp_lt_u64_e32 vcc, s[72:73], v[27:28]
	v_add_u32_e32 v6, 15, v30
	v_cndmask_b32_e32 v8, v29, v6, vcc
	v_cndmask_b32_e64 v6, 0, 1, vcc
	v_lshrrev_b64 v[6:7], v6, v[27:28]
; %bb.692:                              ;   in Loop: Header=BB6_129 Depth=2
	s_andn2_saveexec_b64 s[20:21], s[20:21]
; %bb.693:                              ;   in Loop: Header=BB6_129 Depth=2
	v_mov_b32_e32 v6, v27
	v_mov_b32_e32 v7, v28
	v_bfe_u32 v8, v27, 23, 1
; %bb.694:                              ;   in Loop: Header=BB6_129 Depth=2
	s_or_b64 exec, exec, s[20:21]
	v_lshrrev_b64 v[6:7], 21, v[6:7]
	v_cmp_gt_i32_e32 vcc, 32, v8
	v_cndmask_b32_e32 v7, 0, v7, vcc
	v_cndmask_b32_e32 v6, 3, v6, vcc
	v_cmp_eq_u64_e64 s[20:21], 0, v[6:7]
	v_min_i32_e32 v7, 31, v8
	v_lshlrev_b32_e32 v7, 2, v7
	v_cmp_eq_u32_e32 vcc, 0, v8
	v_and_b32_e32 v7, 0xfc, v7
	v_and_or_b32 v6, v6, 3, v7
	s_and_b64 s[20:21], vcc, s[20:21]
	v_cndmask_b32_e64 v6, v6, 0, s[20:21]
	v_or_b32_e32 v6, v6, v26
	buffer_store_dword v6, off, s[0:3], s33 offset:188 ; 4-byte Folded Spill
.LBB6_695:                              ;   in Loop: Header=BB6_129 Depth=2
	s_or_b64 exec, exec, s[90:91]
                                        ; implicit-def: $vgpr26
.LBB6_696:                              ;   in Loop: Header=BB6_129 Depth=2
	s_andn2_saveexec_b64 s[20:21], s[88:89]
	s_cbranch_execz .LBB6_698
; %bb.697:                              ;   in Loop: Header=BB6_129 Depth=2
	v_or_b32_e32 v6, 0x7b, v26
	buffer_store_dword v6, off, s[0:3], s33 offset:188 ; 4-byte Folded Spill
.LBB6_698:                              ;   in Loop: Header=BB6_129 Depth=2
	s_or_b64 exec, exec, s[20:21]
                                        ; implicit-def: $vgpr6
.LBB6_699:                              ;   in Loop: Header=BB6_129 Depth=2
	s_andn2_saveexec_b64 s[20:21], s[78:79]
	s_cbranch_execz .LBB6_705
; %bb.700:                              ;   in Loop: Header=BB6_129 Depth=2
	v_cmp_ne_u64_e32 vcc, 0, v[27:28]
                                        ; implicit-def: $vgpr7
                                        ; kill: killed $vgpr7
	s_and_saveexec_b64 s[78:79], vcc
	s_xor_b64 s[78:79], exec, s[78:79]
	s_cbranch_execz .LBB6_702
; %bb.701:                              ;   in Loop: Header=BB6_129 Depth=2
	v_or_b32_sdwa v6, v6, s65 dst_sel:DWORD dst_unused:UNUSED_PAD src0_sel:BYTE_3 src1_sel:DWORD
	buffer_store_dword v6, off, s[0:3], s33 offset:188 ; 4-byte Folded Spill
                                        ; implicit-def: $vgpr6
.LBB6_702:                              ;   in Loop: Header=BB6_129 Depth=2
	s_andn2_saveexec_b64 s[78:79], s[78:79]
	s_cbranch_execz .LBB6_704
; %bb.703:                              ;   in Loop: Header=BB6_129 Depth=2
	v_cmp_lt_i32_e32 vcc, -1, v6
	v_bfrev_b32_e32 v6, 0.5
	v_mov_b32_e32 v7, 0x7c
	v_cndmask_b32_e32 v6, v6, v7, vcc
	buffer_store_dword v6, off, s[0:3], s33 offset:188 ; 4-byte Folded Spill
.LBB6_704:                              ;   in Loop: Header=BB6_129 Depth=2
	s_or_b64 exec, exec, s[78:79]
.LBB6_705:                              ;   in Loop: Header=BB6_129 Depth=2
	s_or_b64 exec, exec, s[20:21]
	v_cmp_ne_u16_sdwa s[78:79], v32, v28 src0_sel:BYTE_0 src1_sel:DWORD
	v_mov_b32_e32 v6, 0
	v_mov_b32_e32 v7, 0
	s_and_saveexec_b64 s[20:21], s[78:79]
	s_cbranch_execz .LBB6_713
; %bb.706:                              ;   in Loop: Header=BB6_129 Depth=2
	v_cmp_ne_u16_sdwa s[88:89], sext(v32), s52 src0_sel:BYTE_0 src1_sel:DWORD
	v_bfrev_b32_e32 v7, 1
	s_and_saveexec_b64 s[78:79], s[88:89]
	s_cbranch_execz .LBB6_712
; %bb.707:                              ;   in Loop: Header=BB6_129 Depth=2
	v_and_b32_e32 v7, 0x7c, v32
	v_and_b32_e32 v8, 3, v32
	v_cmp_ne_u32_e32 vcc, s53, v7
                                        ; implicit-def: $vgpr7
	s_and_saveexec_b64 s[88:89], vcc
	s_xor_b64 s[88:89], exec, s[88:89]
	s_cbranch_execz .LBB6_709
; %bb.708:                              ;   in Loop: Header=BB6_129 Depth=2
	v_ffbh_u32_e32 v26, v8
	v_min_u32_e32 v29, 32, v26
	v_subrev_u32_e32 v26, 29, v29
	v_lshlrev_b64 v[26:27], v26, v[32:33]
	v_bfe_u32 v7, v32, 2, 5
	v_and_b32_e32 v26, 3, v26
	v_cmp_eq_u32_e32 vcc, 0, v7
	v_sub_u32_e32 v27, 30, v29
	v_cndmask_b32_e32 v8, v8, v26, vcc
	v_lshlrev_b32_e32 v26, 24, v32
	v_cndmask_b32_e32 v7, v7, v27, vcc
	v_and_b32_e32 v26, 0x80000000, v26
	v_lshl_add_u32 v7, v7, 23, v26
	v_lshl_or_b32 v7, v8, 21, v7
	v_add_u32_e32 v7, 0x38000000, v7
                                        ; implicit-def: $vgpr8
.LBB6_709:                              ;   in Loop: Header=BB6_129 Depth=2
	s_andn2_saveexec_b64 s[88:89], s[88:89]
; %bb.710:                              ;   in Loop: Header=BB6_129 Depth=2
	v_mov_b32_e32 v7, -1
	v_cmp_gt_i16_sdwa vcc, sext(v32), v7 src0_sel:BYTE_0 src1_sel:DWORD
	v_mov_b32_e32 v7, 0xff800000
	v_mov_b32_e32 v26, 0x7f800000
	v_cndmask_b32_e32 v7, v7, v26, vcc
	v_cmp_eq_u32_e32 vcc, 0, v8
	v_mov_b32_e32 v8, 0x7f800001
	v_cndmask_b32_e32 v7, v8, v7, vcc
; %bb.711:                              ;   in Loop: Header=BB6_129 Depth=2
	s_or_b64 exec, exec, s[88:89]
.LBB6_712:                              ;   in Loop: Header=BB6_129 Depth=2
	s_or_b64 exec, exec, s[78:79]
.LBB6_713:                              ;   in Loop: Header=BB6_129 Depth=2
	s_or_b64 exec, exec, s[20:21]
	s_waitcnt vmcnt(2)
	v_cmp_ne_u16_sdwa s[78:79], v2, v28 src0_sel:BYTE_0 src1_sel:DWORD
	s_and_saveexec_b64 s[20:21], s[78:79]
	s_cbranch_execz .LBB6_721
; %bb.714:                              ;   in Loop: Header=BB6_129 Depth=2
	v_cmp_ne_u16_sdwa s[88:89], sext(v2), s52 src0_sel:BYTE_0 src1_sel:DWORD
	v_bfrev_b32_e32 v6, 1
	s_and_saveexec_b64 s[78:79], s[88:89]
	s_cbranch_execz .LBB6_720
; %bb.715:                              ;   in Loop: Header=BB6_129 Depth=2
	v_and_b32_e32 v6, 0x7c, v2
	v_and_b32_e32 v8, 3, v2
	v_cmp_ne_u32_e32 vcc, s53, v6
                                        ; implicit-def: $vgpr6
	s_and_saveexec_b64 s[88:89], vcc
	s_xor_b64 s[88:89], exec, s[88:89]
	s_cbranch_execz .LBB6_717
; %bb.716:                              ;   in Loop: Header=BB6_129 Depth=2
	v_ffbh_u32_e32 v26, v8
	v_min_u32_e32 v29, 32, v26
	v_subrev_u32_e32 v26, 29, v29
	v_lshlrev_b64 v[26:27], v26, v[2:3]
	v_bfe_u32 v6, v2, 2, 5
	v_and_b32_e32 v26, 3, v26
	v_cmp_eq_u32_e32 vcc, 0, v6
	v_sub_u32_e32 v27, 30, v29
	v_cndmask_b32_e32 v8, v8, v26, vcc
	v_lshlrev_b32_e32 v26, 24, v2
	v_cndmask_b32_e32 v6, v6, v27, vcc
	v_and_b32_e32 v26, 0x80000000, v26
	v_lshl_add_u32 v6, v6, 23, v26
	v_lshl_or_b32 v6, v8, 21, v6
	v_add_u32_e32 v6, 0x38000000, v6
                                        ; implicit-def: $vgpr8
.LBB6_717:                              ;   in Loop: Header=BB6_129 Depth=2
	s_andn2_saveexec_b64 s[88:89], s[88:89]
; %bb.718:                              ;   in Loop: Header=BB6_129 Depth=2
	v_mov_b32_e32 v6, -1
	v_cmp_gt_i16_sdwa vcc, sext(v2), v6 src0_sel:BYTE_0 src1_sel:DWORD
	v_mov_b32_e32 v6, 0xff800000
	v_mov_b32_e32 v26, 0x7f800000
	v_cndmask_b32_e32 v6, v6, v26, vcc
	v_cmp_eq_u32_e32 vcc, 0, v8
	v_mov_b32_e32 v8, 0x7f800001
	v_cndmask_b32_e32 v6, v8, v6, vcc
; %bb.719:                              ;   in Loop: Header=BB6_129 Depth=2
	s_or_b64 exec, exec, s[88:89]
.LBB6_720:                              ;   in Loop: Header=BB6_129 Depth=2
	s_or_b64 exec, exec, s[78:79]
.LBB6_721:                              ;   in Loop: Header=BB6_129 Depth=2
	s_or_b64 exec, exec, s[20:21]
	v_mul_f32_e32 v6, v7, v6
	v_and_b32_e32 v7, 0x7f800000, v6
	v_mov_b32_e32 v8, v28
	v_cmp_ne_u64_e32 vcc, s[60:61], v[7:8]
	v_and_b32_e32 v27, 0x7fffff, v6
                                        ; implicit-def: $vgpr7
                                        ; kill: killed $vgpr7
	s_and_saveexec_b64 s[20:21], vcc
	s_xor_b64 s[78:79], exec, s[20:21]
	s_cbranch_execz .LBB6_735
; %bb.722:                              ;   in Loop: Header=BB6_129 Depth=2
	v_and_b32_e32 v7, 0x7fffffff, v6
	v_mov_b32_e32 v8, v28
	v_cmp_gt_u64_e32 vcc, s[62:63], v[7:8]
	v_and_b32_sdwa v26, v6, s55 dst_sel:DWORD dst_unused:UNUSED_PAD src0_sel:BYTE_3 src1_sel:DWORD
                                        ; implicit-def: $vgpr7
                                        ; kill: killed $vgpr7
	s_and_saveexec_b64 s[20:21], vcc
	s_xor_b64 s[88:89], exec, s[20:21]
	s_cbranch_execz .LBB6_732
; %bb.723:                              ;   in Loop: Header=BB6_129 Depth=2
	v_mov_b32_e32 v7, 0
	v_cmp_ne_u32_e32 vcc, 0, v6
	buffer_store_dword v7, off, s[0:3], s33 offset:196 ; 4-byte Folded Spill
	s_and_saveexec_b64 s[90:91], vcc
	s_cbranch_execz .LBB6_731
; %bb.724:                              ;   in Loop: Header=BB6_129 Depth=2
	v_bfe_u32 v29, v6, 23, 8
	v_cmp_gt_u32_e64 s[20:21], s64, v29
	v_sub_u32_e32 v6, 0x71, v29
	v_cmp_eq_u32_e32 vcc, 0, v29
	v_cndmask_b32_e64 v6, 0, v6, s[20:21]
	v_mov_b32_e32 v8, 0x70
	v_cndmask_b32_e32 v30, v6, v8, vcc
	v_add_u32_e32 v8, 21, v30
	v_or_b32_e32 v7, 0x800000, v27
	v_lshlrev_b64 v[36:37], v8, -1
	v_cndmask_b32_e32 v6, v7, v27, vcc
	v_mov_b32_e32 v7, v28
	v_add_u32_e32 v8, 20, v30
	v_bfi_b32 v36, v36, 0, v6
	v_lshlrev_b64 v[38:39], v8, 1
	v_lshrrev_b64 v[6:7], v30, v[6:7]
	v_bfi_b32 v37, v37, 0, 0
	v_cmp_eq_u64_e64 s[20:21], v[36:37], v[38:39]
	v_mov_b32_e32 v8, v7
	v_mov_b32_e32 v7, v6
	s_and_saveexec_b64 s[92:93], s[20:21]
; %bb.725:                              ;   in Loop: Header=BB6_129 Depth=2
	v_bfe_u32 v7, v6, 21, 1
	v_add_co_u32_e64 v7, s[20:21], v6, v7
	v_add_co_u32_e64 v7, s[20:21], -1, v7
; %bb.726:                              ;   in Loop: Header=BB6_129 Depth=2
	s_or_b64 exec, exec, s[92:93]
	v_add_u32_e32 v8, 0xffffff81, v29
	v_mov_b32_e32 v27, 0xffffff82
	v_cndmask_b32_e32 v8, v8, v27, vcc
	v_lshrrev_b32_e32 v27, 23, v6
	v_add3_u32 v30, v30, v8, v27
	v_add_u32_e32 v29, 14, v30
	v_and_b32_e32 v7, 0x1fffff, v7
	v_add_u32_e32 v27, v7, v6
	v_cmp_ne_u32_e32 vcc, 0, v29
                                        ; implicit-def: $vgpr6_vgpr7
                                        ; implicit-def: $vgpr8
	s_and_saveexec_b64 s[20:21], vcc
	s_xor_b64 s[20:21], exec, s[20:21]
; %bb.727:                              ;   in Loop: Header=BB6_129 Depth=2
	v_cmp_lt_u64_e32 vcc, s[72:73], v[27:28]
	v_add_u32_e32 v6, 15, v30
	v_cndmask_b32_e32 v8, v29, v6, vcc
	v_cndmask_b32_e64 v6, 0, 1, vcc
	v_lshrrev_b64 v[6:7], v6, v[27:28]
; %bb.728:                              ;   in Loop: Header=BB6_129 Depth=2
	s_andn2_saveexec_b64 s[20:21], s[20:21]
; %bb.729:                              ;   in Loop: Header=BB6_129 Depth=2
	v_mov_b32_e32 v6, v27
	v_mov_b32_e32 v7, v28
	v_bfe_u32 v8, v27, 23, 1
; %bb.730:                              ;   in Loop: Header=BB6_129 Depth=2
	s_or_b64 exec, exec, s[20:21]
	v_lshrrev_b64 v[6:7], 21, v[6:7]
	v_cmp_gt_i32_e32 vcc, 32, v8
	v_cndmask_b32_e32 v7, 0, v7, vcc
	v_cndmask_b32_e32 v6, 3, v6, vcc
	v_cmp_eq_u64_e64 s[20:21], 0, v[6:7]
	v_min_i32_e32 v7, 31, v8
	v_lshlrev_b32_e32 v7, 2, v7
	v_cmp_eq_u32_e32 vcc, 0, v8
	v_and_b32_e32 v7, 0xfc, v7
	v_and_or_b32 v6, v6, 3, v7
	s_and_b64 s[20:21], vcc, s[20:21]
	v_cndmask_b32_e64 v6, v6, 0, s[20:21]
	v_or_b32_e32 v6, v6, v26
	buffer_store_dword v6, off, s[0:3], s33 offset:196 ; 4-byte Folded Spill
.LBB6_731:                              ;   in Loop: Header=BB6_129 Depth=2
	s_or_b64 exec, exec, s[90:91]
                                        ; implicit-def: $vgpr26
.LBB6_732:                              ;   in Loop: Header=BB6_129 Depth=2
	s_andn2_saveexec_b64 s[20:21], s[88:89]
	s_cbranch_execz .LBB6_734
; %bb.733:                              ;   in Loop: Header=BB6_129 Depth=2
	v_or_b32_e32 v6, 0x7b, v26
	buffer_store_dword v6, off, s[0:3], s33 offset:196 ; 4-byte Folded Spill
.LBB6_734:                              ;   in Loop: Header=BB6_129 Depth=2
	s_or_b64 exec, exec, s[20:21]
                                        ; implicit-def: $vgpr6
.LBB6_735:                              ;   in Loop: Header=BB6_129 Depth=2
	s_andn2_saveexec_b64 s[20:21], s[78:79]
	s_cbranch_execz .LBB6_741
; %bb.736:                              ;   in Loop: Header=BB6_129 Depth=2
	v_cmp_ne_u64_e32 vcc, 0, v[27:28]
                                        ; implicit-def: $vgpr7
                                        ; kill: killed $vgpr7
	s_and_saveexec_b64 s[78:79], vcc
	s_xor_b64 s[78:79], exec, s[78:79]
	s_cbranch_execz .LBB6_738
; %bb.737:                              ;   in Loop: Header=BB6_129 Depth=2
	v_or_b32_sdwa v6, v6, s65 dst_sel:DWORD dst_unused:UNUSED_PAD src0_sel:BYTE_3 src1_sel:DWORD
	buffer_store_dword v6, off, s[0:3], s33 offset:196 ; 4-byte Folded Spill
                                        ; implicit-def: $vgpr6
.LBB6_738:                              ;   in Loop: Header=BB6_129 Depth=2
	s_andn2_saveexec_b64 s[78:79], s[78:79]
	s_cbranch_execz .LBB6_740
; %bb.739:                              ;   in Loop: Header=BB6_129 Depth=2
	v_cmp_lt_i32_e32 vcc, -1, v6
	v_bfrev_b32_e32 v6, 0.5
	v_mov_b32_e32 v7, 0x7c
	v_cndmask_b32_e32 v6, v6, v7, vcc
	buffer_store_dword v6, off, s[0:3], s33 offset:196 ; 4-byte Folded Spill
.LBB6_740:                              ;   in Loop: Header=BB6_129 Depth=2
	s_or_b64 exec, exec, s[78:79]
.LBB6_741:                              ;   in Loop: Header=BB6_129 Depth=2
	s_or_b64 exec, exec, s[20:21]
	v_lshrrev_b16_e32 v6, 8, v32
	v_cmp_ne_u16_e32 vcc, 0, v6
	v_mov_b32_e32 v8, 0
	v_mov_b32_e32 v26, 0
	s_and_saveexec_b64 s[20:21], vcc
	s_cbranch_execz .LBB6_749
; %bb.742:                              ;   in Loop: Header=BB6_129 Depth=2
	v_cmp_ne_u16_e32 vcc, s55, v6
	v_bfrev_b32_e32 v26, 1
	s_and_saveexec_b64 s[78:79], vcc
	s_cbranch_execz .LBB6_748
; %bb.743:                              ;   in Loop: Header=BB6_129 Depth=2
	v_and_b32_e32 v7, 0x7c, v6
	v_and_b32_e32 v27, 3, v6
	v_cmp_ne_u32_e32 vcc, s53, v7
                                        ; implicit-def: $vgpr26
	s_and_saveexec_b64 s[88:89], vcc
	s_xor_b64 s[88:89], exec, s[88:89]
	s_cbranch_execz .LBB6_745
; %bb.744:                              ;   in Loop: Header=BB6_129 Depth=2
	v_ffbh_u32_e32 v29, v27
	v_min_u32_e32 v29, 32, v29
	v_mov_b32_e32 v7, v28
	v_subrev_u32_e32 v30, 29, v29
	v_bfe_u32 v26, v6, 2, 5
	v_lshlrev_b64 v[6:7], v30, v[6:7]
	v_sub_u32_e32 v7, 30, v29
	v_cmp_eq_u32_e32 vcc, 0, v26
	v_cndmask_b32_e32 v7, v26, v7, vcc
	v_lshlrev_b32_e32 v26, 16, v32
	v_and_b32_e32 v6, 3, v6
	v_and_b32_e32 v26, 0x80000000, v26
	v_cndmask_b32_e32 v6, v27, v6, vcc
	v_lshl_add_u32 v7, v7, 23, v26
	v_lshl_or_b32 v6, v6, 21, v7
	v_add_u32_e32 v26, 0x38000000, v6
                                        ; implicit-def: $vgpr27
.LBB6_745:                              ;   in Loop: Header=BB6_129 Depth=2
	s_andn2_saveexec_b64 s[88:89], s[88:89]
; %bb.746:                              ;   in Loop: Header=BB6_129 Depth=2
	v_cmp_lt_i16_e32 vcc, -1, v32
	v_mov_b32_e32 v6, 0xff800000
	v_mov_b32_e32 v7, 0x7f800000
	v_cndmask_b32_e32 v6, v6, v7, vcc
	v_cmp_eq_u32_e32 vcc, 0, v27
	v_mov_b32_e32 v7, 0x7f800001
	v_cndmask_b32_e32 v26, v7, v6, vcc
; %bb.747:                              ;   in Loop: Header=BB6_129 Depth=2
	s_or_b64 exec, exec, s[88:89]
.LBB6_748:                              ;   in Loop: Header=BB6_129 Depth=2
	s_or_b64 exec, exec, s[78:79]
.LBB6_749:                              ;   in Loop: Header=BB6_129 Depth=2
	s_or_b64 exec, exec, s[20:21]
	v_lshrrev_b16_e32 v6, 8, v2
	v_cmp_ne_u16_e32 vcc, 0, v6
	s_and_saveexec_b64 s[20:21], vcc
	s_cbranch_execz .LBB6_757
; %bb.750:                              ;   in Loop: Header=BB6_129 Depth=2
	v_cmp_ne_u16_e32 vcc, s55, v6
	v_bfrev_b32_e32 v8, 1
	s_and_saveexec_b64 s[78:79], vcc
	s_cbranch_execz .LBB6_756
; %bb.751:                              ;   in Loop: Header=BB6_129 Depth=2
	v_and_b32_e32 v7, 0x7c, v6
	v_and_b32_e32 v27, 3, v6
	v_cmp_ne_u32_e32 vcc, s53, v7
                                        ; implicit-def: $vgpr8
	s_and_saveexec_b64 s[88:89], vcc
	s_xor_b64 s[88:89], exec, s[88:89]
	s_cbranch_execz .LBB6_753
; %bb.752:                              ;   in Loop: Header=BB6_129 Depth=2
	v_ffbh_u32_e32 v29, v27
	v_min_u32_e32 v29, 32, v29
	v_mov_b32_e32 v7, v28
	v_subrev_u32_e32 v30, 29, v29
	v_bfe_u32 v8, v6, 2, 5
	v_lshlrev_b64 v[6:7], v30, v[6:7]
	v_sub_u32_e32 v7, 30, v29
	v_cmp_eq_u32_e32 vcc, 0, v8
	v_cndmask_b32_e32 v7, v8, v7, vcc
	v_lshlrev_b32_e32 v8, 16, v2
	v_and_b32_e32 v6, 3, v6
	v_and_b32_e32 v8, 0x80000000, v8
	v_cndmask_b32_e32 v6, v27, v6, vcc
	v_lshl_add_u32 v7, v7, 23, v8
	v_lshl_or_b32 v6, v6, 21, v7
	v_add_u32_e32 v8, 0x38000000, v6
                                        ; implicit-def: $vgpr27
.LBB6_753:                              ;   in Loop: Header=BB6_129 Depth=2
	s_andn2_saveexec_b64 s[88:89], s[88:89]
; %bb.754:                              ;   in Loop: Header=BB6_129 Depth=2
	v_cmp_lt_i16_e32 vcc, -1, v2
	v_mov_b32_e32 v6, 0xff800000
	v_mov_b32_e32 v7, 0x7f800000
	v_cndmask_b32_e32 v6, v6, v7, vcc
	v_cmp_eq_u32_e32 vcc, 0, v27
	v_mov_b32_e32 v7, 0x7f800001
	v_cndmask_b32_e32 v8, v7, v6, vcc
; %bb.755:                              ;   in Loop: Header=BB6_129 Depth=2
	s_or_b64 exec, exec, s[88:89]
.LBB6_756:                              ;   in Loop: Header=BB6_129 Depth=2
	s_or_b64 exec, exec, s[78:79]
.LBB6_757:                              ;   in Loop: Header=BB6_129 Depth=2
	s_or_b64 exec, exec, s[20:21]
	v_mul_f32_e32 v6, v26, v8
	v_and_b32_e32 v7, 0x7f800000, v6
	v_mov_b32_e32 v8, v28
	v_cmp_ne_u64_e32 vcc, s[60:61], v[7:8]
	v_and_b32_e32 v27, 0x7fffff, v6
                                        ; implicit-def: $vgpr7
                                        ; kill: killed $vgpr7
	s_and_saveexec_b64 s[20:21], vcc
	s_xor_b64 s[78:79], exec, s[20:21]
	s_cbranch_execz .LBB6_771
; %bb.758:                              ;   in Loop: Header=BB6_129 Depth=2
	v_and_b32_e32 v7, 0x7fffffff, v6
	v_mov_b32_e32 v8, v28
	v_cmp_gt_u64_e32 vcc, s[62:63], v[7:8]
	v_and_b32_sdwa v26, v6, s55 dst_sel:DWORD dst_unused:UNUSED_PAD src0_sel:BYTE_3 src1_sel:DWORD
                                        ; implicit-def: $vgpr7
                                        ; kill: killed $vgpr7
	s_and_saveexec_b64 s[20:21], vcc
	s_xor_b64 s[88:89], exec, s[20:21]
	s_cbranch_execz .LBB6_768
; %bb.759:                              ;   in Loop: Header=BB6_129 Depth=2
	v_mov_b32_e32 v7, 0
	v_cmp_ne_u32_e32 vcc, 0, v6
	buffer_store_dword v7, off, s[0:3], s33 offset:204 ; 4-byte Folded Spill
	s_and_saveexec_b64 s[90:91], vcc
	s_cbranch_execz .LBB6_767
; %bb.760:                              ;   in Loop: Header=BB6_129 Depth=2
	v_bfe_u32 v29, v6, 23, 8
	v_cmp_gt_u32_e64 s[20:21], s64, v29
	v_sub_u32_e32 v6, 0x71, v29
	v_cmp_eq_u32_e32 vcc, 0, v29
	v_cndmask_b32_e64 v6, 0, v6, s[20:21]
	v_mov_b32_e32 v8, 0x70
	v_cndmask_b32_e32 v30, v6, v8, vcc
	v_add_u32_e32 v8, 21, v30
	v_or_b32_e32 v7, 0x800000, v27
	v_lshlrev_b64 v[36:37], v8, -1
	v_cndmask_b32_e32 v6, v7, v27, vcc
	v_mov_b32_e32 v7, v28
	v_add_u32_e32 v8, 20, v30
	v_bfi_b32 v36, v36, 0, v6
	v_lshlrev_b64 v[38:39], v8, 1
	v_lshrrev_b64 v[6:7], v30, v[6:7]
	v_bfi_b32 v37, v37, 0, 0
	v_cmp_eq_u64_e64 s[20:21], v[36:37], v[38:39]
	v_mov_b32_e32 v8, v7
	v_mov_b32_e32 v7, v6
	s_and_saveexec_b64 s[92:93], s[20:21]
; %bb.761:                              ;   in Loop: Header=BB6_129 Depth=2
	v_bfe_u32 v7, v6, 21, 1
	v_add_co_u32_e64 v7, s[20:21], v6, v7
	v_add_co_u32_e64 v7, s[20:21], -1, v7
; %bb.762:                              ;   in Loop: Header=BB6_129 Depth=2
	s_or_b64 exec, exec, s[92:93]
	v_add_u32_e32 v8, 0xffffff81, v29
	v_mov_b32_e32 v27, 0xffffff82
	v_cndmask_b32_e32 v8, v8, v27, vcc
	v_lshrrev_b32_e32 v27, 23, v6
	v_add3_u32 v30, v30, v8, v27
	v_add_u32_e32 v29, 14, v30
	v_and_b32_e32 v7, 0x1fffff, v7
	v_add_u32_e32 v27, v7, v6
	v_cmp_ne_u32_e32 vcc, 0, v29
                                        ; implicit-def: $vgpr6_vgpr7
                                        ; implicit-def: $vgpr8
	s_and_saveexec_b64 s[20:21], vcc
	s_xor_b64 s[20:21], exec, s[20:21]
; %bb.763:                              ;   in Loop: Header=BB6_129 Depth=2
	v_cmp_lt_u64_e32 vcc, s[72:73], v[27:28]
	v_add_u32_e32 v6, 15, v30
	v_cndmask_b32_e32 v8, v29, v6, vcc
	v_cndmask_b32_e64 v6, 0, 1, vcc
	v_lshrrev_b64 v[6:7], v6, v[27:28]
; %bb.764:                              ;   in Loop: Header=BB6_129 Depth=2
	s_andn2_saveexec_b64 s[20:21], s[20:21]
; %bb.765:                              ;   in Loop: Header=BB6_129 Depth=2
	v_mov_b32_e32 v6, v27
	v_mov_b32_e32 v7, v28
	v_bfe_u32 v8, v27, 23, 1
; %bb.766:                              ;   in Loop: Header=BB6_129 Depth=2
	s_or_b64 exec, exec, s[20:21]
	v_lshrrev_b64 v[6:7], 21, v[6:7]
	v_cmp_gt_i32_e32 vcc, 32, v8
	v_cndmask_b32_e32 v7, 0, v7, vcc
	v_cndmask_b32_e32 v6, 3, v6, vcc
	v_cmp_eq_u64_e64 s[20:21], 0, v[6:7]
	v_min_i32_e32 v7, 31, v8
	v_lshlrev_b32_e32 v7, 2, v7
	v_cmp_eq_u32_e32 vcc, 0, v8
	v_and_b32_e32 v7, 0xfc, v7
	v_and_or_b32 v6, v6, 3, v7
	s_and_b64 s[20:21], vcc, s[20:21]
	v_cndmask_b32_e64 v6, v6, 0, s[20:21]
	v_or_b32_e32 v6, v6, v26
	buffer_store_dword v6, off, s[0:3], s33 offset:204 ; 4-byte Folded Spill
.LBB6_767:                              ;   in Loop: Header=BB6_129 Depth=2
	s_or_b64 exec, exec, s[90:91]
                                        ; implicit-def: $vgpr26
.LBB6_768:                              ;   in Loop: Header=BB6_129 Depth=2
	s_andn2_saveexec_b64 s[20:21], s[88:89]
	s_cbranch_execz .LBB6_770
; %bb.769:                              ;   in Loop: Header=BB6_129 Depth=2
	v_or_b32_e32 v6, 0x7b, v26
	buffer_store_dword v6, off, s[0:3], s33 offset:204 ; 4-byte Folded Spill
.LBB6_770:                              ;   in Loop: Header=BB6_129 Depth=2
	s_or_b64 exec, exec, s[20:21]
                                        ; implicit-def: $vgpr6
.LBB6_771:                              ;   in Loop: Header=BB6_129 Depth=2
	s_andn2_saveexec_b64 s[20:21], s[78:79]
	s_cbranch_execz .LBB6_777
; %bb.772:                              ;   in Loop: Header=BB6_129 Depth=2
	v_cmp_ne_u64_e32 vcc, 0, v[27:28]
                                        ; implicit-def: $vgpr7
                                        ; kill: killed $vgpr7
	s_and_saveexec_b64 s[78:79], vcc
	s_xor_b64 s[78:79], exec, s[78:79]
	s_cbranch_execz .LBB6_774
; %bb.773:                              ;   in Loop: Header=BB6_129 Depth=2
	v_or_b32_sdwa v6, v6, s65 dst_sel:DWORD dst_unused:UNUSED_PAD src0_sel:BYTE_3 src1_sel:DWORD
	buffer_store_dword v6, off, s[0:3], s33 offset:204 ; 4-byte Folded Spill
                                        ; implicit-def: $vgpr6
.LBB6_774:                              ;   in Loop: Header=BB6_129 Depth=2
	s_andn2_saveexec_b64 s[78:79], s[78:79]
	s_cbranch_execz .LBB6_776
; %bb.775:                              ;   in Loop: Header=BB6_129 Depth=2
	v_cmp_lt_i32_e32 vcc, -1, v6
	v_bfrev_b32_e32 v6, 0.5
	v_mov_b32_e32 v7, 0x7c
	v_cndmask_b32_e32 v6, v6, v7, vcc
	buffer_store_dword v6, off, s[0:3], s33 offset:204 ; 4-byte Folded Spill
.LBB6_776:                              ;   in Loop: Header=BB6_129 Depth=2
	s_or_b64 exec, exec, s[78:79]
.LBB6_777:                              ;   in Loop: Header=BB6_129 Depth=2
	s_or_b64 exec, exec, s[20:21]
	v_lshrrev_b32_e32 v6, 16, v32
	v_cmp_ne_u16_sdwa s[78:79], v6, v28 src0_sel:BYTE_0 src1_sel:DWORD
	v_mov_b32_e32 v7, 0
	v_mov_b32_e32 v8, 0
	s_and_saveexec_b64 s[20:21], s[78:79]
	s_cbranch_execz .LBB6_785
; %bb.778:                              ;   in Loop: Header=BB6_129 Depth=2
	v_cmp_ne_u16_sdwa s[88:89], v6, s55 src0_sel:BYTE_0 src1_sel:DWORD
	v_bfrev_b32_e32 v8, 1
	s_and_saveexec_b64 s[78:79], s[88:89]
	s_cbranch_execz .LBB6_784
; %bb.779:                              ;   in Loop: Header=BB6_129 Depth=2
	v_and_b32_e32 v8, 0x7c0000, v32
	v_bfe_u32 v26, v32, 16, 2
	v_cmp_ne_u32_e32 vcc, s66, v8
                                        ; implicit-def: $vgpr8
	s_and_saveexec_b64 s[88:89], vcc
	s_xor_b64 s[88:89], exec, s[88:89]
	s_cbranch_execz .LBB6_781
; %bb.780:                              ;   in Loop: Header=BB6_129 Depth=2
	v_ffbh_u32_e32 v27, v26
	v_min_u32_e32 v27, 32, v27
	v_subrev_u32_e32 v29, 29, v27
	v_lshlrev_b64 v[29:30], v29, v[6:7]
	v_bfe_u32 v8, v32, 18, 5
	v_sub_u32_e32 v6, 30, v27
	v_and_b32_e32 v27, 3, v29
	v_cmp_eq_u32_e32 vcc, 0, v8
	v_cndmask_b32_e32 v6, v8, v6, vcc
	v_cndmask_b32_e32 v8, v26, v27, vcc
	v_lshlrev_b32_e32 v26, 8, v32
	v_and_b32_e32 v26, 0x80000000, v26
	v_lshl_add_u32 v6, v6, 23, v26
	v_lshl_or_b32 v6, v8, 21, v6
	v_add_u32_e32 v8, 0x38000000, v6
                                        ; implicit-def: $vgpr26
                                        ; implicit-def: $vgpr6
.LBB6_781:                              ;   in Loop: Header=BB6_129 Depth=2
	s_andn2_saveexec_b64 s[88:89], s[88:89]
; %bb.782:                              ;   in Loop: Header=BB6_129 Depth=2
	v_mov_b32_e32 v8, -1
	v_cmp_gt_i16_sdwa vcc, sext(v6), v8 src0_sel:BYTE_0 src1_sel:DWORD
	v_mov_b32_e32 v6, 0xff800000
	v_mov_b32_e32 v8, 0x7f800000
	v_cndmask_b32_e32 v6, v6, v8, vcc
	v_cmp_eq_u32_e32 vcc, 0, v26
	v_mov_b32_e32 v8, 0x7f800001
	v_cndmask_b32_e32 v8, v8, v6, vcc
; %bb.783:                              ;   in Loop: Header=BB6_129 Depth=2
	s_or_b64 exec, exec, s[88:89]
.LBB6_784:                              ;   in Loop: Header=BB6_129 Depth=2
	s_or_b64 exec, exec, s[78:79]
.LBB6_785:                              ;   in Loop: Header=BB6_129 Depth=2
	s_or_b64 exec, exec, s[20:21]
	v_lshrrev_b32_e32 v6, 16, v2
	v_cmp_ne_u16_sdwa s[78:79], v6, v28 src0_sel:BYTE_0 src1_sel:DWORD
	s_and_saveexec_b64 s[20:21], s[78:79]
	s_cbranch_execz .LBB6_793
; %bb.786:                              ;   in Loop: Header=BB6_129 Depth=2
	v_cmp_ne_u16_sdwa s[88:89], v6, s55 src0_sel:BYTE_0 src1_sel:DWORD
	v_bfrev_b32_e32 v7, 1
	s_and_saveexec_b64 s[78:79], s[88:89]
	s_cbranch_execz .LBB6_792
; %bb.787:                              ;   in Loop: Header=BB6_129 Depth=2
	v_and_b32_e32 v7, 0x7c0000, v2
	v_bfe_u32 v26, v2, 16, 2
	v_cmp_ne_u32_e32 vcc, s66, v7
                                        ; implicit-def: $vgpr7
	s_and_saveexec_b64 s[88:89], vcc
	s_xor_b64 s[88:89], exec, s[88:89]
	s_cbranch_execz .LBB6_789
; %bb.788:                              ;   in Loop: Header=BB6_129 Depth=2
	v_ffbh_u32_e32 v7, v26
	v_min_u32_e32 v29, 32, v7
	v_subrev_u32_e32 v7, 29, v29
	v_lshlrev_b64 v[6:7], v7, v[6:7]
	v_bfe_u32 v27, v2, 18, 5
	v_and_b32_e32 v6, 3, v6
	v_cmp_eq_u32_e32 vcc, 0, v27
	v_sub_u32_e32 v7, 30, v29
	v_cndmask_b32_e32 v6, v26, v6, vcc
	v_lshlrev_b32_e32 v26, 8, v2
	v_cndmask_b32_e32 v7, v27, v7, vcc
	v_and_b32_e32 v26, 0x80000000, v26
	v_lshl_add_u32 v7, v7, 23, v26
	v_lshl_or_b32 v6, v6, 21, v7
	v_add_u32_e32 v7, 0x38000000, v6
                                        ; implicit-def: $vgpr26
                                        ; implicit-def: $vgpr6
.LBB6_789:                              ;   in Loop: Header=BB6_129 Depth=2
	s_andn2_saveexec_b64 s[88:89], s[88:89]
; %bb.790:                              ;   in Loop: Header=BB6_129 Depth=2
	v_mov_b32_e32 v7, -1
	v_cmp_gt_i16_sdwa vcc, sext(v6), v7 src0_sel:BYTE_0 src1_sel:DWORD
	v_mov_b32_e32 v6, 0xff800000
	v_mov_b32_e32 v7, 0x7f800000
	v_cndmask_b32_e32 v6, v6, v7, vcc
	v_cmp_eq_u32_e32 vcc, 0, v26
	v_mov_b32_e32 v7, 0x7f800001
	v_cndmask_b32_e32 v7, v7, v6, vcc
; %bb.791:                              ;   in Loop: Header=BB6_129 Depth=2
	s_or_b64 exec, exec, s[88:89]
.LBB6_792:                              ;   in Loop: Header=BB6_129 Depth=2
	s_or_b64 exec, exec, s[78:79]
.LBB6_793:                              ;   in Loop: Header=BB6_129 Depth=2
	s_or_b64 exec, exec, s[20:21]
	v_mul_f32_e32 v6, v8, v7
	v_and_b32_e32 v7, 0x7f800000, v6
	v_mov_b32_e32 v8, v28
	v_cmp_ne_u64_e32 vcc, s[60:61], v[7:8]
	v_and_b32_e32 v27, 0x7fffff, v6
                                        ; implicit-def: $vgpr7
                                        ; kill: killed $vgpr7
	s_and_saveexec_b64 s[20:21], vcc
	s_xor_b64 s[78:79], exec, s[20:21]
	s_cbranch_execz .LBB6_807
; %bb.794:                              ;   in Loop: Header=BB6_129 Depth=2
	v_and_b32_e32 v7, 0x7fffffff, v6
	v_mov_b32_e32 v8, v28
	v_cmp_gt_u64_e32 vcc, s[62:63], v[7:8]
	v_and_b32_sdwa v26, v6, s55 dst_sel:DWORD dst_unused:UNUSED_PAD src0_sel:BYTE_3 src1_sel:DWORD
                                        ; implicit-def: $vgpr7
                                        ; kill: killed $vgpr7
	s_and_saveexec_b64 s[20:21], vcc
	s_xor_b64 s[88:89], exec, s[20:21]
	s_cbranch_execz .LBB6_804
; %bb.795:                              ;   in Loop: Header=BB6_129 Depth=2
	v_mov_b32_e32 v7, 0
	v_cmp_ne_u32_e32 vcc, 0, v6
	buffer_store_dword v7, off, s[0:3], s33 offset:212 ; 4-byte Folded Spill
	s_and_saveexec_b64 s[90:91], vcc
	s_cbranch_execz .LBB6_803
; %bb.796:                              ;   in Loop: Header=BB6_129 Depth=2
	v_bfe_u32 v29, v6, 23, 8
	v_cmp_gt_u32_e64 s[20:21], s64, v29
	v_sub_u32_e32 v6, 0x71, v29
	v_cmp_eq_u32_e32 vcc, 0, v29
	v_cndmask_b32_e64 v6, 0, v6, s[20:21]
	v_mov_b32_e32 v8, 0x70
	v_cndmask_b32_e32 v30, v6, v8, vcc
	v_add_u32_e32 v8, 21, v30
	v_or_b32_e32 v7, 0x800000, v27
	v_lshlrev_b64 v[36:37], v8, -1
	v_cndmask_b32_e32 v6, v7, v27, vcc
	v_mov_b32_e32 v7, v28
	v_add_u32_e32 v8, 20, v30
	v_bfi_b32 v36, v36, 0, v6
	v_lshlrev_b64 v[38:39], v8, 1
	v_lshrrev_b64 v[6:7], v30, v[6:7]
	v_bfi_b32 v37, v37, 0, 0
	v_cmp_eq_u64_e64 s[20:21], v[36:37], v[38:39]
	v_mov_b32_e32 v8, v7
	v_mov_b32_e32 v7, v6
	s_and_saveexec_b64 s[92:93], s[20:21]
; %bb.797:                              ;   in Loop: Header=BB6_129 Depth=2
	v_bfe_u32 v7, v6, 21, 1
	v_add_co_u32_e64 v7, s[20:21], v6, v7
	v_add_co_u32_e64 v7, s[20:21], -1, v7
; %bb.798:                              ;   in Loop: Header=BB6_129 Depth=2
	s_or_b64 exec, exec, s[92:93]
	v_add_u32_e32 v8, 0xffffff81, v29
	v_mov_b32_e32 v27, 0xffffff82
	v_cndmask_b32_e32 v8, v8, v27, vcc
	v_lshrrev_b32_e32 v27, 23, v6
	v_add3_u32 v30, v30, v8, v27
	v_add_u32_e32 v29, 14, v30
	v_and_b32_e32 v7, 0x1fffff, v7
	v_add_u32_e32 v27, v7, v6
	v_cmp_ne_u32_e32 vcc, 0, v29
                                        ; implicit-def: $vgpr6_vgpr7
                                        ; implicit-def: $vgpr8
	s_and_saveexec_b64 s[20:21], vcc
	s_xor_b64 s[20:21], exec, s[20:21]
; %bb.799:                              ;   in Loop: Header=BB6_129 Depth=2
	v_cmp_lt_u64_e32 vcc, s[72:73], v[27:28]
	v_add_u32_e32 v6, 15, v30
	v_cndmask_b32_e32 v8, v29, v6, vcc
	v_cndmask_b32_e64 v6, 0, 1, vcc
	v_lshrrev_b64 v[6:7], v6, v[27:28]
; %bb.800:                              ;   in Loop: Header=BB6_129 Depth=2
	s_andn2_saveexec_b64 s[20:21], s[20:21]
; %bb.801:                              ;   in Loop: Header=BB6_129 Depth=2
	v_mov_b32_e32 v6, v27
	v_mov_b32_e32 v7, v28
	v_bfe_u32 v8, v27, 23, 1
; %bb.802:                              ;   in Loop: Header=BB6_129 Depth=2
	s_or_b64 exec, exec, s[20:21]
	v_lshrrev_b64 v[6:7], 21, v[6:7]
	v_cmp_gt_i32_e32 vcc, 32, v8
	v_cndmask_b32_e32 v7, 0, v7, vcc
	v_cndmask_b32_e32 v6, 3, v6, vcc
	v_cmp_eq_u64_e64 s[20:21], 0, v[6:7]
	v_min_i32_e32 v7, 31, v8
	v_lshlrev_b32_e32 v7, 2, v7
	v_cmp_eq_u32_e32 vcc, 0, v8
	v_and_b32_e32 v7, 0xfc, v7
	v_and_or_b32 v6, v6, 3, v7
	s_and_b64 s[20:21], vcc, s[20:21]
	v_cndmask_b32_e64 v6, v6, 0, s[20:21]
	v_or_b32_e32 v6, v6, v26
	buffer_store_dword v6, off, s[0:3], s33 offset:212 ; 4-byte Folded Spill
.LBB6_803:                              ;   in Loop: Header=BB6_129 Depth=2
	s_or_b64 exec, exec, s[90:91]
                                        ; implicit-def: $vgpr26
.LBB6_804:                              ;   in Loop: Header=BB6_129 Depth=2
	s_andn2_saveexec_b64 s[20:21], s[88:89]
	s_cbranch_execz .LBB6_806
; %bb.805:                              ;   in Loop: Header=BB6_129 Depth=2
	v_or_b32_e32 v6, 0x7b, v26
	buffer_store_dword v6, off, s[0:3], s33 offset:212 ; 4-byte Folded Spill
.LBB6_806:                              ;   in Loop: Header=BB6_129 Depth=2
	s_or_b64 exec, exec, s[20:21]
                                        ; implicit-def: $vgpr6
.LBB6_807:                              ;   in Loop: Header=BB6_129 Depth=2
	s_andn2_saveexec_b64 s[20:21], s[78:79]
	s_cbranch_execz .LBB6_813
; %bb.808:                              ;   in Loop: Header=BB6_129 Depth=2
	v_cmp_ne_u64_e32 vcc, 0, v[27:28]
                                        ; implicit-def: $vgpr7
                                        ; kill: killed $vgpr7
	s_and_saveexec_b64 s[78:79], vcc
	s_xor_b64 s[78:79], exec, s[78:79]
	s_cbranch_execz .LBB6_810
; %bb.809:                              ;   in Loop: Header=BB6_129 Depth=2
	v_or_b32_sdwa v6, v6, s65 dst_sel:DWORD dst_unused:UNUSED_PAD src0_sel:BYTE_3 src1_sel:DWORD
	buffer_store_dword v6, off, s[0:3], s33 offset:212 ; 4-byte Folded Spill
                                        ; implicit-def: $vgpr6
.LBB6_810:                              ;   in Loop: Header=BB6_129 Depth=2
	s_andn2_saveexec_b64 s[78:79], s[78:79]
	s_cbranch_execz .LBB6_812
; %bb.811:                              ;   in Loop: Header=BB6_129 Depth=2
	v_cmp_lt_i32_e32 vcc, -1, v6
	v_bfrev_b32_e32 v6, 0.5
	v_mov_b32_e32 v7, 0x7c
	v_cndmask_b32_e32 v6, v6, v7, vcc
	buffer_store_dword v6, off, s[0:3], s33 offset:212 ; 4-byte Folded Spill
.LBB6_812:                              ;   in Loop: Header=BB6_129 Depth=2
	s_or_b64 exec, exec, s[78:79]
.LBB6_813:                              ;   in Loop: Header=BB6_129 Depth=2
	s_or_b64 exec, exec, s[20:21]
	v_cmp_lt_u32_e32 vcc, s59, v32
	v_mov_b32_e32 v7, 0
	v_mov_b32_e32 v8, 0
	s_and_saveexec_b64 s[20:21], vcc
	s_cbranch_execz .LBB6_821
; %bb.814:                              ;   in Loop: Header=BB6_129 Depth=2
	v_lshrrev_b32_e32 v6, 24, v32
	v_cmp_ne_u32_e32 vcc, s55, v6
	v_bfrev_b32_e32 v8, 1
	s_and_saveexec_b64 s[78:79], vcc
	s_cbranch_execz .LBB6_820
; %bb.815:                              ;   in Loop: Header=BB6_129 Depth=2
	v_and_b32_e32 v8, 0x7c000000, v32
	v_bfe_u32 v26, v32, 24, 2
	v_cmp_ne_u32_e32 vcc, s67, v8
                                        ; implicit-def: $vgpr8
	s_and_saveexec_b64 s[88:89], vcc
	s_xor_b64 s[88:89], exec, s[88:89]
	s_cbranch_execz .LBB6_817
; %bb.816:                              ;   in Loop: Header=BB6_129 Depth=2
	v_ffbh_u32_e32 v27, v26
	v_min_u32_e32 v27, 32, v27
	v_subrev_u32_e32 v29, 29, v27
	v_lshlrev_b64 v[29:30], v29, v[6:7]
	v_bfe_u32 v8, v32, 26, 5
	v_sub_u32_e32 v6, 30, v27
	v_and_b32_e32 v27, 3, v29
	v_cmp_eq_u32_e32 vcc, 0, v8
	v_cndmask_b32_e32 v6, v8, v6, vcc
	v_cndmask_b32_e32 v8, v26, v27, vcc
	v_and_b32_e32 v26, 0x80000000, v32
	v_lshl_add_u32 v6, v6, 23, v26
	v_lshl_or_b32 v6, v8, 21, v6
	v_add_u32_e32 v8, 0x38000000, v6
                                        ; implicit-def: $vgpr26
.LBB6_817:                              ;   in Loop: Header=BB6_129 Depth=2
	s_andn2_saveexec_b64 s[88:89], s[88:89]
; %bb.818:                              ;   in Loop: Header=BB6_129 Depth=2
	v_cmp_lt_i32_e32 vcc, -1, v32
	v_mov_b32_e32 v6, 0xff800000
	v_mov_b32_e32 v8, 0x7f800000
	v_cndmask_b32_e32 v6, v6, v8, vcc
	v_cmp_eq_u32_e32 vcc, 0, v26
	v_mov_b32_e32 v8, 0x7f800001
	v_cndmask_b32_e32 v8, v8, v6, vcc
; %bb.819:                              ;   in Loop: Header=BB6_129 Depth=2
	s_or_b64 exec, exec, s[88:89]
.LBB6_820:                              ;   in Loop: Header=BB6_129 Depth=2
	s_or_b64 exec, exec, s[78:79]
.LBB6_821:                              ;   in Loop: Header=BB6_129 Depth=2
	s_or_b64 exec, exec, s[20:21]
	v_cmp_lt_u32_e32 vcc, s59, v2
	s_and_saveexec_b64 s[20:21], vcc
	s_cbranch_execz .LBB6_829
; %bb.822:                              ;   in Loop: Header=BB6_129 Depth=2
	v_lshrrev_b32_e32 v6, 24, v2
	v_cmp_ne_u32_e32 vcc, s55, v6
	v_bfrev_b32_e32 v7, 1
	s_and_saveexec_b64 s[78:79], vcc
	s_cbranch_execz .LBB6_828
; %bb.823:                              ;   in Loop: Header=BB6_129 Depth=2
	v_and_b32_e32 v7, 0x7c000000, v2
	v_bfe_u32 v26, v2, 24, 2
	v_cmp_ne_u32_e32 vcc, s67, v7
                                        ; implicit-def: $vgpr7
	s_and_saveexec_b64 s[88:89], vcc
	s_xor_b64 s[88:89], exec, s[88:89]
	s_cbranch_execz .LBB6_825
; %bb.824:                              ;   in Loop: Header=BB6_129 Depth=2
	v_ffbh_u32_e32 v7, v26
	v_min_u32_e32 v29, 32, v7
	v_subrev_u32_e32 v7, 29, v29
	v_lshlrev_b64 v[6:7], v7, v[6:7]
	v_bfe_u32 v27, v2, 26, 5
	v_sub_u32_e32 v7, 30, v29
	v_and_b32_e32 v6, 3, v6
	v_cmp_eq_u32_e32 vcc, 0, v27
	v_cndmask_b32_e32 v7, v27, v7, vcc
	v_cndmask_b32_e32 v6, v26, v6, vcc
	v_and_b32_e32 v26, 0x80000000, v2
	v_lshl_add_u32 v7, v7, 23, v26
	v_lshl_or_b32 v6, v6, 21, v7
	v_add_u32_e32 v7, 0x38000000, v6
                                        ; implicit-def: $vgpr26
.LBB6_825:                              ;   in Loop: Header=BB6_129 Depth=2
	s_andn2_saveexec_b64 s[88:89], s[88:89]
; %bb.826:                              ;   in Loop: Header=BB6_129 Depth=2
	v_cmp_lt_i32_e32 vcc, -1, v2
	v_mov_b32_e32 v6, 0xff800000
	v_mov_b32_e32 v7, 0x7f800000
	v_cndmask_b32_e32 v6, v6, v7, vcc
	v_cmp_eq_u32_e32 vcc, 0, v26
	v_mov_b32_e32 v7, 0x7f800001
	v_cndmask_b32_e32 v7, v7, v6, vcc
; %bb.827:                              ;   in Loop: Header=BB6_129 Depth=2
	s_or_b64 exec, exec, s[88:89]
.LBB6_828:                              ;   in Loop: Header=BB6_129 Depth=2
	s_or_b64 exec, exec, s[78:79]
.LBB6_829:                              ;   in Loop: Header=BB6_129 Depth=2
	s_or_b64 exec, exec, s[20:21]
	v_mul_f32_e32 v6, v8, v7
	v_and_b32_e32 v7, 0x7f800000, v6
	v_mov_b32_e32 v8, v28
	v_cmp_ne_u64_e32 vcc, s[60:61], v[7:8]
	v_and_b32_e32 v27, 0x7fffff, v6
                                        ; implicit-def: $vgpr7
                                        ; kill: killed $vgpr7
	s_and_saveexec_b64 s[20:21], vcc
	s_xor_b64 s[78:79], exec, s[20:21]
	s_cbranch_execz .LBB6_843
; %bb.830:                              ;   in Loop: Header=BB6_129 Depth=2
	v_and_b32_e32 v7, 0x7fffffff, v6
	v_mov_b32_e32 v8, v28
	v_cmp_gt_u64_e32 vcc, s[62:63], v[7:8]
	v_and_b32_sdwa v26, v6, s55 dst_sel:DWORD dst_unused:UNUSED_PAD src0_sel:BYTE_3 src1_sel:DWORD
                                        ; implicit-def: $vgpr7
                                        ; kill: killed $vgpr7
	s_and_saveexec_b64 s[20:21], vcc
	s_xor_b64 s[88:89], exec, s[20:21]
	s_cbranch_execz .LBB6_840
; %bb.831:                              ;   in Loop: Header=BB6_129 Depth=2
	v_mov_b32_e32 v7, 0
	v_cmp_ne_u32_e32 vcc, 0, v6
	buffer_store_dword v7, off, s[0:3], s33 offset:220 ; 4-byte Folded Spill
	s_and_saveexec_b64 s[90:91], vcc
	s_cbranch_execz .LBB6_839
; %bb.832:                              ;   in Loop: Header=BB6_129 Depth=2
	v_bfe_u32 v29, v6, 23, 8
	v_cmp_gt_u32_e64 s[20:21], s64, v29
	v_sub_u32_e32 v6, 0x71, v29
	v_cmp_eq_u32_e32 vcc, 0, v29
	v_cndmask_b32_e64 v6, 0, v6, s[20:21]
	v_mov_b32_e32 v8, 0x70
	v_cndmask_b32_e32 v30, v6, v8, vcc
	v_add_u32_e32 v8, 21, v30
	v_or_b32_e32 v7, 0x800000, v27
	v_lshlrev_b64 v[36:37], v8, -1
	v_cndmask_b32_e32 v6, v7, v27, vcc
	v_mov_b32_e32 v7, v28
	v_add_u32_e32 v8, 20, v30
	v_bfi_b32 v36, v36, 0, v6
	v_lshlrev_b64 v[38:39], v8, 1
	v_lshrrev_b64 v[6:7], v30, v[6:7]
	v_bfi_b32 v37, v37, 0, 0
	v_cmp_eq_u64_e64 s[20:21], v[36:37], v[38:39]
	v_mov_b32_e32 v8, v7
	v_mov_b32_e32 v7, v6
	s_and_saveexec_b64 s[92:93], s[20:21]
; %bb.833:                              ;   in Loop: Header=BB6_129 Depth=2
	v_bfe_u32 v7, v6, 21, 1
	v_add_co_u32_e64 v7, s[20:21], v6, v7
	v_add_co_u32_e64 v7, s[20:21], -1, v7
; %bb.834:                              ;   in Loop: Header=BB6_129 Depth=2
	s_or_b64 exec, exec, s[92:93]
	v_add_u32_e32 v8, 0xffffff81, v29
	v_mov_b32_e32 v27, 0xffffff82
	v_cndmask_b32_e32 v8, v8, v27, vcc
	v_lshrrev_b32_e32 v27, 23, v6
	v_add3_u32 v30, v30, v8, v27
	v_add_u32_e32 v29, 14, v30
	v_and_b32_e32 v7, 0x1fffff, v7
	v_add_u32_e32 v27, v7, v6
	v_cmp_ne_u32_e32 vcc, 0, v29
                                        ; implicit-def: $vgpr6_vgpr7
                                        ; implicit-def: $vgpr8
	s_and_saveexec_b64 s[20:21], vcc
	s_xor_b64 s[20:21], exec, s[20:21]
; %bb.835:                              ;   in Loop: Header=BB6_129 Depth=2
	v_cmp_lt_u64_e32 vcc, s[72:73], v[27:28]
	v_add_u32_e32 v6, 15, v30
	v_cndmask_b32_e32 v8, v29, v6, vcc
	v_cndmask_b32_e64 v6, 0, 1, vcc
	v_lshrrev_b64 v[6:7], v6, v[27:28]
; %bb.836:                              ;   in Loop: Header=BB6_129 Depth=2
	s_andn2_saveexec_b64 s[20:21], s[20:21]
; %bb.837:                              ;   in Loop: Header=BB6_129 Depth=2
	v_mov_b32_e32 v6, v27
	v_mov_b32_e32 v7, v28
	v_bfe_u32 v8, v27, 23, 1
; %bb.838:                              ;   in Loop: Header=BB6_129 Depth=2
	s_or_b64 exec, exec, s[20:21]
	v_lshrrev_b64 v[6:7], 21, v[6:7]
	v_cmp_gt_i32_e32 vcc, 32, v8
	v_cndmask_b32_e32 v7, 0, v7, vcc
	v_cndmask_b32_e32 v6, 3, v6, vcc
	v_cmp_eq_u64_e64 s[20:21], 0, v[6:7]
	v_min_i32_e32 v7, 31, v8
	v_lshlrev_b32_e32 v7, 2, v7
	v_cmp_eq_u32_e32 vcc, 0, v8
	v_and_b32_e32 v7, 0xfc, v7
	v_and_or_b32 v6, v6, 3, v7
	s_and_b64 s[20:21], vcc, s[20:21]
	v_cndmask_b32_e64 v6, v6, 0, s[20:21]
	v_or_b32_e32 v6, v6, v26
	buffer_store_dword v6, off, s[0:3], s33 offset:220 ; 4-byte Folded Spill
.LBB6_839:                              ;   in Loop: Header=BB6_129 Depth=2
	s_or_b64 exec, exec, s[90:91]
                                        ; implicit-def: $vgpr26
.LBB6_840:                              ;   in Loop: Header=BB6_129 Depth=2
	s_andn2_saveexec_b64 s[20:21], s[88:89]
	s_cbranch_execz .LBB6_842
; %bb.841:                              ;   in Loop: Header=BB6_129 Depth=2
	v_or_b32_e32 v6, 0x7b, v26
	buffer_store_dword v6, off, s[0:3], s33 offset:220 ; 4-byte Folded Spill
.LBB6_842:                              ;   in Loop: Header=BB6_129 Depth=2
	s_or_b64 exec, exec, s[20:21]
                                        ; implicit-def: $vgpr6
.LBB6_843:                              ;   in Loop: Header=BB6_129 Depth=2
	s_andn2_saveexec_b64 s[20:21], s[78:79]
	s_cbranch_execz .LBB6_849
; %bb.844:                              ;   in Loop: Header=BB6_129 Depth=2
	v_cmp_ne_u64_e32 vcc, 0, v[27:28]
                                        ; implicit-def: $vgpr7
                                        ; kill: killed $vgpr7
	s_and_saveexec_b64 s[78:79], vcc
	s_xor_b64 s[78:79], exec, s[78:79]
	s_cbranch_execz .LBB6_846
; %bb.845:                              ;   in Loop: Header=BB6_129 Depth=2
	v_or_b32_sdwa v6, v6, s65 dst_sel:DWORD dst_unused:UNUSED_PAD src0_sel:BYTE_3 src1_sel:DWORD
	buffer_store_dword v6, off, s[0:3], s33 offset:220 ; 4-byte Folded Spill
                                        ; implicit-def: $vgpr6
.LBB6_846:                              ;   in Loop: Header=BB6_129 Depth=2
	s_andn2_saveexec_b64 s[78:79], s[78:79]
	s_cbranch_execz .LBB6_848
; %bb.847:                              ;   in Loop: Header=BB6_129 Depth=2
	v_cmp_lt_i32_e32 vcc, -1, v6
	v_bfrev_b32_e32 v6, 0.5
	v_mov_b32_e32 v7, 0x7c
	v_cndmask_b32_e32 v6, v6, v7, vcc
	buffer_store_dword v6, off, s[0:3], s33 offset:220 ; 4-byte Folded Spill
.LBB6_848:                              ;   in Loop: Header=BB6_129 Depth=2
	s_or_b64 exec, exec, s[78:79]
.LBB6_849:                              ;   in Loop: Header=BB6_129 Depth=2
	s_or_b64 exec, exec, s[20:21]
	v_mov_b32_e32 v27, v33
	v_cmp_ne_u16_sdwa s[78:79], v33, v28 src0_sel:BYTE_0 src1_sel:DWORD
	v_mov_b32_e32 v7, 0
	v_mov_b32_e32 v6, 0
	s_and_saveexec_b64 s[20:21], s[78:79]
	s_cbranch_execz .LBB6_857
; %bb.850:                              ;   in Loop: Header=BB6_129 Depth=2
	v_cmp_ne_u16_sdwa s[88:89], v33, s55 src0_sel:BYTE_0 src1_sel:DWORD
	v_bfrev_b32_e32 v6, 1
	s_and_saveexec_b64 s[78:79], s[88:89]
	s_cbranch_execz .LBB6_856
; %bb.851:                              ;   in Loop: Header=BB6_129 Depth=2
	v_and_b32_e32 v6, 0x7c, v33
	v_and_b32_e32 v8, 3, v33
	v_cmp_ne_u32_e32 vcc, s53, v6
                                        ; implicit-def: $vgpr6
	s_and_saveexec_b64 s[88:89], vcc
	s_xor_b64 s[88:89], exec, s[88:89]
	s_cbranch_execz .LBB6_853
; %bb.852:                              ;   in Loop: Header=BB6_129 Depth=2
	v_ffbh_u32_e32 v26, v8
	v_min_u32_e32 v26, 32, v26
	v_bfe_u32 v6, v33, 2, 5
	v_subrev_u32_e32 v29, 29, v26
	v_lshlrev_b64 v[29:30], v29, v[27:28]
	v_sub_u32_e32 v26, 30, v26
	v_cmp_eq_u32_e32 vcc, 0, v6
	v_cndmask_b32_e32 v6, v6, v26, vcc
	v_lshlrev_b32_e32 v26, 24, v33
	v_and_b32_e32 v29, 3, v29
	v_and_b32_e32 v26, 0x80000000, v26
	v_cndmask_b32_e32 v8, v8, v29, vcc
	v_lshl_add_u32 v6, v6, 23, v26
	v_lshl_or_b32 v6, v8, 21, v6
	v_add_u32_e32 v6, 0x38000000, v6
                                        ; implicit-def: $vgpr8
.LBB6_853:                              ;   in Loop: Header=BB6_129 Depth=2
	s_andn2_saveexec_b64 s[88:89], s[88:89]
; %bb.854:                              ;   in Loop: Header=BB6_129 Depth=2
	v_mov_b32_e32 v6, -1
	v_cmp_gt_i16_sdwa vcc, sext(v33), v6 src0_sel:BYTE_0 src1_sel:DWORD
	v_mov_b32_e32 v6, 0xff800000
	v_mov_b32_e32 v26, 0x7f800000
	v_cndmask_b32_e32 v6, v6, v26, vcc
	v_cmp_eq_u32_e32 vcc, 0, v8
	v_mov_b32_e32 v8, 0x7f800001
	v_cndmask_b32_e32 v6, v8, v6, vcc
; %bb.855:                              ;   in Loop: Header=BB6_129 Depth=2
	s_or_b64 exec, exec, s[88:89]
.LBB6_856:                              ;   in Loop: Header=BB6_129 Depth=2
	s_or_b64 exec, exec, s[78:79]
.LBB6_857:                              ;   in Loop: Header=BB6_129 Depth=2
	s_or_b64 exec, exec, s[20:21]
	v_cmp_ne_u16_sdwa s[78:79], v3, v28 src0_sel:BYTE_0 src1_sel:DWORD
	s_and_saveexec_b64 s[20:21], s[78:79]
	s_cbranch_execz .LBB6_865
; %bb.858:                              ;   in Loop: Header=BB6_129 Depth=2
	v_cmp_ne_u16_sdwa s[88:89], v3, s55 src0_sel:BYTE_0 src1_sel:DWORD
	v_bfrev_b32_e32 v7, 1
	s_and_saveexec_b64 s[78:79], s[88:89]
	s_cbranch_execz .LBB6_864
; %bb.859:                              ;   in Loop: Header=BB6_129 Depth=2
	v_and_b32_e32 v7, 0x7c, v3
	v_and_b32_e32 v8, 3, v3
	v_cmp_ne_u32_e32 vcc, s53, v7
                                        ; implicit-def: $vgpr7
	s_and_saveexec_b64 s[88:89], vcc
	s_xor_b64 s[88:89], exec, s[88:89]
	s_cbranch_execz .LBB6_861
; %bb.860:                              ;   in Loop: Header=BB6_129 Depth=2
	v_ffbh_u32_e32 v26, v8
	v_min_u32_e32 v26, 32, v26
	v_mov_b32_e32 v29, v3
	v_mov_b32_e32 v30, v28
	v_bfe_u32 v7, v3, 2, 5
	v_subrev_u32_e32 v31, 29, v26
	v_lshlrev_b64 v[29:30], v31, v[29:30]
	v_sub_u32_e32 v26, 30, v26
	v_cmp_eq_u32_e32 vcc, 0, v7
	v_cndmask_b32_e32 v7, v7, v26, vcc
	v_lshlrev_b32_e32 v26, 24, v3
	v_and_b32_e32 v29, 3, v29
	v_and_b32_e32 v26, 0x80000000, v26
	v_cndmask_b32_e32 v8, v8, v29, vcc
	v_lshl_add_u32 v7, v7, 23, v26
	v_lshl_or_b32 v7, v8, 21, v7
	v_add_u32_e32 v7, 0x38000000, v7
                                        ; implicit-def: $vgpr8
.LBB6_861:                              ;   in Loop: Header=BB6_129 Depth=2
	s_andn2_saveexec_b64 s[88:89], s[88:89]
; %bb.862:                              ;   in Loop: Header=BB6_129 Depth=2
	v_mov_b32_e32 v7, -1
	v_cmp_gt_i16_sdwa vcc, sext(v3), v7 src0_sel:BYTE_0 src1_sel:DWORD
	v_mov_b32_e32 v7, 0xff800000
	v_mov_b32_e32 v26, 0x7f800000
	v_cndmask_b32_e32 v7, v7, v26, vcc
	v_cmp_eq_u32_e32 vcc, 0, v8
	v_mov_b32_e32 v8, 0x7f800001
	v_cndmask_b32_e32 v7, v8, v7, vcc
; %bb.863:                              ;   in Loop: Header=BB6_129 Depth=2
	s_or_b64 exec, exec, s[88:89]
.LBB6_864:                              ;   in Loop: Header=BB6_129 Depth=2
	s_or_b64 exec, exec, s[78:79]
.LBB6_865:                              ;   in Loop: Header=BB6_129 Depth=2
	s_or_b64 exec, exec, s[20:21]
	v_mul_f32_e32 v8, v6, v7
	v_and_b32_e32 v29, 0x7f800000, v8
	v_mov_b32_e32 v30, v28
	v_cmp_ne_u64_e32 vcc, s[60:61], v[29:30]
	v_and_b32_e32 v6, 0x7fffff, v8
	v_mov_b32_e32 v7, v28
                                        ; implicit-def: $vgpr26
                                        ; kill: killed $vgpr26
	s_and_saveexec_b64 s[20:21], vcc
	s_xor_b64 s[78:79], exec, s[20:21]
	s_cbranch_execz .LBB6_879
; %bb.866:                              ;   in Loop: Header=BB6_129 Depth=2
	v_and_b32_e32 v29, 0x7fffffff, v8
	v_mov_b32_e32 v30, v28
	v_cmp_gt_u64_e32 vcc, s[62:63], v[29:30]
	v_and_b32_sdwa v26, v8, s55 dst_sel:DWORD dst_unused:UNUSED_PAD src0_sel:BYTE_3 src1_sel:DWORD
                                        ; implicit-def: $vgpr29
                                        ; kill: killed $vgpr29
	s_and_saveexec_b64 s[20:21], vcc
	s_xor_b64 s[88:89], exec, s[20:21]
	s_cbranch_execz .LBB6_876
; %bb.867:                              ;   in Loop: Header=BB6_129 Depth=2
	v_mov_b32_e32 v29, 0
	v_cmp_ne_u32_e32 vcc, 0, v8
	buffer_store_dword v29, off, s[0:3], s33 offset:228 ; 4-byte Folded Spill
	s_and_saveexec_b64 s[90:91], vcc
	s_cbranch_execz .LBB6_875
; %bb.868:                              ;   in Loop: Header=BB6_129 Depth=2
	v_bfe_u32 v29, v8, 23, 8
	v_cmp_gt_u32_e64 s[20:21], s64, v29
	v_sub_u32_e32 v8, 0x71, v29
	v_cmp_eq_u32_e32 vcc, 0, v29
	v_cndmask_b32_e64 v8, 0, v8, s[20:21]
	v_mov_b32_e32 v30, 0x70
	v_cndmask_b32_e32 v30, v8, v30, vcc
	v_add_u32_e32 v8, 21, v30
	v_or_b32_e32 v31, 0x800000, v6
	v_lshlrev_b64 v[36:37], v8, -1
	v_cndmask_b32_e32 v6, v31, v6, vcc
	v_add_u32_e32 v8, 20, v30
	v_bfi_b32 v36, v36, 0, v6
	v_lshlrev_b64 v[38:39], v8, 1
	v_lshrrev_b64 v[6:7], v30, v[6:7]
	v_bfi_b32 v37, v37, 0, 0
	v_cmp_eq_u64_e64 s[20:21], v[36:37], v[38:39]
	v_mov_b32_e32 v8, v7
	v_mov_b32_e32 v7, v6
	s_and_saveexec_b64 s[92:93], s[20:21]
; %bb.869:                              ;   in Loop: Header=BB6_129 Depth=2
	v_bfe_u32 v7, v6, 21, 1
	v_add_co_u32_e64 v7, s[20:21], v6, v7
	v_add_co_u32_e64 v7, s[20:21], -1, v7
; %bb.870:                              ;   in Loop: Header=BB6_129 Depth=2
	s_or_b64 exec, exec, s[92:93]
	v_add_u32_e32 v8, 0xffffff81, v29
	v_mov_b32_e32 v29, 0xffffff82
	v_cndmask_b32_e32 v8, v8, v29, vcc
	v_lshrrev_b32_e32 v29, 23, v6
	v_add3_u32 v30, v30, v8, v29
	v_add_u32_e32 v29, 14, v30
	v_and_b32_e32 v7, 0x1fffff, v7
	v_add_u32_e32 v6, v7, v6
	v_mov_b32_e32 v7, v28
	v_cmp_ne_u32_e32 vcc, 0, v29
                                        ; implicit-def: $vgpr8
	s_and_saveexec_b64 s[20:21], vcc
	s_xor_b64 s[20:21], exec, s[20:21]
; %bb.871:                              ;   in Loop: Header=BB6_129 Depth=2
	v_cmp_lt_u64_e32 vcc, s[72:73], v[6:7]
	v_add_u32_e32 v8, 15, v30
	v_cndmask_b32_e32 v8, v29, v8, vcc
	v_cndmask_b32_e64 v29, 0, 1, vcc
	v_lshrrev_b64 v[6:7], v29, v[6:7]
; %bb.872:                              ;   in Loop: Header=BB6_129 Depth=2
	s_andn2_saveexec_b64 s[20:21], s[20:21]
; %bb.873:                              ;   in Loop: Header=BB6_129 Depth=2
	v_bfe_u32 v8, v6, 23, 1
; %bb.874:                              ;   in Loop: Header=BB6_129 Depth=2
	s_or_b64 exec, exec, s[20:21]
	v_lshrrev_b64 v[6:7], 21, v[6:7]
	v_cmp_gt_i32_e32 vcc, 32, v8
	v_cndmask_b32_e32 v7, 0, v7, vcc
	v_cndmask_b32_e32 v6, 3, v6, vcc
	v_cmp_eq_u64_e64 s[20:21], 0, v[6:7]
	v_min_i32_e32 v7, 31, v8
	v_lshlrev_b32_e32 v7, 2, v7
	v_cmp_eq_u32_e32 vcc, 0, v8
	v_and_b32_e32 v7, 0xfc, v7
	v_and_or_b32 v6, v6, 3, v7
	s_and_b64 s[20:21], vcc, s[20:21]
	v_cndmask_b32_e64 v6, v6, 0, s[20:21]
	v_or_b32_e32 v6, v6, v26
	buffer_store_dword v6, off, s[0:3], s33 offset:228 ; 4-byte Folded Spill
.LBB6_875:                              ;   in Loop: Header=BB6_129 Depth=2
	s_or_b64 exec, exec, s[90:91]
                                        ; implicit-def: $vgpr26
.LBB6_876:                              ;   in Loop: Header=BB6_129 Depth=2
	s_andn2_saveexec_b64 s[20:21], s[88:89]
	s_cbranch_execz .LBB6_878
; %bb.877:                              ;   in Loop: Header=BB6_129 Depth=2
	v_or_b32_e32 v6, 0x7b, v26
	buffer_store_dword v6, off, s[0:3], s33 offset:228 ; 4-byte Folded Spill
.LBB6_878:                              ;   in Loop: Header=BB6_129 Depth=2
	s_or_b64 exec, exec, s[20:21]
                                        ; implicit-def: $vgpr8
                                        ; implicit-def: $vgpr6_vgpr7
.LBB6_879:                              ;   in Loop: Header=BB6_129 Depth=2
	s_andn2_saveexec_b64 s[20:21], s[78:79]
	s_cbranch_execz .LBB6_885
; %bb.880:                              ;   in Loop: Header=BB6_129 Depth=2
	v_cmp_ne_u64_e32 vcc, 0, v[6:7]
                                        ; implicit-def: $vgpr6
                                        ; kill: killed $vgpr6
	s_and_saveexec_b64 s[78:79], vcc
	s_xor_b64 s[78:79], exec, s[78:79]
	s_cbranch_execz .LBB6_882
; %bb.881:                              ;   in Loop: Header=BB6_129 Depth=2
	v_or_b32_sdwa v6, v8, s65 dst_sel:DWORD dst_unused:UNUSED_PAD src0_sel:BYTE_3 src1_sel:DWORD
	buffer_store_dword v6, off, s[0:3], s33 offset:228 ; 4-byte Folded Spill
                                        ; implicit-def: $vgpr8
.LBB6_882:                              ;   in Loop: Header=BB6_129 Depth=2
	s_andn2_saveexec_b64 s[78:79], s[78:79]
	s_cbranch_execz .LBB6_884
; %bb.883:                              ;   in Loop: Header=BB6_129 Depth=2
	v_cmp_lt_i32_e32 vcc, -1, v8
	v_bfrev_b32_e32 v6, 0.5
	v_mov_b32_e32 v7, 0x7c
	v_cndmask_b32_e32 v6, v6, v7, vcc
	buffer_store_dword v6, off, s[0:3], s33 offset:228 ; 4-byte Folded Spill
.LBB6_884:                              ;   in Loop: Header=BB6_129 Depth=2
	s_or_b64 exec, exec, s[78:79]
.LBB6_885:                              ;   in Loop: Header=BB6_129 Depth=2
	s_or_b64 exec, exec, s[20:21]
	v_lshrrev_b16_e32 v6, 8, v27
	v_cmp_ne_u16_e32 vcc, 0, v6
	v_mov_b32_e32 v8, 0
	v_mov_b32_e32 v26, 0
	s_and_saveexec_b64 s[20:21], vcc
	s_cbranch_execz .LBB6_893
; %bb.886:                              ;   in Loop: Header=BB6_129 Depth=2
	v_cmp_ne_u16_e32 vcc, s55, v6
	v_bfrev_b32_e32 v26, 1
	s_and_saveexec_b64 s[78:79], vcc
	s_cbranch_execz .LBB6_892
; %bb.887:                              ;   in Loop: Header=BB6_129 Depth=2
	v_and_b32_e32 v7, 0x7c, v6
	v_and_b32_e32 v29, 3, v6
	v_cmp_ne_u32_e32 vcc, s53, v7
                                        ; implicit-def: $vgpr26
	s_and_saveexec_b64 s[88:89], vcc
	s_xor_b64 s[88:89], exec, s[88:89]
	s_cbranch_execz .LBB6_889
; %bb.888:                              ;   in Loop: Header=BB6_129 Depth=2
	v_ffbh_u32_e32 v30, v29
	v_min_u32_e32 v30, 32, v30
	v_mov_b32_e32 v7, v28
	v_subrev_u32_e32 v31, 29, v30
	v_bfe_u32 v26, v6, 2, 5
	v_lshlrev_b64 v[6:7], v31, v[6:7]
	v_sub_u32_e32 v7, 30, v30
	v_cmp_eq_u32_e32 vcc, 0, v26
	v_cndmask_b32_e32 v7, v26, v7, vcc
	v_lshlrev_b32_e32 v26, 16, v27
	v_and_b32_e32 v6, 3, v6
	v_and_b32_e32 v26, 0x80000000, v26
	v_cndmask_b32_e32 v6, v29, v6, vcc
	v_lshl_add_u32 v7, v7, 23, v26
	v_lshl_or_b32 v6, v6, 21, v7
	v_add_u32_e32 v26, 0x38000000, v6
                                        ; implicit-def: $vgpr29
.LBB6_889:                              ;   in Loop: Header=BB6_129 Depth=2
	s_andn2_saveexec_b64 s[88:89], s[88:89]
; %bb.890:                              ;   in Loop: Header=BB6_129 Depth=2
	v_cmp_lt_i16_e32 vcc, -1, v27
	v_mov_b32_e32 v6, 0xff800000
	v_mov_b32_e32 v7, 0x7f800000
	v_cndmask_b32_e32 v6, v6, v7, vcc
	v_cmp_eq_u32_e32 vcc, 0, v29
	v_mov_b32_e32 v7, 0x7f800001
	v_cndmask_b32_e32 v26, v7, v6, vcc
; %bb.891:                              ;   in Loop: Header=BB6_129 Depth=2
	s_or_b64 exec, exec, s[88:89]
.LBB6_892:                              ;   in Loop: Header=BB6_129 Depth=2
	s_or_b64 exec, exec, s[78:79]
.LBB6_893:                              ;   in Loop: Header=BB6_129 Depth=2
	s_or_b64 exec, exec, s[20:21]
	v_lshrrev_b16_e32 v6, 8, v3
	v_cmp_ne_u16_e32 vcc, 0, v6
	s_and_saveexec_b64 s[20:21], vcc
	s_cbranch_execz .LBB6_901
; %bb.894:                              ;   in Loop: Header=BB6_129 Depth=2
	v_cmp_ne_u16_e32 vcc, s55, v6
	v_bfrev_b32_e32 v8, 1
	s_and_saveexec_b64 s[78:79], vcc
	s_cbranch_execz .LBB6_900
; %bb.895:                              ;   in Loop: Header=BB6_129 Depth=2
	v_and_b32_e32 v7, 0x7c, v6
	v_and_b32_e32 v27, 3, v6
	v_cmp_ne_u32_e32 vcc, s53, v7
                                        ; implicit-def: $vgpr8
	s_and_saveexec_b64 s[88:89], vcc
	s_xor_b64 s[88:89], exec, s[88:89]
	s_cbranch_execz .LBB6_897
; %bb.896:                              ;   in Loop: Header=BB6_129 Depth=2
	v_ffbh_u32_e32 v29, v27
	v_min_u32_e32 v29, 32, v29
	v_mov_b32_e32 v7, v28
	v_subrev_u32_e32 v30, 29, v29
	v_bfe_u32 v8, v6, 2, 5
	v_lshlrev_b64 v[6:7], v30, v[6:7]
	v_sub_u32_e32 v7, 30, v29
	v_cmp_eq_u32_e32 vcc, 0, v8
	v_cndmask_b32_e32 v7, v8, v7, vcc
	v_lshlrev_b32_e32 v8, 16, v3
	v_and_b32_e32 v6, 3, v6
	v_and_b32_e32 v8, 0x80000000, v8
	v_cndmask_b32_e32 v6, v27, v6, vcc
	v_lshl_add_u32 v7, v7, 23, v8
	v_lshl_or_b32 v6, v6, 21, v7
	v_add_u32_e32 v8, 0x38000000, v6
                                        ; implicit-def: $vgpr27
.LBB6_897:                              ;   in Loop: Header=BB6_129 Depth=2
	s_andn2_saveexec_b64 s[88:89], s[88:89]
; %bb.898:                              ;   in Loop: Header=BB6_129 Depth=2
	v_cmp_lt_i16_e32 vcc, -1, v3
	v_mov_b32_e32 v6, 0xff800000
	v_mov_b32_e32 v7, 0x7f800000
	v_cndmask_b32_e32 v6, v6, v7, vcc
	v_cmp_eq_u32_e32 vcc, 0, v27
	v_mov_b32_e32 v7, 0x7f800001
	v_cndmask_b32_e32 v8, v7, v6, vcc
; %bb.899:                              ;   in Loop: Header=BB6_129 Depth=2
	s_or_b64 exec, exec, s[88:89]
.LBB6_900:                              ;   in Loop: Header=BB6_129 Depth=2
	s_or_b64 exec, exec, s[78:79]
.LBB6_901:                              ;   in Loop: Header=BB6_129 Depth=2
	s_or_b64 exec, exec, s[20:21]
	v_mul_f32_e32 v6, v26, v8
	v_and_b32_e32 v7, 0x7f800000, v6
	v_mov_b32_e32 v8, v28
	v_cmp_ne_u64_e32 vcc, s[60:61], v[7:8]
	v_and_b32_e32 v27, 0x7fffff, v6
                                        ; implicit-def: $vgpr7
                                        ; kill: killed $vgpr7
	s_and_saveexec_b64 s[20:21], vcc
	s_xor_b64 s[78:79], exec, s[20:21]
	s_cbranch_execz .LBB6_915
; %bb.902:                              ;   in Loop: Header=BB6_129 Depth=2
	v_and_b32_e32 v7, 0x7fffffff, v6
	v_mov_b32_e32 v8, v28
	v_cmp_gt_u64_e32 vcc, s[62:63], v[7:8]
	v_and_b32_sdwa v26, v6, s55 dst_sel:DWORD dst_unused:UNUSED_PAD src0_sel:BYTE_3 src1_sel:DWORD
                                        ; implicit-def: $vgpr7
                                        ; kill: killed $vgpr7
	s_and_saveexec_b64 s[20:21], vcc
	s_xor_b64 s[88:89], exec, s[20:21]
	s_cbranch_execz .LBB6_912
; %bb.903:                              ;   in Loop: Header=BB6_129 Depth=2
	v_mov_b32_e32 v7, 0
	v_cmp_ne_u32_e32 vcc, 0, v6
	buffer_store_dword v7, off, s[0:3], s33 offset:256 ; 4-byte Folded Spill
	s_and_saveexec_b64 s[90:91], vcc
	s_cbranch_execz .LBB6_911
; %bb.904:                              ;   in Loop: Header=BB6_129 Depth=2
	v_bfe_u32 v29, v6, 23, 8
	v_cmp_gt_u32_e64 s[20:21], s64, v29
	v_sub_u32_e32 v6, 0x71, v29
	v_cmp_eq_u32_e32 vcc, 0, v29
	v_cndmask_b32_e64 v6, 0, v6, s[20:21]
	v_mov_b32_e32 v8, 0x70
	v_cndmask_b32_e32 v30, v6, v8, vcc
	v_add_u32_e32 v8, 21, v30
	v_or_b32_e32 v7, 0x800000, v27
	v_lshlrev_b64 v[36:37], v8, -1
	v_cndmask_b32_e32 v6, v7, v27, vcc
	v_mov_b32_e32 v7, v28
	v_add_u32_e32 v8, 20, v30
	v_bfi_b32 v36, v36, 0, v6
	v_lshlrev_b64 v[38:39], v8, 1
	v_lshrrev_b64 v[6:7], v30, v[6:7]
	v_bfi_b32 v37, v37, 0, 0
	v_cmp_eq_u64_e64 s[20:21], v[36:37], v[38:39]
	v_mov_b32_e32 v8, v7
	v_mov_b32_e32 v7, v6
	s_and_saveexec_b64 s[92:93], s[20:21]
; %bb.905:                              ;   in Loop: Header=BB6_129 Depth=2
	v_bfe_u32 v7, v6, 21, 1
	v_add_co_u32_e64 v7, s[20:21], v6, v7
	v_add_co_u32_e64 v7, s[20:21], -1, v7
; %bb.906:                              ;   in Loop: Header=BB6_129 Depth=2
	s_or_b64 exec, exec, s[92:93]
	v_add_u32_e32 v8, 0xffffff81, v29
	v_mov_b32_e32 v27, 0xffffff82
	v_cndmask_b32_e32 v8, v8, v27, vcc
	v_lshrrev_b32_e32 v27, 23, v6
	v_add3_u32 v30, v30, v8, v27
	v_add_u32_e32 v29, 14, v30
	v_and_b32_e32 v7, 0x1fffff, v7
	v_add_u32_e32 v27, v7, v6
	v_cmp_ne_u32_e32 vcc, 0, v29
                                        ; implicit-def: $vgpr6_vgpr7
                                        ; implicit-def: $vgpr8
	s_and_saveexec_b64 s[20:21], vcc
	s_xor_b64 s[20:21], exec, s[20:21]
; %bb.907:                              ;   in Loop: Header=BB6_129 Depth=2
	v_cmp_lt_u64_e32 vcc, s[72:73], v[27:28]
	v_add_u32_e32 v6, 15, v30
	v_cndmask_b32_e32 v8, v29, v6, vcc
	v_cndmask_b32_e64 v6, 0, 1, vcc
	v_lshrrev_b64 v[6:7], v6, v[27:28]
; %bb.908:                              ;   in Loop: Header=BB6_129 Depth=2
	s_andn2_saveexec_b64 s[20:21], s[20:21]
; %bb.909:                              ;   in Loop: Header=BB6_129 Depth=2
	v_mov_b32_e32 v6, v27
	v_mov_b32_e32 v7, v28
	v_bfe_u32 v8, v27, 23, 1
; %bb.910:                              ;   in Loop: Header=BB6_129 Depth=2
	s_or_b64 exec, exec, s[20:21]
	v_lshrrev_b64 v[6:7], 21, v[6:7]
	v_cmp_gt_i32_e32 vcc, 32, v8
	v_cndmask_b32_e32 v7, 0, v7, vcc
	v_cndmask_b32_e32 v6, 3, v6, vcc
	v_cmp_eq_u64_e64 s[20:21], 0, v[6:7]
	v_min_i32_e32 v7, 31, v8
	v_lshlrev_b32_e32 v7, 2, v7
	v_cmp_eq_u32_e32 vcc, 0, v8
	v_and_b32_e32 v7, 0xfc, v7
	v_and_or_b32 v6, v6, 3, v7
	s_and_b64 s[20:21], vcc, s[20:21]
	v_cndmask_b32_e64 v6, v6, 0, s[20:21]
	v_or_b32_e32 v6, v6, v26
	buffer_store_dword v6, off, s[0:3], s33 offset:256 ; 4-byte Folded Spill
.LBB6_911:                              ;   in Loop: Header=BB6_129 Depth=2
	s_or_b64 exec, exec, s[90:91]
                                        ; implicit-def: $vgpr26
.LBB6_912:                              ;   in Loop: Header=BB6_129 Depth=2
	s_andn2_saveexec_b64 s[20:21], s[88:89]
	s_cbranch_execz .LBB6_914
; %bb.913:                              ;   in Loop: Header=BB6_129 Depth=2
	v_or_b32_e32 v6, 0x7b, v26
	buffer_store_dword v6, off, s[0:3], s33 offset:256 ; 4-byte Folded Spill
.LBB6_914:                              ;   in Loop: Header=BB6_129 Depth=2
	s_or_b64 exec, exec, s[20:21]
                                        ; implicit-def: $vgpr6
.LBB6_915:                              ;   in Loop: Header=BB6_129 Depth=2
	s_andn2_saveexec_b64 s[20:21], s[78:79]
	s_cbranch_execz .LBB6_921
; %bb.916:                              ;   in Loop: Header=BB6_129 Depth=2
	v_cmp_ne_u64_e32 vcc, 0, v[27:28]
                                        ; implicit-def: $vgpr7
                                        ; kill: killed $vgpr7
	s_and_saveexec_b64 s[78:79], vcc
	s_xor_b64 s[78:79], exec, s[78:79]
	s_cbranch_execz .LBB6_918
; %bb.917:                              ;   in Loop: Header=BB6_129 Depth=2
	v_or_b32_sdwa v6, v6, s65 dst_sel:DWORD dst_unused:UNUSED_PAD src0_sel:BYTE_3 src1_sel:DWORD
	buffer_store_dword v6, off, s[0:3], s33 offset:256 ; 4-byte Folded Spill
                                        ; implicit-def: $vgpr6
.LBB6_918:                              ;   in Loop: Header=BB6_129 Depth=2
	s_andn2_saveexec_b64 s[78:79], s[78:79]
	s_cbranch_execz .LBB6_920
; %bb.919:                              ;   in Loop: Header=BB6_129 Depth=2
	v_cmp_lt_i32_e32 vcc, -1, v6
	v_bfrev_b32_e32 v6, 0.5
	v_mov_b32_e32 v7, 0x7c
	v_cndmask_b32_e32 v6, v6, v7, vcc
	buffer_store_dword v6, off, s[0:3], s33 offset:256 ; 4-byte Folded Spill
.LBB6_920:                              ;   in Loop: Header=BB6_129 Depth=2
	s_or_b64 exec, exec, s[78:79]
.LBB6_921:                              ;   in Loop: Header=BB6_129 Depth=2
	s_or_b64 exec, exec, s[20:21]
	v_lshrrev_b32_e32 v6, 16, v33
	v_cmp_ne_u16_sdwa s[78:79], v6, v28 src0_sel:BYTE_0 src1_sel:DWORD
	v_mov_b32_e32 v7, 0
	v_mov_b32_e32 v8, 0
	s_and_saveexec_b64 s[20:21], s[78:79]
	s_cbranch_execz .LBB6_929
; %bb.922:                              ;   in Loop: Header=BB6_129 Depth=2
	v_cmp_ne_u16_sdwa s[88:89], v6, s55 src0_sel:BYTE_0 src1_sel:DWORD
	v_bfrev_b32_e32 v8, 1
	s_and_saveexec_b64 s[78:79], s[88:89]
	s_cbranch_execz .LBB6_928
; %bb.923:                              ;   in Loop: Header=BB6_129 Depth=2
	v_and_b32_e32 v8, 0x7c0000, v33
	v_bfe_u32 v26, v33, 16, 2
	v_cmp_ne_u32_e32 vcc, s66, v8
                                        ; implicit-def: $vgpr8
	s_and_saveexec_b64 s[88:89], vcc
	s_xor_b64 s[88:89], exec, s[88:89]
	s_cbranch_execz .LBB6_925
; %bb.924:                              ;   in Loop: Header=BB6_129 Depth=2
	v_ffbh_u32_e32 v27, v26
	v_min_u32_e32 v27, 32, v27
	v_subrev_u32_e32 v29, 29, v27
	v_lshlrev_b64 v[29:30], v29, v[6:7]
	v_bfe_u32 v8, v33, 18, 5
	v_sub_u32_e32 v6, 30, v27
	v_and_b32_e32 v27, 3, v29
	v_cmp_eq_u32_e32 vcc, 0, v8
	v_cndmask_b32_e32 v6, v8, v6, vcc
	v_cndmask_b32_e32 v8, v26, v27, vcc
	v_lshlrev_b32_e32 v26, 8, v33
	v_and_b32_e32 v26, 0x80000000, v26
	v_lshl_add_u32 v6, v6, 23, v26
	v_lshl_or_b32 v6, v8, 21, v6
	v_add_u32_e32 v8, 0x38000000, v6
                                        ; implicit-def: $vgpr26
                                        ; implicit-def: $vgpr6
.LBB6_925:                              ;   in Loop: Header=BB6_129 Depth=2
	s_andn2_saveexec_b64 s[88:89], s[88:89]
; %bb.926:                              ;   in Loop: Header=BB6_129 Depth=2
	v_mov_b32_e32 v8, -1
	v_cmp_gt_i16_sdwa vcc, sext(v6), v8 src0_sel:BYTE_0 src1_sel:DWORD
	v_mov_b32_e32 v6, 0xff800000
	v_mov_b32_e32 v8, 0x7f800000
	v_cndmask_b32_e32 v6, v6, v8, vcc
	v_cmp_eq_u32_e32 vcc, 0, v26
	v_mov_b32_e32 v8, 0x7f800001
	v_cndmask_b32_e32 v8, v8, v6, vcc
; %bb.927:                              ;   in Loop: Header=BB6_129 Depth=2
	s_or_b64 exec, exec, s[88:89]
.LBB6_928:                              ;   in Loop: Header=BB6_129 Depth=2
	s_or_b64 exec, exec, s[78:79]
.LBB6_929:                              ;   in Loop: Header=BB6_129 Depth=2
	s_or_b64 exec, exec, s[20:21]
	v_lshrrev_b32_e32 v6, 16, v3
	v_cmp_ne_u16_sdwa s[78:79], v6, v28 src0_sel:BYTE_0 src1_sel:DWORD
	s_and_saveexec_b64 s[20:21], s[78:79]
	s_cbranch_execz .LBB6_937
; %bb.930:                              ;   in Loop: Header=BB6_129 Depth=2
	v_cmp_ne_u16_sdwa s[88:89], v6, s55 src0_sel:BYTE_0 src1_sel:DWORD
	v_bfrev_b32_e32 v7, 1
	s_and_saveexec_b64 s[78:79], s[88:89]
	s_cbranch_execz .LBB6_936
; %bb.931:                              ;   in Loop: Header=BB6_129 Depth=2
	v_and_b32_e32 v7, 0x7c0000, v3
	v_bfe_u32 v26, v3, 16, 2
	v_cmp_ne_u32_e32 vcc, s66, v7
                                        ; implicit-def: $vgpr7
	s_and_saveexec_b64 s[88:89], vcc
	s_xor_b64 s[88:89], exec, s[88:89]
	s_cbranch_execz .LBB6_933
; %bb.932:                              ;   in Loop: Header=BB6_129 Depth=2
	v_ffbh_u32_e32 v7, v26
	v_min_u32_e32 v29, 32, v7
	v_subrev_u32_e32 v7, 29, v29
	v_lshlrev_b64 v[6:7], v7, v[6:7]
	v_bfe_u32 v27, v3, 18, 5
	v_and_b32_e32 v6, 3, v6
	v_cmp_eq_u32_e32 vcc, 0, v27
	v_sub_u32_e32 v7, 30, v29
	v_cndmask_b32_e32 v6, v26, v6, vcc
	v_lshlrev_b32_e32 v26, 8, v3
	v_cndmask_b32_e32 v7, v27, v7, vcc
	v_and_b32_e32 v26, 0x80000000, v26
	v_lshl_add_u32 v7, v7, 23, v26
	v_lshl_or_b32 v6, v6, 21, v7
	v_add_u32_e32 v7, 0x38000000, v6
                                        ; implicit-def: $vgpr26
                                        ; implicit-def: $vgpr6
.LBB6_933:                              ;   in Loop: Header=BB6_129 Depth=2
	s_andn2_saveexec_b64 s[88:89], s[88:89]
; %bb.934:                              ;   in Loop: Header=BB6_129 Depth=2
	v_mov_b32_e32 v7, -1
	v_cmp_gt_i16_sdwa vcc, sext(v6), v7 src0_sel:BYTE_0 src1_sel:DWORD
	v_mov_b32_e32 v6, 0xff800000
	v_mov_b32_e32 v7, 0x7f800000
	v_cndmask_b32_e32 v6, v6, v7, vcc
	v_cmp_eq_u32_e32 vcc, 0, v26
	v_mov_b32_e32 v7, 0x7f800001
	v_cndmask_b32_e32 v7, v7, v6, vcc
; %bb.935:                              ;   in Loop: Header=BB6_129 Depth=2
	s_or_b64 exec, exec, s[88:89]
.LBB6_936:                              ;   in Loop: Header=BB6_129 Depth=2
	s_or_b64 exec, exec, s[78:79]
.LBB6_937:                              ;   in Loop: Header=BB6_129 Depth=2
	s_or_b64 exec, exec, s[20:21]
	v_mul_f32_e32 v6, v8, v7
	v_and_b32_e32 v7, 0x7f800000, v6
	v_mov_b32_e32 v8, v28
	v_cmp_ne_u64_e32 vcc, s[60:61], v[7:8]
	v_and_b32_e32 v27, 0x7fffff, v6
                                        ; implicit-def: $vgpr7
                                        ; kill: killed $vgpr7
	s_and_saveexec_b64 s[20:21], vcc
	s_xor_b64 s[78:79], exec, s[20:21]
	s_cbranch_execz .LBB6_951
; %bb.938:                              ;   in Loop: Header=BB6_129 Depth=2
	v_and_b32_e32 v7, 0x7fffffff, v6
	v_mov_b32_e32 v8, v28
	v_cmp_gt_u64_e32 vcc, s[62:63], v[7:8]
	v_and_b32_sdwa v26, v6, s55 dst_sel:DWORD dst_unused:UNUSED_PAD src0_sel:BYTE_3 src1_sel:DWORD
                                        ; implicit-def: $vgpr7
                                        ; kill: killed $vgpr7
	s_and_saveexec_b64 s[20:21], vcc
	s_xor_b64 s[88:89], exec, s[20:21]
	s_cbranch_execz .LBB6_948
; %bb.939:                              ;   in Loop: Header=BB6_129 Depth=2
	v_mov_b32_e32 v7, 0
	v_cmp_ne_u32_e32 vcc, 0, v6
	buffer_store_dword v7, off, s[0:3], s33 offset:260 ; 4-byte Folded Spill
	s_and_saveexec_b64 s[90:91], vcc
	s_cbranch_execz .LBB6_947
; %bb.940:                              ;   in Loop: Header=BB6_129 Depth=2
	v_bfe_u32 v29, v6, 23, 8
	v_cmp_gt_u32_e64 s[20:21], s64, v29
	v_sub_u32_e32 v6, 0x71, v29
	v_cmp_eq_u32_e32 vcc, 0, v29
	v_cndmask_b32_e64 v6, 0, v6, s[20:21]
	v_mov_b32_e32 v8, 0x70
	v_cndmask_b32_e32 v30, v6, v8, vcc
	v_add_u32_e32 v8, 21, v30
	v_or_b32_e32 v7, 0x800000, v27
	v_lshlrev_b64 v[36:37], v8, -1
	v_cndmask_b32_e32 v6, v7, v27, vcc
	v_mov_b32_e32 v7, v28
	v_add_u32_e32 v8, 20, v30
	v_bfi_b32 v36, v36, 0, v6
	v_lshlrev_b64 v[38:39], v8, 1
	v_lshrrev_b64 v[6:7], v30, v[6:7]
	v_bfi_b32 v37, v37, 0, 0
	v_cmp_eq_u64_e64 s[20:21], v[36:37], v[38:39]
	v_mov_b32_e32 v8, v7
	v_mov_b32_e32 v7, v6
	s_and_saveexec_b64 s[92:93], s[20:21]
; %bb.941:                              ;   in Loop: Header=BB6_129 Depth=2
	v_bfe_u32 v7, v6, 21, 1
	v_add_co_u32_e64 v7, s[20:21], v6, v7
	v_add_co_u32_e64 v7, s[20:21], -1, v7
; %bb.942:                              ;   in Loop: Header=BB6_129 Depth=2
	s_or_b64 exec, exec, s[92:93]
	v_add_u32_e32 v8, 0xffffff81, v29
	v_mov_b32_e32 v27, 0xffffff82
	v_cndmask_b32_e32 v8, v8, v27, vcc
	v_lshrrev_b32_e32 v27, 23, v6
	v_add3_u32 v30, v30, v8, v27
	v_add_u32_e32 v29, 14, v30
	v_and_b32_e32 v7, 0x1fffff, v7
	v_add_u32_e32 v27, v7, v6
	v_cmp_ne_u32_e32 vcc, 0, v29
                                        ; implicit-def: $vgpr6_vgpr7
                                        ; implicit-def: $vgpr8
	s_and_saveexec_b64 s[20:21], vcc
	s_xor_b64 s[20:21], exec, s[20:21]
; %bb.943:                              ;   in Loop: Header=BB6_129 Depth=2
	v_cmp_lt_u64_e32 vcc, s[72:73], v[27:28]
	v_add_u32_e32 v6, 15, v30
	v_cndmask_b32_e32 v8, v29, v6, vcc
	v_cndmask_b32_e64 v6, 0, 1, vcc
	v_lshrrev_b64 v[6:7], v6, v[27:28]
; %bb.944:                              ;   in Loop: Header=BB6_129 Depth=2
	s_andn2_saveexec_b64 s[20:21], s[20:21]
; %bb.945:                              ;   in Loop: Header=BB6_129 Depth=2
	v_mov_b32_e32 v6, v27
	v_mov_b32_e32 v7, v28
	v_bfe_u32 v8, v27, 23, 1
; %bb.946:                              ;   in Loop: Header=BB6_129 Depth=2
	s_or_b64 exec, exec, s[20:21]
	v_lshrrev_b64 v[6:7], 21, v[6:7]
	v_cmp_gt_i32_e32 vcc, 32, v8
	v_cndmask_b32_e32 v7, 0, v7, vcc
	v_cndmask_b32_e32 v6, 3, v6, vcc
	v_cmp_eq_u64_e64 s[20:21], 0, v[6:7]
	v_min_i32_e32 v7, 31, v8
	v_lshlrev_b32_e32 v7, 2, v7
	v_cmp_eq_u32_e32 vcc, 0, v8
	v_and_b32_e32 v7, 0xfc, v7
	v_and_or_b32 v6, v6, 3, v7
	s_and_b64 s[20:21], vcc, s[20:21]
	v_cndmask_b32_e64 v6, v6, 0, s[20:21]
	v_or_b32_e32 v6, v6, v26
	buffer_store_dword v6, off, s[0:3], s33 offset:260 ; 4-byte Folded Spill
.LBB6_947:                              ;   in Loop: Header=BB6_129 Depth=2
	s_or_b64 exec, exec, s[90:91]
                                        ; implicit-def: $vgpr26
.LBB6_948:                              ;   in Loop: Header=BB6_129 Depth=2
	s_andn2_saveexec_b64 s[20:21], s[88:89]
	s_cbranch_execz .LBB6_950
; %bb.949:                              ;   in Loop: Header=BB6_129 Depth=2
	v_or_b32_e32 v6, 0x7b, v26
	buffer_store_dword v6, off, s[0:3], s33 offset:260 ; 4-byte Folded Spill
.LBB6_950:                              ;   in Loop: Header=BB6_129 Depth=2
	s_or_b64 exec, exec, s[20:21]
                                        ; implicit-def: $vgpr6
.LBB6_951:                              ;   in Loop: Header=BB6_129 Depth=2
	s_andn2_saveexec_b64 s[20:21], s[78:79]
	s_cbranch_execz .LBB6_957
; %bb.952:                              ;   in Loop: Header=BB6_129 Depth=2
	v_cmp_ne_u64_e32 vcc, 0, v[27:28]
                                        ; implicit-def: $vgpr7
                                        ; kill: killed $vgpr7
	s_and_saveexec_b64 s[78:79], vcc
	s_xor_b64 s[78:79], exec, s[78:79]
	s_cbranch_execz .LBB6_954
; %bb.953:                              ;   in Loop: Header=BB6_129 Depth=2
	v_or_b32_sdwa v6, v6, s65 dst_sel:DWORD dst_unused:UNUSED_PAD src0_sel:BYTE_3 src1_sel:DWORD
	buffer_store_dword v6, off, s[0:3], s33 offset:260 ; 4-byte Folded Spill
                                        ; implicit-def: $vgpr6
.LBB6_954:                              ;   in Loop: Header=BB6_129 Depth=2
	s_andn2_saveexec_b64 s[78:79], s[78:79]
	s_cbranch_execz .LBB6_956
; %bb.955:                              ;   in Loop: Header=BB6_129 Depth=2
	v_cmp_lt_i32_e32 vcc, -1, v6
	v_bfrev_b32_e32 v6, 0.5
	v_mov_b32_e32 v7, 0x7c
	v_cndmask_b32_e32 v6, v6, v7, vcc
	buffer_store_dword v6, off, s[0:3], s33 offset:260 ; 4-byte Folded Spill
.LBB6_956:                              ;   in Loop: Header=BB6_129 Depth=2
	s_or_b64 exec, exec, s[78:79]
.LBB6_957:                              ;   in Loop: Header=BB6_129 Depth=2
	s_or_b64 exec, exec, s[20:21]
	v_cmp_lt_u64_e32 vcc, s[58:59], v[32:33]
	v_mov_b32_e32 v7, 0
	v_mov_b32_e32 v26, 0
	s_and_saveexec_b64 s[20:21], vcc
	s_cbranch_execz .LBB6_965
; %bb.958:                              ;   in Loop: Header=BB6_129 Depth=2
	v_lshrrev_b32_e32 v6, 24, v33
	v_cmp_ne_u32_e32 vcc, s55, v6
	v_bfrev_b32_e32 v26, 1
	s_and_saveexec_b64 s[78:79], vcc
	s_cbranch_execz .LBB6_964
; %bb.959:                              ;   in Loop: Header=BB6_129 Depth=2
	v_and_b32_e32 v8, 0x7c000000, v33
	v_bfe_u32 v27, v33, 24, 2
	v_cmp_ne_u32_e32 vcc, s67, v8
                                        ; implicit-def: $vgpr26
	s_and_saveexec_b64 s[88:89], vcc
	s_xor_b64 s[88:89], exec, s[88:89]
	s_cbranch_execz .LBB6_961
; %bb.960:                              ;   in Loop: Header=BB6_129 Depth=2
	v_ffbh_u32_e32 v26, v27
	v_min_u32_e32 v26, 32, v26
	v_subrev_u32_e32 v29, 29, v26
	v_lshlrev_b64 v[29:30], v29, v[6:7]
	v_bfe_u32 v8, v33, 26, 5
	v_sub_u32_e32 v6, 30, v26
	v_and_b32_e32 v26, 3, v29
	v_cmp_eq_u32_e32 vcc, 0, v8
	v_cndmask_b32_e32 v6, v8, v6, vcc
	v_cndmask_b32_e32 v8, v27, v26, vcc
	v_and_b32_e32 v26, 0x80000000, v33
	v_lshl_add_u32 v6, v6, 23, v26
	v_lshl_or_b32 v6, v8, 21, v6
	v_add_u32_e32 v26, 0x38000000, v6
                                        ; implicit-def: $vgpr27
.LBB6_961:                              ;   in Loop: Header=BB6_129 Depth=2
	s_andn2_saveexec_b64 s[88:89], s[88:89]
; %bb.962:                              ;   in Loop: Header=BB6_129 Depth=2
	v_cmp_lt_i64_e32 vcc, -1, v[32:33]
	v_mov_b32_e32 v6, 0xff800000
	v_mov_b32_e32 v8, 0x7f800000
	v_cndmask_b32_e32 v6, v6, v8, vcc
	v_cmp_eq_u32_e32 vcc, 0, v27
	v_mov_b32_e32 v8, 0x7f800001
	v_cndmask_b32_e32 v26, v8, v6, vcc
; %bb.963:                              ;   in Loop: Header=BB6_129 Depth=2
	s_or_b64 exec, exec, s[88:89]
.LBB6_964:                              ;   in Loop: Header=BB6_129 Depth=2
	s_or_b64 exec, exec, s[78:79]
.LBB6_965:                              ;   in Loop: Header=BB6_129 Depth=2
	s_or_b64 exec, exec, s[20:21]
	v_cmp_lt_u64_e32 vcc, s[58:59], v[2:3]
	s_and_saveexec_b64 s[20:21], vcc
	s_cbranch_execz .LBB6_973
; %bb.966:                              ;   in Loop: Header=BB6_129 Depth=2
	v_lshrrev_b32_e32 v6, 24, v3
	v_cmp_ne_u32_e32 vcc, s55, v6
	v_bfrev_b32_e32 v7, 1
	s_and_saveexec_b64 s[78:79], vcc
	s_cbranch_execz .LBB6_972
; %bb.967:                              ;   in Loop: Header=BB6_129 Depth=2
	v_and_b32_e32 v7, 0x7c000000, v3
	v_bfe_u32 v27, v3, 24, 2
	v_cmp_ne_u32_e32 vcc, s67, v7
                                        ; implicit-def: $vgpr7
	s_and_saveexec_b64 s[88:89], vcc
	s_xor_b64 s[88:89], exec, s[88:89]
	s_cbranch_execz .LBB6_969
; %bb.968:                              ;   in Loop: Header=BB6_129 Depth=2
	v_ffbh_u32_e32 v7, v27
	v_min_u32_e32 v29, 32, v7
	v_subrev_u32_e32 v7, 29, v29
	v_bfe_u32 v8, v3, 26, 5
	v_lshlrev_b64 v[6:7], v7, v[6:7]
	v_sub_u32_e32 v7, 30, v29
	v_cmp_eq_u32_e32 vcc, 0, v8
	v_and_b32_e32 v6, 3, v6
	v_cndmask_b32_e32 v7, v8, v7, vcc
	v_and_b32_e32 v8, 0x80000000, v3
	v_cndmask_b32_e32 v6, v27, v6, vcc
	v_lshl_add_u32 v7, v7, 23, v8
	v_lshl_or_b32 v6, v6, 21, v7
	v_add_u32_e32 v7, 0x38000000, v6
                                        ; implicit-def: $vgpr27
.LBB6_969:                              ;   in Loop: Header=BB6_129 Depth=2
	s_andn2_saveexec_b64 s[88:89], s[88:89]
; %bb.970:                              ;   in Loop: Header=BB6_129 Depth=2
	v_cmp_lt_i64_e32 vcc, -1, v[2:3]
	v_mov_b32_e32 v2, 0xff800000
	v_mov_b32_e32 v3, 0x7f800000
	v_cndmask_b32_e32 v2, v2, v3, vcc
	v_cmp_eq_u32_e32 vcc, 0, v27
	v_mov_b32_e32 v3, 0x7f800001
	v_cndmask_b32_e32 v7, v3, v2, vcc
; %bb.971:                              ;   in Loop: Header=BB6_129 Depth=2
	s_or_b64 exec, exec, s[88:89]
.LBB6_972:                              ;   in Loop: Header=BB6_129 Depth=2
	s_or_b64 exec, exec, s[78:79]
.LBB6_973:                              ;   in Loop: Header=BB6_129 Depth=2
	s_or_b64 exec, exec, s[20:21]
	v_mul_f32_e32 v2, v26, v7
	v_and_b32_e32 v6, 0x7f800000, v2
	v_mov_b32_e32 v7, v28
	v_cmp_ne_u64_e32 vcc, s[60:61], v[6:7]
	v_and_b32_e32 v27, 0x7fffff, v2
                                        ; implicit-def: $vgpr47
	s_and_saveexec_b64 s[20:21], vcc
	s_xor_b64 s[78:79], exec, s[20:21]
	s_cbranch_execz .LBB6_987
; %bb.974:                              ;   in Loop: Header=BB6_129 Depth=2
	v_and_b32_e32 v6, 0x7fffffff, v2
	v_mov_b32_e32 v7, v28
	v_cmp_gt_u64_e32 vcc, s[62:63], v[6:7]
	v_and_b32_sdwa v26, v2, s55 dst_sel:DWORD dst_unused:UNUSED_PAD src0_sel:BYTE_3 src1_sel:DWORD
                                        ; implicit-def: $vgpr47
	s_and_saveexec_b64 s[20:21], vcc
	s_xor_b64 s[88:89], exec, s[20:21]
	s_cbranch_execz .LBB6_984
; %bb.975:                              ;   in Loop: Header=BB6_129 Depth=2
	v_mov_b32_e32 v47, 0
	v_cmp_ne_u32_e32 vcc, 0, v2
	s_and_saveexec_b64 s[90:91], vcc
	s_cbranch_execz .LBB6_983
; %bb.976:                              ;   in Loop: Header=BB6_129 Depth=2
	v_bfe_u32 v29, v2, 23, 8
	v_cmp_gt_u32_e64 s[20:21], s64, v29
	v_sub_u32_e32 v2, 0x71, v29
	v_cmp_eq_u32_e32 vcc, 0, v29
	v_cndmask_b32_e64 v2, 0, v2, s[20:21]
	v_mov_b32_e32 v6, 0x70
	v_cndmask_b32_e32 v30, v2, v6, vcc
	v_add_u32_e32 v6, 21, v30
	v_or_b32_e32 v3, 0x800000, v27
	v_lshlrev_b64 v[6:7], v6, -1
	v_cndmask_b32_e32 v2, v3, v27, vcc
	v_mov_b32_e32 v3, v28
	v_add_u32_e32 v8, 20, v30
	v_bfi_b32 v6, v6, 0, v2
	v_lshlrev_b64 v[31:32], v8, 1
	v_lshrrev_b64 v[2:3], v30, v[2:3]
	v_bfi_b32 v7, v7, 0, 0
	v_cmp_eq_u64_e64 s[20:21], v[6:7], v[31:32]
	v_mov_b32_e32 v7, v3
	v_mov_b32_e32 v6, v2
	s_and_saveexec_b64 s[92:93], s[20:21]
; %bb.977:                              ;   in Loop: Header=BB6_129 Depth=2
	v_bfe_u32 v3, v2, 21, 1
	v_add_co_u32_e64 v3, s[20:21], v2, v3
	v_add_co_u32_e64 v6, s[20:21], -1, v3
; %bb.978:                              ;   in Loop: Header=BB6_129 Depth=2
	s_or_b64 exec, exec, s[92:93]
	v_add_u32_e32 v3, 0xffffff81, v29
	v_mov_b32_e32 v7, 0xffffff82
	v_cndmask_b32_e32 v3, v3, v7, vcc
	v_lshrrev_b32_e32 v7, 23, v2
	v_add3_u32 v29, v30, v3, v7
	v_add_u32_e32 v7, 14, v29
	v_and_b32_e32 v3, 0x1fffff, v6
	v_add_u32_e32 v27, v3, v2
	v_cmp_ne_u32_e32 vcc, 0, v7
                                        ; implicit-def: $vgpr2_vgpr3
                                        ; implicit-def: $vgpr6
	s_and_saveexec_b64 s[20:21], vcc
	s_xor_b64 s[20:21], exec, s[20:21]
; %bb.979:                              ;   in Loop: Header=BB6_129 Depth=2
	v_cmp_lt_u64_e32 vcc, s[72:73], v[27:28]
	v_add_u32_e32 v2, 15, v29
	v_cndmask_b32_e32 v6, v7, v2, vcc
	v_cndmask_b32_e64 v2, 0, 1, vcc
	v_lshrrev_b64 v[2:3], v2, v[27:28]
; %bb.980:                              ;   in Loop: Header=BB6_129 Depth=2
	s_andn2_saveexec_b64 s[20:21], s[20:21]
; %bb.981:                              ;   in Loop: Header=BB6_129 Depth=2
	v_mov_b32_e32 v2, v27
	v_mov_b32_e32 v3, v28
	v_bfe_u32 v6, v27, 23, 1
; %bb.982:                              ;   in Loop: Header=BB6_129 Depth=2
	s_or_b64 exec, exec, s[20:21]
	v_lshrrev_b64 v[2:3], 21, v[2:3]
	v_cmp_gt_i32_e32 vcc, 32, v6
	v_cndmask_b32_e32 v3, 0, v3, vcc
	v_cndmask_b32_e32 v2, 3, v2, vcc
	v_cmp_eq_u64_e64 s[20:21], 0, v[2:3]
	v_min_i32_e32 v3, 31, v6
	v_lshlrev_b32_e32 v3, 2, v3
	v_cmp_eq_u32_e32 vcc, 0, v6
	v_and_b32_e32 v3, 0xfc, v3
	v_and_or_b32 v2, v2, 3, v3
	s_and_b64 s[20:21], vcc, s[20:21]
	v_cndmask_b32_e64 v2, v2, 0, s[20:21]
	v_or_b32_e32 v47, v2, v26
.LBB6_983:                              ;   in Loop: Header=BB6_129 Depth=2
	s_or_b64 exec, exec, s[90:91]
                                        ; implicit-def: $vgpr26
.LBB6_984:                              ;   in Loop: Header=BB6_129 Depth=2
	s_andn2_saveexec_b64 s[20:21], s[88:89]
; %bb.985:                              ;   in Loop: Header=BB6_129 Depth=2
	v_or_b32_e32 v47, 0x7b, v26
; %bb.986:                              ;   in Loop: Header=BB6_129 Depth=2
	s_or_b64 exec, exec, s[20:21]
                                        ; implicit-def: $vgpr2
.LBB6_987:                              ;   in Loop: Header=BB6_129 Depth=2
	s_andn2_saveexec_b64 s[20:21], s[78:79]
	s_cbranch_execz .LBB6_993
; %bb.988:                              ;   in Loop: Header=BB6_129 Depth=2
	v_cmp_ne_u64_e32 vcc, 0, v[27:28]
                                        ; implicit-def: $vgpr47
	s_and_saveexec_b64 s[78:79], vcc
	s_xor_b64 s[78:79], exec, s[78:79]
; %bb.989:                              ;   in Loop: Header=BB6_129 Depth=2
	v_or_b32_sdwa v47, v2, s65 dst_sel:DWORD dst_unused:UNUSED_PAD src0_sel:BYTE_3 src1_sel:DWORD
                                        ; implicit-def: $vgpr2
; %bb.990:                              ;   in Loop: Header=BB6_129 Depth=2
	s_andn2_saveexec_b64 s[78:79], s[78:79]
; %bb.991:                              ;   in Loop: Header=BB6_129 Depth=2
	v_cmp_lt_i32_e32 vcc, -1, v2
	v_bfrev_b32_e32 v2, 0.5
	v_mov_b32_e32 v3, 0x7c
	v_cndmask_b32_e32 v47, v2, v3, vcc
; %bb.992:                              ;   in Loop: Header=BB6_129 Depth=2
	s_or_b64 exec, exec, s[78:79]
.LBB6_993:                              ;   in Loop: Header=BB6_129 Depth=2
	s_or_b64 exec, exec, s[20:21]
	v_cmp_ne_u16_sdwa s[78:79], v34, v28 src0_sel:BYTE_0 src1_sel:DWORD
	v_mov_b32_e32 v2, 0
	v_mov_b32_e32 v3, 0
	s_and_saveexec_b64 s[20:21], s[78:79]
	s_cbranch_execz .LBB6_1001
; %bb.994:                              ;   in Loop: Header=BB6_129 Depth=2
	v_cmp_ne_u16_sdwa s[88:89], sext(v34), s52 src0_sel:BYTE_0 src1_sel:DWORD
	v_bfrev_b32_e32 v3, 1
	s_and_saveexec_b64 s[78:79], s[88:89]
	s_cbranch_execz .LBB6_1000
; %bb.995:                              ;   in Loop: Header=BB6_129 Depth=2
	v_and_b32_e32 v3, 0x7c, v34
	v_and_b32_e32 v6, 3, v34
	v_cmp_ne_u32_e32 vcc, s53, v3
                                        ; implicit-def: $vgpr3
	s_and_saveexec_b64 s[88:89], vcc
	s_xor_b64 s[88:89], exec, s[88:89]
	s_cbranch_execz .LBB6_997
; %bb.996:                              ;   in Loop: Header=BB6_129 Depth=2
	v_ffbh_u32_e32 v7, v6
	v_min_u32_e32 v7, 32, v7
	v_bfe_u32 v3, v34, 2, 5
	v_subrev_u32_e32 v8, 29, v7
	v_lshlrev_b64 v[26:27], v8, v[34:35]
	v_sub_u32_e32 v7, 30, v7
	v_cmp_eq_u32_e32 vcc, 0, v3
	v_cndmask_b32_e32 v3, v3, v7, vcc
	v_lshlrev_b32_e32 v7, 24, v34
	v_and_b32_e32 v8, 3, v26
	v_and_b32_e32 v7, 0x80000000, v7
	v_cndmask_b32_e32 v6, v6, v8, vcc
	v_lshl_add_u32 v3, v3, 23, v7
	v_lshl_or_b32 v3, v6, 21, v3
	v_add_u32_e32 v3, 0x38000000, v3
                                        ; implicit-def: $vgpr6
.LBB6_997:                              ;   in Loop: Header=BB6_129 Depth=2
	s_andn2_saveexec_b64 s[88:89], s[88:89]
; %bb.998:                              ;   in Loop: Header=BB6_129 Depth=2
	v_mov_b32_e32 v3, -1
	v_cmp_gt_i16_sdwa vcc, sext(v34), v3 src0_sel:BYTE_0 src1_sel:DWORD
	v_mov_b32_e32 v3, 0xff800000
	v_mov_b32_e32 v7, 0x7f800000
	v_cndmask_b32_e32 v3, v3, v7, vcc
	v_cmp_eq_u32_e32 vcc, 0, v6
	v_mov_b32_e32 v6, 0x7f800001
	v_cndmask_b32_e32 v3, v6, v3, vcc
; %bb.999:                              ;   in Loop: Header=BB6_129 Depth=2
	s_or_b64 exec, exec, s[88:89]
.LBB6_1000:                             ;   in Loop: Header=BB6_129 Depth=2
	s_or_b64 exec, exec, s[78:79]
.LBB6_1001:                             ;   in Loop: Header=BB6_129 Depth=2
	s_or_b64 exec, exec, s[20:21]
	v_cmp_ne_u16_sdwa s[78:79], v4, v28 src0_sel:BYTE_0 src1_sel:DWORD
	s_and_saveexec_b64 s[20:21], s[78:79]
	s_cbranch_execz .LBB6_1009
; %bb.1002:                             ;   in Loop: Header=BB6_129 Depth=2
	v_cmp_ne_u16_sdwa s[88:89], sext(v4), s52 src0_sel:BYTE_0 src1_sel:DWORD
	v_bfrev_b32_e32 v2, 1
	s_and_saveexec_b64 s[78:79], s[88:89]
	s_cbranch_execz .LBB6_1008
; %bb.1003:                             ;   in Loop: Header=BB6_129 Depth=2
	v_and_b32_e32 v2, 0x7c, v4
	v_and_b32_e32 v6, 3, v4
	v_cmp_ne_u32_e32 vcc, s53, v2
                                        ; implicit-def: $vgpr2
	s_and_saveexec_b64 s[88:89], vcc
	s_xor_b64 s[88:89], exec, s[88:89]
	s_cbranch_execz .LBB6_1005
; %bb.1004:                             ;   in Loop: Header=BB6_129 Depth=2
	v_ffbh_u32_e32 v7, v6
	v_min_u32_e32 v7, 32, v7
	v_bfe_u32 v2, v4, 2, 5
	v_subrev_u32_e32 v8, 29, v7
	v_lshlrev_b64 v[26:27], v8, v[4:5]
	v_sub_u32_e32 v7, 30, v7
	v_cmp_eq_u32_e32 vcc, 0, v2
	v_cndmask_b32_e32 v2, v2, v7, vcc
	v_lshlrev_b32_e32 v7, 24, v4
	v_and_b32_e32 v8, 3, v26
	v_and_b32_e32 v7, 0x80000000, v7
	v_cndmask_b32_e32 v6, v6, v8, vcc
	v_lshl_add_u32 v2, v2, 23, v7
	v_lshl_or_b32 v2, v6, 21, v2
	v_add_u32_e32 v2, 0x38000000, v2
                                        ; implicit-def: $vgpr6
.LBB6_1005:                             ;   in Loop: Header=BB6_129 Depth=2
	s_andn2_saveexec_b64 s[88:89], s[88:89]
; %bb.1006:                             ;   in Loop: Header=BB6_129 Depth=2
	v_mov_b32_e32 v2, -1
	v_cmp_gt_i16_sdwa vcc, sext(v4), v2 src0_sel:BYTE_0 src1_sel:DWORD
	v_mov_b32_e32 v2, 0xff800000
	v_mov_b32_e32 v7, 0x7f800000
	v_cndmask_b32_e32 v2, v2, v7, vcc
	v_cmp_eq_u32_e32 vcc, 0, v6
	v_mov_b32_e32 v6, 0x7f800001
	v_cndmask_b32_e32 v2, v6, v2, vcc
; %bb.1007:                             ;   in Loop: Header=BB6_129 Depth=2
	s_or_b64 exec, exec, s[88:89]
.LBB6_1008:                             ;   in Loop: Header=BB6_129 Depth=2
	s_or_b64 exec, exec, s[78:79]
.LBB6_1009:                             ;   in Loop: Header=BB6_129 Depth=2
	s_or_b64 exec, exec, s[20:21]
	v_mul_f32_e32 v2, v3, v2
	v_and_b32_e32 v6, 0x7f800000, v2
	v_mov_b32_e32 v7, v28
	v_cmp_ne_u64_e32 vcc, s[60:61], v[6:7]
	v_and_b32_e32 v27, 0x7fffff, v2
                                        ; implicit-def: $vgpr8
	s_and_saveexec_b64 s[20:21], vcc
	s_xor_b64 s[78:79], exec, s[20:21]
	s_cbranch_execz .LBB6_1023
; %bb.1010:                             ;   in Loop: Header=BB6_129 Depth=2
	v_and_b32_e32 v6, 0x7fffffff, v2
	v_mov_b32_e32 v7, v28
	v_cmp_gt_u64_e32 vcc, s[62:63], v[6:7]
	v_and_b32_sdwa v26, v2, s55 dst_sel:DWORD dst_unused:UNUSED_PAD src0_sel:BYTE_3 src1_sel:DWORD
                                        ; implicit-def: $vgpr8
	s_and_saveexec_b64 s[20:21], vcc
	s_xor_b64 s[88:89], exec, s[20:21]
	s_cbranch_execz .LBB6_1020
; %bb.1011:                             ;   in Loop: Header=BB6_129 Depth=2
	v_mov_b32_e32 v8, 0
	v_cmp_ne_u32_e32 vcc, 0, v2
	s_and_saveexec_b64 s[90:91], vcc
	s_cbranch_execz .LBB6_1019
; %bb.1012:                             ;   in Loop: Header=BB6_129 Depth=2
	v_bfe_u32 v29, v2, 23, 8
	v_cmp_gt_u32_e64 s[20:21], s64, v29
	v_sub_u32_e32 v2, 0x71, v29
	v_cmp_eq_u32_e32 vcc, 0, v29
	v_cndmask_b32_e64 v2, 0, v2, s[20:21]
	v_mov_b32_e32 v6, 0x70
	v_cndmask_b32_e32 v30, v2, v6, vcc
	v_add_u32_e32 v6, 21, v30
	v_or_b32_e32 v3, 0x800000, v27
	v_lshlrev_b64 v[6:7], v6, -1
	v_cndmask_b32_e32 v2, v3, v27, vcc
	v_mov_b32_e32 v3, v28
	v_add_u32_e32 v8, 20, v30
	v_bfi_b32 v6, v6, 0, v2
	v_lshlrev_b64 v[36:37], v8, 1
	v_lshrrev_b64 v[2:3], v30, v[2:3]
	v_bfi_b32 v7, v7, 0, 0
	v_cmp_eq_u64_e64 s[20:21], v[6:7], v[36:37]
	v_mov_b32_e32 v7, v3
	v_mov_b32_e32 v6, v2
	s_and_saveexec_b64 s[92:93], s[20:21]
; %bb.1013:                             ;   in Loop: Header=BB6_129 Depth=2
	v_bfe_u32 v3, v2, 21, 1
	v_add_co_u32_e64 v3, s[20:21], v2, v3
	v_add_co_u32_e64 v6, s[20:21], -1, v3
; %bb.1014:                             ;   in Loop: Header=BB6_129 Depth=2
	s_or_b64 exec, exec, s[92:93]
	v_add_u32_e32 v3, 0xffffff81, v29
	v_mov_b32_e32 v7, 0xffffff82
	v_cndmask_b32_e32 v3, v3, v7, vcc
	v_lshrrev_b32_e32 v7, 23, v2
	v_add3_u32 v29, v30, v3, v7
	v_add_u32_e32 v7, 14, v29
	v_and_b32_e32 v3, 0x1fffff, v6
	v_add_u32_e32 v27, v3, v2
	v_cmp_ne_u32_e32 vcc, 0, v7
                                        ; implicit-def: $vgpr2_vgpr3
                                        ; implicit-def: $vgpr6
	s_and_saveexec_b64 s[20:21], vcc
	s_xor_b64 s[20:21], exec, s[20:21]
; %bb.1015:                             ;   in Loop: Header=BB6_129 Depth=2
	v_cmp_lt_u64_e32 vcc, s[72:73], v[27:28]
	v_add_u32_e32 v2, 15, v29
	v_cndmask_b32_e32 v6, v7, v2, vcc
	v_cndmask_b32_e64 v2, 0, 1, vcc
	v_lshrrev_b64 v[2:3], v2, v[27:28]
; %bb.1016:                             ;   in Loop: Header=BB6_129 Depth=2
	s_andn2_saveexec_b64 s[20:21], s[20:21]
; %bb.1017:                             ;   in Loop: Header=BB6_129 Depth=2
	v_mov_b32_e32 v2, v27
	v_mov_b32_e32 v3, v28
	v_bfe_u32 v6, v27, 23, 1
; %bb.1018:                             ;   in Loop: Header=BB6_129 Depth=2
	s_or_b64 exec, exec, s[20:21]
	v_lshrrev_b64 v[2:3], 21, v[2:3]
	v_cmp_gt_i32_e32 vcc, 32, v6
	v_cndmask_b32_e32 v3, 0, v3, vcc
	v_cndmask_b32_e32 v2, 3, v2, vcc
	v_cmp_eq_u64_e64 s[20:21], 0, v[2:3]
	v_min_i32_e32 v3, 31, v6
	v_lshlrev_b32_e32 v3, 2, v3
	v_cmp_eq_u32_e32 vcc, 0, v6
	v_and_b32_e32 v3, 0xfc, v3
	v_and_or_b32 v2, v2, 3, v3
	s_and_b64 s[20:21], vcc, s[20:21]
	v_cndmask_b32_e64 v2, v2, 0, s[20:21]
	v_or_b32_e32 v8, v2, v26
.LBB6_1019:                             ;   in Loop: Header=BB6_129 Depth=2
	s_or_b64 exec, exec, s[90:91]
                                        ; implicit-def: $vgpr26
.LBB6_1020:                             ;   in Loop: Header=BB6_129 Depth=2
	s_andn2_saveexec_b64 s[20:21], s[88:89]
; %bb.1021:                             ;   in Loop: Header=BB6_129 Depth=2
	v_or_b32_e32 v8, 0x7b, v26
; %bb.1022:                             ;   in Loop: Header=BB6_129 Depth=2
	s_or_b64 exec, exec, s[20:21]
                                        ; implicit-def: $vgpr2
.LBB6_1023:                             ;   in Loop: Header=BB6_129 Depth=2
	s_andn2_saveexec_b64 s[20:21], s[78:79]
	s_cbranch_execz .LBB6_1029
; %bb.1024:                             ;   in Loop: Header=BB6_129 Depth=2
	v_cmp_ne_u64_e32 vcc, 0, v[27:28]
                                        ; implicit-def: $vgpr8
	s_and_saveexec_b64 s[78:79], vcc
	s_xor_b64 s[78:79], exec, s[78:79]
; %bb.1025:                             ;   in Loop: Header=BB6_129 Depth=2
	v_or_b32_sdwa v8, v2, s65 dst_sel:DWORD dst_unused:UNUSED_PAD src0_sel:BYTE_3 src1_sel:DWORD
                                        ; implicit-def: $vgpr2
; %bb.1026:                             ;   in Loop: Header=BB6_129 Depth=2
	s_andn2_saveexec_b64 s[78:79], s[78:79]
; %bb.1027:                             ;   in Loop: Header=BB6_129 Depth=2
	v_cmp_lt_i32_e32 vcc, -1, v2
	v_bfrev_b32_e32 v2, 0.5
	v_mov_b32_e32 v3, 0x7c
	v_cndmask_b32_e32 v8, v2, v3, vcc
; %bb.1028:                             ;   in Loop: Header=BB6_129 Depth=2
	s_or_b64 exec, exec, s[78:79]
.LBB6_1029:                             ;   in Loop: Header=BB6_129 Depth=2
	s_or_b64 exec, exec, s[20:21]
	v_lshrrev_b16_e32 v2, 8, v34
	v_cmp_ne_u16_e32 vcc, 0, v2
	v_mov_b32_e32 v6, 0
	v_mov_b32_e32 v7, 0
	s_and_saveexec_b64 s[20:21], vcc
	s_cbranch_execz .LBB6_1037
; %bb.1030:                             ;   in Loop: Header=BB6_129 Depth=2
	v_cmp_ne_u16_e32 vcc, s55, v2
	v_bfrev_b32_e32 v7, 1
	s_and_saveexec_b64 s[78:79], vcc
	s_cbranch_execz .LBB6_1036
; %bb.1031:                             ;   in Loop: Header=BB6_129 Depth=2
	v_and_b32_e32 v3, 0x7c, v2
	v_and_b32_e32 v26, 3, v2
	v_cmp_ne_u32_e32 vcc, s53, v3
                                        ; implicit-def: $vgpr7
	s_and_saveexec_b64 s[88:89], vcc
	s_xor_b64 s[88:89], exec, s[88:89]
	s_cbranch_execz .LBB6_1033
; %bb.1032:                             ;   in Loop: Header=BB6_129 Depth=2
	v_ffbh_u32_e32 v27, v26
	v_min_u32_e32 v27, 32, v27
	v_mov_b32_e32 v3, v28
	v_subrev_u32_e32 v29, 29, v27
	v_bfe_u32 v7, v2, 2, 5
	v_lshlrev_b64 v[2:3], v29, v[2:3]
	v_sub_u32_e32 v3, 30, v27
	v_cmp_eq_u32_e32 vcc, 0, v7
	v_cndmask_b32_e32 v3, v7, v3, vcc
	v_lshlrev_b32_e32 v7, 16, v34
	v_and_b32_e32 v2, 3, v2
	v_and_b32_e32 v7, 0x80000000, v7
	v_cndmask_b32_e32 v2, v26, v2, vcc
	v_lshl_add_u32 v3, v3, 23, v7
	v_lshl_or_b32 v2, v2, 21, v3
	v_add_u32_e32 v7, 0x38000000, v2
                                        ; implicit-def: $vgpr26
.LBB6_1033:                             ;   in Loop: Header=BB6_129 Depth=2
	s_andn2_saveexec_b64 s[88:89], s[88:89]
; %bb.1034:                             ;   in Loop: Header=BB6_129 Depth=2
	v_cmp_lt_i16_e32 vcc, -1, v34
	v_mov_b32_e32 v2, 0xff800000
	v_mov_b32_e32 v3, 0x7f800000
	v_cndmask_b32_e32 v2, v2, v3, vcc
	v_cmp_eq_u32_e32 vcc, 0, v26
	v_mov_b32_e32 v3, 0x7f800001
	v_cndmask_b32_e32 v7, v3, v2, vcc
; %bb.1035:                             ;   in Loop: Header=BB6_129 Depth=2
	s_or_b64 exec, exec, s[88:89]
.LBB6_1036:                             ;   in Loop: Header=BB6_129 Depth=2
	s_or_b64 exec, exec, s[78:79]
.LBB6_1037:                             ;   in Loop: Header=BB6_129 Depth=2
	s_or_b64 exec, exec, s[20:21]
	v_lshrrev_b16_e32 v2, 8, v4
	v_cmp_ne_u16_e32 vcc, 0, v2
	s_and_saveexec_b64 s[20:21], vcc
	s_cbranch_execz .LBB6_1045
; %bb.1038:                             ;   in Loop: Header=BB6_129 Depth=2
	v_cmp_ne_u16_e32 vcc, s55, v2
	v_bfrev_b32_e32 v6, 1
	s_and_saveexec_b64 s[78:79], vcc
	s_cbranch_execz .LBB6_1044
; %bb.1039:                             ;   in Loop: Header=BB6_129 Depth=2
	v_and_b32_e32 v3, 0x7c, v2
	v_and_b32_e32 v26, 3, v2
	v_cmp_ne_u32_e32 vcc, s53, v3
                                        ; implicit-def: $vgpr6
	s_and_saveexec_b64 s[88:89], vcc
	s_xor_b64 s[88:89], exec, s[88:89]
	s_cbranch_execz .LBB6_1041
; %bb.1040:                             ;   in Loop: Header=BB6_129 Depth=2
	v_ffbh_u32_e32 v27, v26
	v_min_u32_e32 v27, 32, v27
	v_mov_b32_e32 v3, v28
	v_subrev_u32_e32 v29, 29, v27
	v_bfe_u32 v6, v2, 2, 5
	v_lshlrev_b64 v[2:3], v29, v[2:3]
	v_sub_u32_e32 v3, 30, v27
	v_cmp_eq_u32_e32 vcc, 0, v6
	v_cndmask_b32_e32 v3, v6, v3, vcc
	v_lshlrev_b32_e32 v6, 16, v4
	v_and_b32_e32 v2, 3, v2
	v_and_b32_e32 v6, 0x80000000, v6
	v_cndmask_b32_e32 v2, v26, v2, vcc
	v_lshl_add_u32 v3, v3, 23, v6
	v_lshl_or_b32 v2, v2, 21, v3
	v_add_u32_e32 v6, 0x38000000, v2
                                        ; implicit-def: $vgpr26
.LBB6_1041:                             ;   in Loop: Header=BB6_129 Depth=2
	s_andn2_saveexec_b64 s[88:89], s[88:89]
; %bb.1042:                             ;   in Loop: Header=BB6_129 Depth=2
	v_cmp_lt_i16_e32 vcc, -1, v4
	v_mov_b32_e32 v2, 0xff800000
	v_mov_b32_e32 v3, 0x7f800000
	v_cndmask_b32_e32 v2, v2, v3, vcc
	v_cmp_eq_u32_e32 vcc, 0, v26
	v_mov_b32_e32 v3, 0x7f800001
	v_cndmask_b32_e32 v6, v3, v2, vcc
; %bb.1043:                             ;   in Loop: Header=BB6_129 Depth=2
	s_or_b64 exec, exec, s[88:89]
.LBB6_1044:                             ;   in Loop: Header=BB6_129 Depth=2
	s_or_b64 exec, exec, s[78:79]
.LBB6_1045:                             ;   in Loop: Header=BB6_129 Depth=2
	s_or_b64 exec, exec, s[20:21]
	v_mul_f32_e32 v2, v7, v6
	v_and_b32_e32 v6, 0x7f800000, v2
	v_mov_b32_e32 v7, v28
	v_cmp_ne_u64_e32 vcc, s[60:61], v[6:7]
	v_and_b32_e32 v27, 0x7fffff, v2
                                        ; implicit-def: $vgpr56
	s_and_saveexec_b64 s[20:21], vcc
	s_xor_b64 s[78:79], exec, s[20:21]
	s_cbranch_execz .LBB6_1059
; %bb.1046:                             ;   in Loop: Header=BB6_129 Depth=2
	v_and_b32_e32 v6, 0x7fffffff, v2
	v_mov_b32_e32 v7, v28
	v_cmp_gt_u64_e32 vcc, s[62:63], v[6:7]
	v_and_b32_sdwa v26, v2, s55 dst_sel:DWORD dst_unused:UNUSED_PAD src0_sel:BYTE_3 src1_sel:DWORD
                                        ; implicit-def: $vgpr56
	s_and_saveexec_b64 s[20:21], vcc
	s_xor_b64 s[88:89], exec, s[20:21]
	s_cbranch_execz .LBB6_1056
; %bb.1047:                             ;   in Loop: Header=BB6_129 Depth=2
	v_mov_b32_e32 v56, 0
	v_cmp_ne_u32_e32 vcc, 0, v2
	s_and_saveexec_b64 s[90:91], vcc
	s_cbranch_execz .LBB6_1055
; %bb.1048:                             ;   in Loop: Header=BB6_129 Depth=2
	v_bfe_u32 v29, v2, 23, 8
	v_cmp_gt_u32_e64 s[20:21], s64, v29
	v_sub_u32_e32 v2, 0x71, v29
	v_cmp_eq_u32_e32 vcc, 0, v29
	v_cndmask_b32_e64 v2, 0, v2, s[20:21]
	v_mov_b32_e32 v6, 0x70
	v_cndmask_b32_e32 v30, v2, v6, vcc
	v_add_u32_e32 v6, 21, v30
	v_or_b32_e32 v3, 0x800000, v27
	v_lshlrev_b64 v[6:7], v6, -1
	v_cndmask_b32_e32 v2, v3, v27, vcc
	v_mov_b32_e32 v3, v28
	v_add_u32_e32 v27, 20, v30
	v_bfi_b32 v6, v6, 0, v2
	v_lshlrev_b64 v[36:37], v27, 1
	v_lshrrev_b64 v[2:3], v30, v[2:3]
	v_bfi_b32 v7, v7, 0, 0
	v_cmp_eq_u64_e64 s[20:21], v[6:7], v[36:37]
	v_mov_b32_e32 v7, v3
	v_mov_b32_e32 v6, v2
	s_and_saveexec_b64 s[92:93], s[20:21]
; %bb.1049:                             ;   in Loop: Header=BB6_129 Depth=2
	v_bfe_u32 v3, v2, 21, 1
	v_add_co_u32_e64 v3, s[20:21], v2, v3
	v_add_co_u32_e64 v6, s[20:21], -1, v3
; %bb.1050:                             ;   in Loop: Header=BB6_129 Depth=2
	s_or_b64 exec, exec, s[92:93]
	v_add_u32_e32 v3, 0xffffff81, v29
	v_mov_b32_e32 v7, 0xffffff82
	v_cndmask_b32_e32 v3, v3, v7, vcc
	v_lshrrev_b32_e32 v7, 23, v2
	v_add3_u32 v29, v30, v3, v7
	v_add_u32_e32 v7, 14, v29
	v_and_b32_e32 v3, 0x1fffff, v6
	v_add_u32_e32 v27, v3, v2
	v_cmp_ne_u32_e32 vcc, 0, v7
                                        ; implicit-def: $vgpr2_vgpr3
                                        ; implicit-def: $vgpr6
	s_and_saveexec_b64 s[20:21], vcc
	s_xor_b64 s[20:21], exec, s[20:21]
; %bb.1051:                             ;   in Loop: Header=BB6_129 Depth=2
	v_cmp_lt_u64_e32 vcc, s[72:73], v[27:28]
	v_add_u32_e32 v2, 15, v29
	v_cndmask_b32_e32 v6, v7, v2, vcc
	v_cndmask_b32_e64 v2, 0, 1, vcc
	v_lshrrev_b64 v[2:3], v2, v[27:28]
; %bb.1052:                             ;   in Loop: Header=BB6_129 Depth=2
	s_andn2_saveexec_b64 s[20:21], s[20:21]
; %bb.1053:                             ;   in Loop: Header=BB6_129 Depth=2
	v_mov_b32_e32 v2, v27
	v_mov_b32_e32 v3, v28
	v_bfe_u32 v6, v27, 23, 1
; %bb.1054:                             ;   in Loop: Header=BB6_129 Depth=2
	s_or_b64 exec, exec, s[20:21]
	v_lshrrev_b64 v[2:3], 21, v[2:3]
	v_cmp_gt_i32_e32 vcc, 32, v6
	v_cndmask_b32_e32 v3, 0, v3, vcc
	v_cndmask_b32_e32 v2, 3, v2, vcc
	v_cmp_eq_u64_e64 s[20:21], 0, v[2:3]
	v_min_i32_e32 v3, 31, v6
	v_lshlrev_b32_e32 v3, 2, v3
	v_cmp_eq_u32_e32 vcc, 0, v6
	v_and_b32_e32 v3, 0xfc, v3
	v_and_or_b32 v2, v2, 3, v3
	s_and_b64 s[20:21], vcc, s[20:21]
	v_cndmask_b32_e64 v2, v2, 0, s[20:21]
	v_or_b32_e32 v56, v2, v26
.LBB6_1055:                             ;   in Loop: Header=BB6_129 Depth=2
	s_or_b64 exec, exec, s[90:91]
                                        ; implicit-def: $vgpr26
.LBB6_1056:                             ;   in Loop: Header=BB6_129 Depth=2
	s_andn2_saveexec_b64 s[20:21], s[88:89]
; %bb.1057:                             ;   in Loop: Header=BB6_129 Depth=2
	v_or_b32_e32 v56, 0x7b, v26
; %bb.1058:                             ;   in Loop: Header=BB6_129 Depth=2
	s_or_b64 exec, exec, s[20:21]
                                        ; implicit-def: $vgpr2
.LBB6_1059:                             ;   in Loop: Header=BB6_129 Depth=2
	s_andn2_saveexec_b64 s[20:21], s[78:79]
	s_cbranch_execz .LBB6_1065
; %bb.1060:                             ;   in Loop: Header=BB6_129 Depth=2
	v_cmp_ne_u64_e32 vcc, 0, v[27:28]
                                        ; implicit-def: $vgpr56
	s_and_saveexec_b64 s[78:79], vcc
	s_xor_b64 s[78:79], exec, s[78:79]
; %bb.1061:                             ;   in Loop: Header=BB6_129 Depth=2
	v_or_b32_sdwa v56, v2, s65 dst_sel:DWORD dst_unused:UNUSED_PAD src0_sel:BYTE_3 src1_sel:DWORD
                                        ; implicit-def: $vgpr2
; %bb.1062:                             ;   in Loop: Header=BB6_129 Depth=2
	s_andn2_saveexec_b64 s[78:79], s[78:79]
; %bb.1063:                             ;   in Loop: Header=BB6_129 Depth=2
	v_cmp_lt_i32_e32 vcc, -1, v2
	v_bfrev_b32_e32 v2, 0.5
	v_mov_b32_e32 v3, 0x7c
	v_cndmask_b32_e32 v56, v2, v3, vcc
; %bb.1064:                             ;   in Loop: Header=BB6_129 Depth=2
	s_or_b64 exec, exec, s[78:79]
.LBB6_1065:                             ;   in Loop: Header=BB6_129 Depth=2
	s_or_b64 exec, exec, s[20:21]
	v_lshrrev_b32_e32 v2, 16, v34
	v_cmp_ne_u16_sdwa s[78:79], v2, v28 src0_sel:BYTE_0 src1_sel:DWORD
	v_mov_b32_e32 v3, 0
	v_mov_b32_e32 v6, 0
	s_and_saveexec_b64 s[20:21], s[78:79]
	s_cbranch_execz .LBB6_1073
; %bb.1066:                             ;   in Loop: Header=BB6_129 Depth=2
	v_cmp_ne_u16_sdwa s[88:89], v2, s55 src0_sel:BYTE_0 src1_sel:DWORD
	v_bfrev_b32_e32 v6, 1
	s_and_saveexec_b64 s[78:79], s[88:89]
	s_cbranch_execz .LBB6_1072
; %bb.1067:                             ;   in Loop: Header=BB6_129 Depth=2
	v_and_b32_e32 v6, 0x7c0000, v34
	v_bfe_u32 v7, v34, 16, 2
	v_cmp_ne_u32_e32 vcc, s66, v6
                                        ; implicit-def: $vgpr6
	s_and_saveexec_b64 s[88:89], vcc
	s_xor_b64 s[88:89], exec, s[88:89]
	s_cbranch_execz .LBB6_1069
; %bb.1068:                             ;   in Loop: Header=BB6_129 Depth=2
	v_ffbh_u32_e32 v26, v7
	v_min_u32_e32 v29, 32, v26
	v_subrev_u32_e32 v26, 29, v29
	v_lshlrev_b64 v[26:27], v26, v[2:3]
	v_bfe_u32 v6, v34, 18, 5
	v_sub_u32_e32 v2, 30, v29
	v_and_b32_e32 v26, 3, v26
	v_cmp_eq_u32_e32 vcc, 0, v6
	v_cndmask_b32_e32 v2, v6, v2, vcc
	v_cndmask_b32_e32 v6, v7, v26, vcc
	v_lshlrev_b32_e32 v7, 8, v34
	v_and_b32_e32 v7, 0x80000000, v7
	v_lshl_add_u32 v2, v2, 23, v7
	v_lshl_or_b32 v2, v6, 21, v2
	v_add_u32_e32 v6, 0x38000000, v2
                                        ; implicit-def: $vgpr7
                                        ; implicit-def: $vgpr2
.LBB6_1069:                             ;   in Loop: Header=BB6_129 Depth=2
	s_andn2_saveexec_b64 s[88:89], s[88:89]
; %bb.1070:                             ;   in Loop: Header=BB6_129 Depth=2
	v_mov_b32_e32 v6, -1
	v_cmp_gt_i16_sdwa vcc, sext(v2), v6 src0_sel:BYTE_0 src1_sel:DWORD
	v_mov_b32_e32 v2, 0xff800000
	v_mov_b32_e32 v6, 0x7f800000
	v_cndmask_b32_e32 v2, v2, v6, vcc
	v_cmp_eq_u32_e32 vcc, 0, v7
	v_mov_b32_e32 v6, 0x7f800001
	v_cndmask_b32_e32 v6, v6, v2, vcc
; %bb.1071:                             ;   in Loop: Header=BB6_129 Depth=2
	s_or_b64 exec, exec, s[88:89]
.LBB6_1072:                             ;   in Loop: Header=BB6_129 Depth=2
	s_or_b64 exec, exec, s[78:79]
.LBB6_1073:                             ;   in Loop: Header=BB6_129 Depth=2
	s_or_b64 exec, exec, s[20:21]
	v_lshrrev_b32_e32 v2, 16, v4
	v_cmp_ne_u16_sdwa s[78:79], v2, v28 src0_sel:BYTE_0 src1_sel:DWORD
	s_and_saveexec_b64 s[20:21], s[78:79]
	s_cbranch_execz .LBB6_1081
; %bb.1074:                             ;   in Loop: Header=BB6_129 Depth=2
	v_cmp_ne_u16_sdwa s[88:89], v2, s55 src0_sel:BYTE_0 src1_sel:DWORD
	v_bfrev_b32_e32 v3, 1
	s_and_saveexec_b64 s[78:79], s[88:89]
	s_cbranch_execz .LBB6_1080
; %bb.1075:                             ;   in Loop: Header=BB6_129 Depth=2
	v_and_b32_e32 v3, 0x7c0000, v4
	v_bfe_u32 v7, v4, 16, 2
	v_cmp_ne_u32_e32 vcc, s66, v3
                                        ; implicit-def: $vgpr3
	s_and_saveexec_b64 s[88:89], vcc
	s_xor_b64 s[88:89], exec, s[88:89]
	s_cbranch_execz .LBB6_1077
; %bb.1076:                             ;   in Loop: Header=BB6_129 Depth=2
	v_ffbh_u32_e32 v3, v7
	v_min_u32_e32 v27, 32, v3
	v_subrev_u32_e32 v3, 29, v27
	v_lshlrev_b64 v[2:3], v3, v[2:3]
	v_bfe_u32 v26, v4, 18, 5
	v_and_b32_e32 v2, 3, v2
	v_cmp_eq_u32_e32 vcc, 0, v26
	v_sub_u32_e32 v3, 30, v27
	v_cndmask_b32_e32 v2, v7, v2, vcc
	v_lshlrev_b32_e32 v7, 8, v4
	v_cndmask_b32_e32 v3, v26, v3, vcc
	v_and_b32_e32 v7, 0x80000000, v7
	v_lshl_add_u32 v3, v3, 23, v7
	v_lshl_or_b32 v2, v2, 21, v3
	v_add_u32_e32 v3, 0x38000000, v2
                                        ; implicit-def: $vgpr7
                                        ; implicit-def: $vgpr2
.LBB6_1077:                             ;   in Loop: Header=BB6_129 Depth=2
	s_andn2_saveexec_b64 s[88:89], s[88:89]
; %bb.1078:                             ;   in Loop: Header=BB6_129 Depth=2
	v_mov_b32_e32 v3, -1
	v_cmp_gt_i16_sdwa vcc, sext(v2), v3 src0_sel:BYTE_0 src1_sel:DWORD
	v_mov_b32_e32 v2, 0xff800000
	v_mov_b32_e32 v3, 0x7f800000
	v_cndmask_b32_e32 v2, v2, v3, vcc
	v_cmp_eq_u32_e32 vcc, 0, v7
	v_mov_b32_e32 v3, 0x7f800001
	v_cndmask_b32_e32 v3, v3, v2, vcc
; %bb.1079:                             ;   in Loop: Header=BB6_129 Depth=2
	s_or_b64 exec, exec, s[88:89]
.LBB6_1080:                             ;   in Loop: Header=BB6_129 Depth=2
	s_or_b64 exec, exec, s[78:79]
.LBB6_1081:                             ;   in Loop: Header=BB6_129 Depth=2
	s_or_b64 exec, exec, s[20:21]
	v_mul_f32_e32 v2, v6, v3
	v_and_b32_e32 v6, 0x7f800000, v2
	v_mov_b32_e32 v7, v28
	v_cmp_ne_u64_e32 vcc, s[60:61], v[6:7]
	v_and_b32_e32 v27, 0x7fffff, v2
                                        ; implicit-def: $vgpr57
	s_and_saveexec_b64 s[20:21], vcc
	s_xor_b64 s[78:79], exec, s[20:21]
	s_cbranch_execz .LBB6_1095
; %bb.1082:                             ;   in Loop: Header=BB6_129 Depth=2
	v_and_b32_e32 v6, 0x7fffffff, v2
	v_mov_b32_e32 v7, v28
	v_cmp_gt_u64_e32 vcc, s[62:63], v[6:7]
	v_and_b32_sdwa v26, v2, s55 dst_sel:DWORD dst_unused:UNUSED_PAD src0_sel:BYTE_3 src1_sel:DWORD
                                        ; implicit-def: $vgpr57
	s_and_saveexec_b64 s[20:21], vcc
	s_xor_b64 s[88:89], exec, s[20:21]
	s_cbranch_execz .LBB6_1092
; %bb.1083:                             ;   in Loop: Header=BB6_129 Depth=2
	v_mov_b32_e32 v57, 0
	v_cmp_ne_u32_e32 vcc, 0, v2
	s_and_saveexec_b64 s[90:91], vcc
	s_cbranch_execz .LBB6_1091
; %bb.1084:                             ;   in Loop: Header=BB6_129 Depth=2
	v_bfe_u32 v29, v2, 23, 8
	v_cmp_gt_u32_e64 s[20:21], s64, v29
	v_sub_u32_e32 v2, 0x71, v29
	v_cmp_eq_u32_e32 vcc, 0, v29
	v_cndmask_b32_e64 v2, 0, v2, s[20:21]
	v_mov_b32_e32 v6, 0x70
	v_cndmask_b32_e32 v30, v2, v6, vcc
	v_add_u32_e32 v6, 21, v30
	v_or_b32_e32 v3, 0x800000, v27
	v_lshlrev_b64 v[6:7], v6, -1
	v_cndmask_b32_e32 v2, v3, v27, vcc
	v_mov_b32_e32 v3, v28
	v_add_u32_e32 v27, 20, v30
	v_bfi_b32 v6, v6, 0, v2
	v_lshlrev_b64 v[36:37], v27, 1
	v_lshrrev_b64 v[2:3], v30, v[2:3]
	v_bfi_b32 v7, v7, 0, 0
	v_cmp_eq_u64_e64 s[20:21], v[6:7], v[36:37]
	v_mov_b32_e32 v7, v3
	v_mov_b32_e32 v6, v2
	s_and_saveexec_b64 s[92:93], s[20:21]
; %bb.1085:                             ;   in Loop: Header=BB6_129 Depth=2
	v_bfe_u32 v3, v2, 21, 1
	v_add_co_u32_e64 v3, s[20:21], v2, v3
	v_add_co_u32_e64 v6, s[20:21], -1, v3
; %bb.1086:                             ;   in Loop: Header=BB6_129 Depth=2
	s_or_b64 exec, exec, s[92:93]
	v_add_u32_e32 v3, 0xffffff81, v29
	v_mov_b32_e32 v7, 0xffffff82
	v_cndmask_b32_e32 v3, v3, v7, vcc
	v_lshrrev_b32_e32 v7, 23, v2
	v_add3_u32 v29, v30, v3, v7
	v_add_u32_e32 v7, 14, v29
	v_and_b32_e32 v3, 0x1fffff, v6
	v_add_u32_e32 v27, v3, v2
	v_cmp_ne_u32_e32 vcc, 0, v7
                                        ; implicit-def: $vgpr2_vgpr3
                                        ; implicit-def: $vgpr6
	s_and_saveexec_b64 s[20:21], vcc
	s_xor_b64 s[20:21], exec, s[20:21]
; %bb.1087:                             ;   in Loop: Header=BB6_129 Depth=2
	v_cmp_lt_u64_e32 vcc, s[72:73], v[27:28]
	v_add_u32_e32 v2, 15, v29
	v_cndmask_b32_e32 v6, v7, v2, vcc
	v_cndmask_b32_e64 v2, 0, 1, vcc
	v_lshrrev_b64 v[2:3], v2, v[27:28]
; %bb.1088:                             ;   in Loop: Header=BB6_129 Depth=2
	s_andn2_saveexec_b64 s[20:21], s[20:21]
; %bb.1089:                             ;   in Loop: Header=BB6_129 Depth=2
	v_mov_b32_e32 v2, v27
	v_mov_b32_e32 v3, v28
	v_bfe_u32 v6, v27, 23, 1
; %bb.1090:                             ;   in Loop: Header=BB6_129 Depth=2
	s_or_b64 exec, exec, s[20:21]
	v_lshrrev_b64 v[2:3], 21, v[2:3]
	v_cmp_gt_i32_e32 vcc, 32, v6
	v_cndmask_b32_e32 v3, 0, v3, vcc
	v_cndmask_b32_e32 v2, 3, v2, vcc
	v_cmp_eq_u64_e64 s[20:21], 0, v[2:3]
	v_min_i32_e32 v3, 31, v6
	v_lshlrev_b32_e32 v3, 2, v3
	v_cmp_eq_u32_e32 vcc, 0, v6
	v_and_b32_e32 v3, 0xfc, v3
	v_and_or_b32 v2, v2, 3, v3
	s_and_b64 s[20:21], vcc, s[20:21]
	v_cndmask_b32_e64 v2, v2, 0, s[20:21]
	v_or_b32_e32 v57, v2, v26
.LBB6_1091:                             ;   in Loop: Header=BB6_129 Depth=2
	s_or_b64 exec, exec, s[90:91]
                                        ; implicit-def: $vgpr26
.LBB6_1092:                             ;   in Loop: Header=BB6_129 Depth=2
	s_andn2_saveexec_b64 s[20:21], s[88:89]
; %bb.1093:                             ;   in Loop: Header=BB6_129 Depth=2
	v_or_b32_e32 v57, 0x7b, v26
; %bb.1094:                             ;   in Loop: Header=BB6_129 Depth=2
	s_or_b64 exec, exec, s[20:21]
                                        ; implicit-def: $vgpr2
.LBB6_1095:                             ;   in Loop: Header=BB6_129 Depth=2
	s_andn2_saveexec_b64 s[20:21], s[78:79]
	s_cbranch_execz .LBB6_1101
; %bb.1096:                             ;   in Loop: Header=BB6_129 Depth=2
	v_cmp_ne_u64_e32 vcc, 0, v[27:28]
                                        ; implicit-def: $vgpr57
	s_and_saveexec_b64 s[78:79], vcc
	s_xor_b64 s[78:79], exec, s[78:79]
; %bb.1097:                             ;   in Loop: Header=BB6_129 Depth=2
	v_or_b32_sdwa v57, v2, s65 dst_sel:DWORD dst_unused:UNUSED_PAD src0_sel:BYTE_3 src1_sel:DWORD
                                        ; implicit-def: $vgpr2
; %bb.1098:                             ;   in Loop: Header=BB6_129 Depth=2
	s_andn2_saveexec_b64 s[78:79], s[78:79]
; %bb.1099:                             ;   in Loop: Header=BB6_129 Depth=2
	v_cmp_lt_i32_e32 vcc, -1, v2
	v_bfrev_b32_e32 v2, 0.5
	v_mov_b32_e32 v3, 0x7c
	v_cndmask_b32_e32 v57, v2, v3, vcc
; %bb.1100:                             ;   in Loop: Header=BB6_129 Depth=2
	s_or_b64 exec, exec, s[78:79]
.LBB6_1101:                             ;   in Loop: Header=BB6_129 Depth=2
	s_or_b64 exec, exec, s[20:21]
	v_cmp_lt_u32_e32 vcc, s59, v34
	v_mov_b32_e32 v3, 0
	v_mov_b32_e32 v6, 0
	s_and_saveexec_b64 s[20:21], vcc
	s_cbranch_execz .LBB6_1109
; %bb.1102:                             ;   in Loop: Header=BB6_129 Depth=2
	v_lshrrev_b32_e32 v2, 24, v34
	v_cmp_ne_u32_e32 vcc, s55, v2
	v_bfrev_b32_e32 v6, 1
	s_and_saveexec_b64 s[78:79], vcc
	s_cbranch_execz .LBB6_1108
; %bb.1103:                             ;   in Loop: Header=BB6_129 Depth=2
	v_and_b32_e32 v6, 0x7c000000, v34
	v_bfe_u32 v7, v34, 24, 2
	v_cmp_ne_u32_e32 vcc, s67, v6
                                        ; implicit-def: $vgpr6
	s_and_saveexec_b64 s[88:89], vcc
	s_xor_b64 s[88:89], exec, s[88:89]
	s_cbranch_execz .LBB6_1105
; %bb.1104:                             ;   in Loop: Header=BB6_129 Depth=2
	v_ffbh_u32_e32 v26, v7
	v_min_u32_e32 v29, 32, v26
	v_subrev_u32_e32 v26, 29, v29
	v_lshlrev_b64 v[26:27], v26, v[2:3]
	v_bfe_u32 v6, v34, 26, 5
	v_sub_u32_e32 v2, 30, v29
	v_and_b32_e32 v26, 3, v26
	v_cmp_eq_u32_e32 vcc, 0, v6
	v_cndmask_b32_e32 v2, v6, v2, vcc
	v_cndmask_b32_e32 v6, v7, v26, vcc
	v_and_b32_e32 v7, 0x80000000, v34
	v_lshl_add_u32 v2, v2, 23, v7
	v_lshl_or_b32 v2, v6, 21, v2
	v_add_u32_e32 v6, 0x38000000, v2
                                        ; implicit-def: $vgpr7
.LBB6_1105:                             ;   in Loop: Header=BB6_129 Depth=2
	s_andn2_saveexec_b64 s[88:89], s[88:89]
; %bb.1106:                             ;   in Loop: Header=BB6_129 Depth=2
	v_cmp_lt_i32_e32 vcc, -1, v34
	v_mov_b32_e32 v2, 0xff800000
	v_mov_b32_e32 v6, 0x7f800000
	v_cndmask_b32_e32 v2, v2, v6, vcc
	v_cmp_eq_u32_e32 vcc, 0, v7
	v_mov_b32_e32 v6, 0x7f800001
	v_cndmask_b32_e32 v6, v6, v2, vcc
; %bb.1107:                             ;   in Loop: Header=BB6_129 Depth=2
	s_or_b64 exec, exec, s[88:89]
.LBB6_1108:                             ;   in Loop: Header=BB6_129 Depth=2
	s_or_b64 exec, exec, s[78:79]
.LBB6_1109:                             ;   in Loop: Header=BB6_129 Depth=2
	s_or_b64 exec, exec, s[20:21]
	v_cmp_lt_u32_e32 vcc, s59, v4
	s_and_saveexec_b64 s[20:21], vcc
	s_cbranch_execz .LBB6_1117
; %bb.1110:                             ;   in Loop: Header=BB6_129 Depth=2
	v_lshrrev_b32_e32 v2, 24, v4
	v_cmp_ne_u32_e32 vcc, s55, v2
	v_bfrev_b32_e32 v3, 1
	s_and_saveexec_b64 s[78:79], vcc
	s_cbranch_execz .LBB6_1116
; %bb.1111:                             ;   in Loop: Header=BB6_129 Depth=2
	v_and_b32_e32 v3, 0x7c000000, v4
	v_bfe_u32 v7, v4, 24, 2
	v_cmp_ne_u32_e32 vcc, s67, v3
                                        ; implicit-def: $vgpr3
	s_and_saveexec_b64 s[88:89], vcc
	s_xor_b64 s[88:89], exec, s[88:89]
	s_cbranch_execz .LBB6_1113
; %bb.1112:                             ;   in Loop: Header=BB6_129 Depth=2
	v_ffbh_u32_e32 v3, v7
	v_min_u32_e32 v27, 32, v3
	v_subrev_u32_e32 v3, 29, v27
	v_lshlrev_b64 v[2:3], v3, v[2:3]
	v_bfe_u32 v26, v4, 26, 5
	v_sub_u32_e32 v3, 30, v27
	v_and_b32_e32 v2, 3, v2
	v_cmp_eq_u32_e32 vcc, 0, v26
	v_cndmask_b32_e32 v3, v26, v3, vcc
	v_cndmask_b32_e32 v2, v7, v2, vcc
	v_and_b32_e32 v7, 0x80000000, v4
	v_lshl_add_u32 v3, v3, 23, v7
	v_lshl_or_b32 v2, v2, 21, v3
	v_add_u32_e32 v3, 0x38000000, v2
                                        ; implicit-def: $vgpr7
.LBB6_1113:                             ;   in Loop: Header=BB6_129 Depth=2
	s_andn2_saveexec_b64 s[88:89], s[88:89]
; %bb.1114:                             ;   in Loop: Header=BB6_129 Depth=2
	v_cmp_lt_i32_e32 vcc, -1, v4
	v_mov_b32_e32 v2, 0xff800000
	v_mov_b32_e32 v3, 0x7f800000
	v_cndmask_b32_e32 v2, v2, v3, vcc
	v_cmp_eq_u32_e32 vcc, 0, v7
	v_mov_b32_e32 v3, 0x7f800001
	v_cndmask_b32_e32 v3, v3, v2, vcc
; %bb.1115:                             ;   in Loop: Header=BB6_129 Depth=2
	s_or_b64 exec, exec, s[88:89]
.LBB6_1116:                             ;   in Loop: Header=BB6_129 Depth=2
	s_or_b64 exec, exec, s[78:79]
.LBB6_1117:                             ;   in Loop: Header=BB6_129 Depth=2
	s_or_b64 exec, exec, s[20:21]
	v_mul_f32_e32 v2, v6, v3
	v_and_b32_e32 v6, 0x7f800000, v2
	v_mov_b32_e32 v7, v28
	v_cmp_ne_u64_e32 vcc, s[60:61], v[6:7]
	v_and_b32_e32 v27, 0x7fffff, v2
                                        ; implicit-def: $vgpr60
	s_and_saveexec_b64 s[20:21], vcc
	s_xor_b64 s[78:79], exec, s[20:21]
	s_cbranch_execz .LBB6_1131
; %bb.1118:                             ;   in Loop: Header=BB6_129 Depth=2
	v_and_b32_e32 v6, 0x7fffffff, v2
	v_mov_b32_e32 v7, v28
	v_cmp_gt_u64_e32 vcc, s[62:63], v[6:7]
	v_and_b32_sdwa v26, v2, s55 dst_sel:DWORD dst_unused:UNUSED_PAD src0_sel:BYTE_3 src1_sel:DWORD
                                        ; implicit-def: $vgpr60
	s_and_saveexec_b64 s[20:21], vcc
	s_xor_b64 s[88:89], exec, s[20:21]
	s_cbranch_execz .LBB6_1128
; %bb.1119:                             ;   in Loop: Header=BB6_129 Depth=2
	v_mov_b32_e32 v60, 0
	v_cmp_ne_u32_e32 vcc, 0, v2
	s_and_saveexec_b64 s[90:91], vcc
	s_cbranch_execz .LBB6_1127
; %bb.1120:                             ;   in Loop: Header=BB6_129 Depth=2
	v_bfe_u32 v29, v2, 23, 8
	v_cmp_gt_u32_e64 s[20:21], s64, v29
	v_sub_u32_e32 v2, 0x71, v29
	v_cmp_eq_u32_e32 vcc, 0, v29
	v_cndmask_b32_e64 v2, 0, v2, s[20:21]
	v_mov_b32_e32 v6, 0x70
	v_cndmask_b32_e32 v30, v2, v6, vcc
	v_add_u32_e32 v6, 21, v30
	v_or_b32_e32 v3, 0x800000, v27
	v_lshlrev_b64 v[6:7], v6, -1
	v_cndmask_b32_e32 v2, v3, v27, vcc
	v_mov_b32_e32 v3, v28
	v_add_u32_e32 v27, 20, v30
	v_bfi_b32 v6, v6, 0, v2
	v_lshlrev_b64 v[36:37], v27, 1
	v_lshrrev_b64 v[2:3], v30, v[2:3]
	v_bfi_b32 v7, v7, 0, 0
	v_cmp_eq_u64_e64 s[20:21], v[6:7], v[36:37]
	v_mov_b32_e32 v7, v3
	v_mov_b32_e32 v6, v2
	s_and_saveexec_b64 s[92:93], s[20:21]
; %bb.1121:                             ;   in Loop: Header=BB6_129 Depth=2
	v_bfe_u32 v3, v2, 21, 1
	v_add_co_u32_e64 v3, s[20:21], v2, v3
	v_add_co_u32_e64 v6, s[20:21], -1, v3
; %bb.1122:                             ;   in Loop: Header=BB6_129 Depth=2
	s_or_b64 exec, exec, s[92:93]
	v_add_u32_e32 v3, 0xffffff81, v29
	v_mov_b32_e32 v7, 0xffffff82
	v_cndmask_b32_e32 v3, v3, v7, vcc
	v_lshrrev_b32_e32 v7, 23, v2
	v_add3_u32 v29, v30, v3, v7
	v_add_u32_e32 v7, 14, v29
	v_and_b32_e32 v3, 0x1fffff, v6
	v_add_u32_e32 v27, v3, v2
	v_cmp_ne_u32_e32 vcc, 0, v7
                                        ; implicit-def: $vgpr2_vgpr3
                                        ; implicit-def: $vgpr6
	s_and_saveexec_b64 s[20:21], vcc
	s_xor_b64 s[20:21], exec, s[20:21]
; %bb.1123:                             ;   in Loop: Header=BB6_129 Depth=2
	v_cmp_lt_u64_e32 vcc, s[72:73], v[27:28]
	v_add_u32_e32 v2, 15, v29
	v_cndmask_b32_e32 v6, v7, v2, vcc
	v_cndmask_b32_e64 v2, 0, 1, vcc
	v_lshrrev_b64 v[2:3], v2, v[27:28]
; %bb.1124:                             ;   in Loop: Header=BB6_129 Depth=2
	s_andn2_saveexec_b64 s[20:21], s[20:21]
; %bb.1125:                             ;   in Loop: Header=BB6_129 Depth=2
	v_mov_b32_e32 v2, v27
	v_mov_b32_e32 v3, v28
	v_bfe_u32 v6, v27, 23, 1
; %bb.1126:                             ;   in Loop: Header=BB6_129 Depth=2
	s_or_b64 exec, exec, s[20:21]
	v_lshrrev_b64 v[2:3], 21, v[2:3]
	v_cmp_gt_i32_e32 vcc, 32, v6
	v_cndmask_b32_e32 v3, 0, v3, vcc
	v_cndmask_b32_e32 v2, 3, v2, vcc
	v_cmp_eq_u64_e64 s[20:21], 0, v[2:3]
	v_min_i32_e32 v3, 31, v6
	v_lshlrev_b32_e32 v3, 2, v3
	v_cmp_eq_u32_e32 vcc, 0, v6
	v_and_b32_e32 v3, 0xfc, v3
	v_and_or_b32 v2, v2, 3, v3
	s_and_b64 s[20:21], vcc, s[20:21]
	v_cndmask_b32_e64 v2, v2, 0, s[20:21]
	v_or_b32_e32 v60, v2, v26
.LBB6_1127:                             ;   in Loop: Header=BB6_129 Depth=2
	s_or_b64 exec, exec, s[90:91]
                                        ; implicit-def: $vgpr26
.LBB6_1128:                             ;   in Loop: Header=BB6_129 Depth=2
	s_andn2_saveexec_b64 s[20:21], s[88:89]
; %bb.1129:                             ;   in Loop: Header=BB6_129 Depth=2
	v_or_b32_e32 v60, 0x7b, v26
; %bb.1130:                             ;   in Loop: Header=BB6_129 Depth=2
	s_or_b64 exec, exec, s[20:21]
                                        ; implicit-def: $vgpr2
.LBB6_1131:                             ;   in Loop: Header=BB6_129 Depth=2
	s_andn2_saveexec_b64 s[20:21], s[78:79]
	s_cbranch_execz .LBB6_1137
; %bb.1132:                             ;   in Loop: Header=BB6_129 Depth=2
	v_cmp_ne_u64_e32 vcc, 0, v[27:28]
                                        ; implicit-def: $vgpr60
	s_and_saveexec_b64 s[78:79], vcc
	s_xor_b64 s[78:79], exec, s[78:79]
; %bb.1133:                             ;   in Loop: Header=BB6_129 Depth=2
	v_or_b32_sdwa v60, v2, s65 dst_sel:DWORD dst_unused:UNUSED_PAD src0_sel:BYTE_3 src1_sel:DWORD
                                        ; implicit-def: $vgpr2
; %bb.1134:                             ;   in Loop: Header=BB6_129 Depth=2
	s_andn2_saveexec_b64 s[78:79], s[78:79]
; %bb.1135:                             ;   in Loop: Header=BB6_129 Depth=2
	v_cmp_lt_i32_e32 vcc, -1, v2
	v_bfrev_b32_e32 v2, 0.5
	v_mov_b32_e32 v3, 0x7c
	v_cndmask_b32_e32 v60, v2, v3, vcc
; %bb.1136:                             ;   in Loop: Header=BB6_129 Depth=2
	s_or_b64 exec, exec, s[78:79]
.LBB6_1137:                             ;   in Loop: Header=BB6_129 Depth=2
	s_or_b64 exec, exec, s[20:21]
	v_mov_b32_e32 v27, v35
	v_cmp_ne_u16_sdwa s[78:79], v35, v28 src0_sel:BYTE_0 src1_sel:DWORD
	v_mov_b32_e32 v3, 0
	v_mov_b32_e32 v2, 0
	s_and_saveexec_b64 s[20:21], s[78:79]
	s_cbranch_execz .LBB6_1145
; %bb.1138:                             ;   in Loop: Header=BB6_129 Depth=2
	v_cmp_ne_u16_sdwa s[88:89], v35, s55 src0_sel:BYTE_0 src1_sel:DWORD
	v_bfrev_b32_e32 v2, 1
	s_and_saveexec_b64 s[78:79], s[88:89]
	s_cbranch_execz .LBB6_1144
; %bb.1139:                             ;   in Loop: Header=BB6_129 Depth=2
	v_and_b32_e32 v2, 0x7c, v35
	v_and_b32_e32 v6, 3, v35
	v_cmp_ne_u32_e32 vcc, s53, v2
                                        ; implicit-def: $vgpr2
	s_and_saveexec_b64 s[88:89], vcc
	s_xor_b64 s[88:89], exec, s[88:89]
	s_cbranch_execz .LBB6_1141
; %bb.1140:                             ;   in Loop: Header=BB6_129 Depth=2
	v_ffbh_u32_e32 v7, v6
	v_min_u32_e32 v7, 32, v7
	v_bfe_u32 v2, v35, 2, 5
	v_subrev_u32_e32 v26, 29, v7
	v_lshlrev_b64 v[29:30], v26, v[27:28]
	v_sub_u32_e32 v7, 30, v7
	v_cmp_eq_u32_e32 vcc, 0, v2
	v_cndmask_b32_e32 v2, v2, v7, vcc
	v_lshlrev_b32_e32 v7, 24, v35
	v_and_b32_e32 v26, 3, v29
	v_and_b32_e32 v7, 0x80000000, v7
	v_cndmask_b32_e32 v6, v6, v26, vcc
	v_lshl_add_u32 v2, v2, 23, v7
	v_lshl_or_b32 v2, v6, 21, v2
	v_add_u32_e32 v2, 0x38000000, v2
                                        ; implicit-def: $vgpr6
.LBB6_1141:                             ;   in Loop: Header=BB6_129 Depth=2
	s_andn2_saveexec_b64 s[88:89], s[88:89]
; %bb.1142:                             ;   in Loop: Header=BB6_129 Depth=2
	v_mov_b32_e32 v2, -1
	v_cmp_gt_i16_sdwa vcc, sext(v35), v2 src0_sel:BYTE_0 src1_sel:DWORD
	v_mov_b32_e32 v2, 0xff800000
	v_mov_b32_e32 v7, 0x7f800000
	v_cndmask_b32_e32 v2, v2, v7, vcc
	v_cmp_eq_u32_e32 vcc, 0, v6
	v_mov_b32_e32 v6, 0x7f800001
	v_cndmask_b32_e32 v2, v6, v2, vcc
; %bb.1143:                             ;   in Loop: Header=BB6_129 Depth=2
	s_or_b64 exec, exec, s[88:89]
.LBB6_1144:                             ;   in Loop: Header=BB6_129 Depth=2
	s_or_b64 exec, exec, s[78:79]
.LBB6_1145:                             ;   in Loop: Header=BB6_129 Depth=2
	s_or_b64 exec, exec, s[20:21]
	v_cmp_ne_u16_sdwa s[78:79], v5, v28 src0_sel:BYTE_0 src1_sel:DWORD
	s_and_saveexec_b64 s[20:21], s[78:79]
	s_cbranch_execz .LBB6_1153
; %bb.1146:                             ;   in Loop: Header=BB6_129 Depth=2
	v_cmp_ne_u16_sdwa s[88:89], v5, s55 src0_sel:BYTE_0 src1_sel:DWORD
	v_bfrev_b32_e32 v3, 1
	s_and_saveexec_b64 s[78:79], s[88:89]
	s_cbranch_execz .LBB6_1152
; %bb.1147:                             ;   in Loop: Header=BB6_129 Depth=2
	v_and_b32_e32 v3, 0x7c, v5
	v_and_b32_e32 v6, 3, v5
	v_cmp_ne_u32_e32 vcc, s53, v3
                                        ; implicit-def: $vgpr3
	s_and_saveexec_b64 s[88:89], vcc
	s_xor_b64 s[88:89], exec, s[88:89]
	s_cbranch_execz .LBB6_1149
; %bb.1148:                             ;   in Loop: Header=BB6_129 Depth=2
	v_ffbh_u32_e32 v7, v6
	v_min_u32_e32 v7, 32, v7
	v_mov_b32_e32 v29, v5
	v_mov_b32_e32 v30, v28
	v_bfe_u32 v3, v5, 2, 5
	v_subrev_u32_e32 v26, 29, v7
	v_lshlrev_b64 v[29:30], v26, v[29:30]
	v_sub_u32_e32 v7, 30, v7
	v_cmp_eq_u32_e32 vcc, 0, v3
	v_cndmask_b32_e32 v3, v3, v7, vcc
	v_lshlrev_b32_e32 v7, 24, v5
	v_and_b32_e32 v26, 3, v29
	v_and_b32_e32 v7, 0x80000000, v7
	v_cndmask_b32_e32 v6, v6, v26, vcc
	v_lshl_add_u32 v3, v3, 23, v7
	v_lshl_or_b32 v3, v6, 21, v3
	v_add_u32_e32 v3, 0x38000000, v3
                                        ; implicit-def: $vgpr6
.LBB6_1149:                             ;   in Loop: Header=BB6_129 Depth=2
	s_andn2_saveexec_b64 s[88:89], s[88:89]
; %bb.1150:                             ;   in Loop: Header=BB6_129 Depth=2
	v_mov_b32_e32 v3, -1
	v_cmp_gt_i16_sdwa vcc, sext(v5), v3 src0_sel:BYTE_0 src1_sel:DWORD
	v_mov_b32_e32 v3, 0xff800000
	v_mov_b32_e32 v7, 0x7f800000
	v_cndmask_b32_e32 v3, v3, v7, vcc
	v_cmp_eq_u32_e32 vcc, 0, v6
	v_mov_b32_e32 v6, 0x7f800001
	v_cndmask_b32_e32 v3, v6, v3, vcc
; %bb.1151:                             ;   in Loop: Header=BB6_129 Depth=2
	s_or_b64 exec, exec, s[88:89]
.LBB6_1152:                             ;   in Loop: Header=BB6_129 Depth=2
	s_or_b64 exec, exec, s[78:79]
.LBB6_1153:                             ;   in Loop: Header=BB6_129 Depth=2
	s_or_b64 exec, exec, s[20:21]
	v_mul_f32_e32 v6, v2, v3
	v_and_b32_e32 v29, 0x7f800000, v6
	v_mov_b32_e32 v30, v28
	v_cmp_ne_u64_e32 vcc, s[60:61], v[29:30]
	v_and_b32_e32 v2, 0x7fffff, v6
	v_mov_b32_e32 v3, v28
                                        ; implicit-def: $vgpr61
	s_and_saveexec_b64 s[20:21], vcc
	s_xor_b64 s[78:79], exec, s[20:21]
	s_cbranch_execz .LBB6_1167
; %bb.1154:                             ;   in Loop: Header=BB6_129 Depth=2
	v_and_b32_e32 v29, 0x7fffffff, v6
	v_mov_b32_e32 v30, v28
	v_cmp_gt_u64_e32 vcc, s[62:63], v[29:30]
	v_and_b32_sdwa v26, v6, s55 dst_sel:DWORD dst_unused:UNUSED_PAD src0_sel:BYTE_3 src1_sel:DWORD
                                        ; implicit-def: $vgpr61
	s_and_saveexec_b64 s[20:21], vcc
	s_xor_b64 s[88:89], exec, s[20:21]
	s_cbranch_execz .LBB6_1164
; %bb.1155:                             ;   in Loop: Header=BB6_129 Depth=2
	v_mov_b32_e32 v61, 0
	v_cmp_ne_u32_e32 vcc, 0, v6
	s_and_saveexec_b64 s[90:91], vcc
	s_cbranch_execz .LBB6_1163
; %bb.1156:                             ;   in Loop: Header=BB6_129 Depth=2
	v_bfe_u32 v29, v6, 23, 8
	v_cmp_gt_u32_e64 s[20:21], s64, v29
	v_sub_u32_e32 v6, 0x71, v29
	v_cmp_eq_u32_e32 vcc, 0, v29
	v_cndmask_b32_e64 v6, 0, v6, s[20:21]
	v_mov_b32_e32 v30, 0x70
	v_cndmask_b32_e32 v30, v6, v30, vcc
	v_or_b32_e32 v7, 0x800000, v2
	v_add_u32_e32 v6, 21, v30
	v_cndmask_b32_e32 v2, v7, v2, vcc
	v_lshlrev_b64 v[6:7], v6, -1
	v_add_u32_e32 v31, 20, v30
	v_bfi_b32 v6, v6, 0, v2
	v_lshlrev_b64 v[36:37], v31, 1
	v_lshrrev_b64 v[2:3], v30, v[2:3]
	v_bfi_b32 v7, v7, 0, 0
	v_cmp_eq_u64_e64 s[20:21], v[6:7], v[36:37]
	v_mov_b32_e32 v7, v3
	v_mov_b32_e32 v6, v2
	s_and_saveexec_b64 s[92:93], s[20:21]
; %bb.1157:                             ;   in Loop: Header=BB6_129 Depth=2
	v_bfe_u32 v3, v2, 21, 1
	v_add_co_u32_e64 v3, s[20:21], v2, v3
	v_add_co_u32_e64 v6, s[20:21], -1, v3
; %bb.1158:                             ;   in Loop: Header=BB6_129 Depth=2
	s_or_b64 exec, exec, s[92:93]
	v_add_u32_e32 v3, 0xffffff81, v29
	v_mov_b32_e32 v7, 0xffffff82
	v_cndmask_b32_e32 v3, v3, v7, vcc
	v_lshrrev_b32_e32 v7, 23, v2
	v_add3_u32 v29, v30, v3, v7
	v_add_u32_e32 v7, 14, v29
	v_and_b32_e32 v3, 0x1fffff, v6
	v_add_u32_e32 v2, v3, v2
	v_mov_b32_e32 v3, v28
	v_cmp_ne_u32_e32 vcc, 0, v7
                                        ; implicit-def: $vgpr6
	s_and_saveexec_b64 s[20:21], vcc
	s_xor_b64 s[20:21], exec, s[20:21]
; %bb.1159:                             ;   in Loop: Header=BB6_129 Depth=2
	v_cmp_lt_u64_e32 vcc, s[72:73], v[2:3]
	v_add_u32_e32 v6, 15, v29
	v_cndmask_b32_e32 v6, v7, v6, vcc
	v_cndmask_b32_e64 v7, 0, 1, vcc
	v_lshrrev_b64 v[2:3], v7, v[2:3]
; %bb.1160:                             ;   in Loop: Header=BB6_129 Depth=2
	s_andn2_saveexec_b64 s[20:21], s[20:21]
; %bb.1161:                             ;   in Loop: Header=BB6_129 Depth=2
	v_bfe_u32 v6, v2, 23, 1
; %bb.1162:                             ;   in Loop: Header=BB6_129 Depth=2
	s_or_b64 exec, exec, s[20:21]
	v_lshrrev_b64 v[2:3], 21, v[2:3]
	v_cmp_gt_i32_e32 vcc, 32, v6
	v_cndmask_b32_e32 v3, 0, v3, vcc
	v_cndmask_b32_e32 v2, 3, v2, vcc
	v_cmp_eq_u64_e64 s[20:21], 0, v[2:3]
	v_min_i32_e32 v3, 31, v6
	v_lshlrev_b32_e32 v3, 2, v3
	v_cmp_eq_u32_e32 vcc, 0, v6
	v_and_b32_e32 v3, 0xfc, v3
	v_and_or_b32 v2, v2, 3, v3
	s_and_b64 s[20:21], vcc, s[20:21]
	v_cndmask_b32_e64 v2, v2, 0, s[20:21]
	v_or_b32_e32 v61, v2, v26
.LBB6_1163:                             ;   in Loop: Header=BB6_129 Depth=2
	s_or_b64 exec, exec, s[90:91]
                                        ; implicit-def: $vgpr26
.LBB6_1164:                             ;   in Loop: Header=BB6_129 Depth=2
	s_andn2_saveexec_b64 s[20:21], s[88:89]
; %bb.1165:                             ;   in Loop: Header=BB6_129 Depth=2
	v_or_b32_e32 v61, 0x7b, v26
; %bb.1166:                             ;   in Loop: Header=BB6_129 Depth=2
	s_or_b64 exec, exec, s[20:21]
                                        ; implicit-def: $vgpr6
                                        ; implicit-def: $vgpr2_vgpr3
.LBB6_1167:                             ;   in Loop: Header=BB6_129 Depth=2
	s_andn2_saveexec_b64 s[20:21], s[78:79]
	s_cbranch_execz .LBB6_1173
; %bb.1168:                             ;   in Loop: Header=BB6_129 Depth=2
	v_cmp_ne_u64_e32 vcc, 0, v[2:3]
                                        ; implicit-def: $vgpr61
	s_and_saveexec_b64 s[78:79], vcc
	s_xor_b64 s[78:79], exec, s[78:79]
; %bb.1169:                             ;   in Loop: Header=BB6_129 Depth=2
	v_or_b32_sdwa v61, v6, s65 dst_sel:DWORD dst_unused:UNUSED_PAD src0_sel:BYTE_3 src1_sel:DWORD
                                        ; implicit-def: $vgpr6
; %bb.1170:                             ;   in Loop: Header=BB6_129 Depth=2
	s_andn2_saveexec_b64 s[78:79], s[78:79]
; %bb.1171:                             ;   in Loop: Header=BB6_129 Depth=2
	v_cmp_lt_i32_e32 vcc, -1, v6
	v_bfrev_b32_e32 v2, 0.5
	v_mov_b32_e32 v3, 0x7c
	v_cndmask_b32_e32 v61, v2, v3, vcc
; %bb.1172:                             ;   in Loop: Header=BB6_129 Depth=2
	s_or_b64 exec, exec, s[78:79]
.LBB6_1173:                             ;   in Loop: Header=BB6_129 Depth=2
	s_or_b64 exec, exec, s[20:21]
	v_lshrrev_b16_e32 v2, 8, v27
	v_cmp_ne_u16_e32 vcc, 0, v2
	v_mov_b32_e32 v6, 0
	v_mov_b32_e32 v7, 0
	s_and_saveexec_b64 s[20:21], vcc
	s_cbranch_execz .LBB6_1181
; %bb.1174:                             ;   in Loop: Header=BB6_129 Depth=2
	v_cmp_ne_u16_e32 vcc, s55, v2
	v_bfrev_b32_e32 v7, 1
	s_and_saveexec_b64 s[78:79], vcc
	s_cbranch_execz .LBB6_1180
; %bb.1175:                             ;   in Loop: Header=BB6_129 Depth=2
	v_and_b32_e32 v3, 0x7c, v2
	v_and_b32_e32 v26, 3, v2
	v_cmp_ne_u32_e32 vcc, s53, v3
                                        ; implicit-def: $vgpr7
	s_and_saveexec_b64 s[88:89], vcc
	s_xor_b64 s[88:89], exec, s[88:89]
	s_cbranch_execz .LBB6_1177
; %bb.1176:                             ;   in Loop: Header=BB6_129 Depth=2
	v_ffbh_u32_e32 v29, v26
	v_min_u32_e32 v29, 32, v29
	v_mov_b32_e32 v3, v28
	v_subrev_u32_e32 v30, 29, v29
	v_bfe_u32 v7, v2, 2, 5
	v_lshlrev_b64 v[2:3], v30, v[2:3]
	v_sub_u32_e32 v3, 30, v29
	v_cmp_eq_u32_e32 vcc, 0, v7
	v_cndmask_b32_e32 v3, v7, v3, vcc
	v_lshlrev_b32_e32 v7, 16, v27
	v_and_b32_e32 v2, 3, v2
	v_and_b32_e32 v7, 0x80000000, v7
	v_cndmask_b32_e32 v2, v26, v2, vcc
	v_lshl_add_u32 v3, v3, 23, v7
	v_lshl_or_b32 v2, v2, 21, v3
	v_add_u32_e32 v7, 0x38000000, v2
                                        ; implicit-def: $vgpr26
.LBB6_1177:                             ;   in Loop: Header=BB6_129 Depth=2
	s_andn2_saveexec_b64 s[88:89], s[88:89]
; %bb.1178:                             ;   in Loop: Header=BB6_129 Depth=2
	v_cmp_lt_i16_e32 vcc, -1, v27
	v_mov_b32_e32 v2, 0xff800000
	v_mov_b32_e32 v3, 0x7f800000
	v_cndmask_b32_e32 v2, v2, v3, vcc
	v_cmp_eq_u32_e32 vcc, 0, v26
	v_mov_b32_e32 v3, 0x7f800001
	v_cndmask_b32_e32 v7, v3, v2, vcc
; %bb.1179:                             ;   in Loop: Header=BB6_129 Depth=2
	s_or_b64 exec, exec, s[88:89]
.LBB6_1180:                             ;   in Loop: Header=BB6_129 Depth=2
	s_or_b64 exec, exec, s[78:79]
.LBB6_1181:                             ;   in Loop: Header=BB6_129 Depth=2
	s_or_b64 exec, exec, s[20:21]
	v_lshrrev_b16_e32 v2, 8, v5
	v_cmp_ne_u16_e32 vcc, 0, v2
	s_and_saveexec_b64 s[20:21], vcc
	s_cbranch_execz .LBB6_1189
; %bb.1182:                             ;   in Loop: Header=BB6_129 Depth=2
	v_cmp_ne_u16_e32 vcc, s55, v2
	v_bfrev_b32_e32 v6, 1
	s_and_saveexec_b64 s[78:79], vcc
	s_cbranch_execz .LBB6_1188
; %bb.1183:                             ;   in Loop: Header=BB6_129 Depth=2
	v_and_b32_e32 v3, 0x7c, v2
	v_and_b32_e32 v26, 3, v2
	v_cmp_ne_u32_e32 vcc, s53, v3
                                        ; implicit-def: $vgpr6
	s_and_saveexec_b64 s[88:89], vcc
	s_xor_b64 s[88:89], exec, s[88:89]
	s_cbranch_execz .LBB6_1185
; %bb.1184:                             ;   in Loop: Header=BB6_129 Depth=2
	v_ffbh_u32_e32 v27, v26
	v_min_u32_e32 v27, 32, v27
	v_mov_b32_e32 v3, v28
	v_subrev_u32_e32 v29, 29, v27
	v_bfe_u32 v6, v2, 2, 5
	v_lshlrev_b64 v[2:3], v29, v[2:3]
	v_sub_u32_e32 v3, 30, v27
	v_cmp_eq_u32_e32 vcc, 0, v6
	v_cndmask_b32_e32 v3, v6, v3, vcc
	v_lshlrev_b32_e32 v6, 16, v5
	v_and_b32_e32 v2, 3, v2
	v_and_b32_e32 v6, 0x80000000, v6
	v_cndmask_b32_e32 v2, v26, v2, vcc
	v_lshl_add_u32 v3, v3, 23, v6
	v_lshl_or_b32 v2, v2, 21, v3
	v_add_u32_e32 v6, 0x38000000, v2
                                        ; implicit-def: $vgpr26
.LBB6_1185:                             ;   in Loop: Header=BB6_129 Depth=2
	s_andn2_saveexec_b64 s[88:89], s[88:89]
; %bb.1186:                             ;   in Loop: Header=BB6_129 Depth=2
	v_cmp_lt_i16_e32 vcc, -1, v5
	v_mov_b32_e32 v2, 0xff800000
	v_mov_b32_e32 v3, 0x7f800000
	v_cndmask_b32_e32 v2, v2, v3, vcc
	v_cmp_eq_u32_e32 vcc, 0, v26
	v_mov_b32_e32 v3, 0x7f800001
	v_cndmask_b32_e32 v6, v3, v2, vcc
; %bb.1187:                             ;   in Loop: Header=BB6_129 Depth=2
	s_or_b64 exec, exec, s[88:89]
.LBB6_1188:                             ;   in Loop: Header=BB6_129 Depth=2
	s_or_b64 exec, exec, s[78:79]
.LBB6_1189:                             ;   in Loop: Header=BB6_129 Depth=2
	s_or_b64 exec, exec, s[20:21]
	v_mul_f32_e32 v2, v7, v6
	v_and_b32_e32 v6, 0x7f800000, v2
	v_mov_b32_e32 v7, v28
	v_cmp_ne_u64_e32 vcc, s[60:61], v[6:7]
	v_and_b32_e32 v27, 0x7fffff, v2
                                        ; implicit-def: $vgpr62
	s_and_saveexec_b64 s[20:21], vcc
	s_xor_b64 s[78:79], exec, s[20:21]
	s_cbranch_execz .LBB6_1203
; %bb.1190:                             ;   in Loop: Header=BB6_129 Depth=2
	v_and_b32_e32 v6, 0x7fffffff, v2
	v_mov_b32_e32 v7, v28
	v_cmp_gt_u64_e32 vcc, s[62:63], v[6:7]
	v_and_b32_sdwa v26, v2, s55 dst_sel:DWORD dst_unused:UNUSED_PAD src0_sel:BYTE_3 src1_sel:DWORD
                                        ; implicit-def: $vgpr62
	s_and_saveexec_b64 s[20:21], vcc
	s_xor_b64 s[88:89], exec, s[20:21]
	s_cbranch_execz .LBB6_1200
; %bb.1191:                             ;   in Loop: Header=BB6_129 Depth=2
	v_mov_b32_e32 v62, 0
	v_cmp_ne_u32_e32 vcc, 0, v2
	s_and_saveexec_b64 s[90:91], vcc
	s_cbranch_execz .LBB6_1199
; %bb.1192:                             ;   in Loop: Header=BB6_129 Depth=2
	v_bfe_u32 v29, v2, 23, 8
	v_cmp_gt_u32_e64 s[20:21], s64, v29
	v_sub_u32_e32 v2, 0x71, v29
	v_cmp_eq_u32_e32 vcc, 0, v29
	v_cndmask_b32_e64 v2, 0, v2, s[20:21]
	v_mov_b32_e32 v6, 0x70
	v_cndmask_b32_e32 v30, v2, v6, vcc
	v_add_u32_e32 v6, 21, v30
	v_or_b32_e32 v3, 0x800000, v27
	v_lshlrev_b64 v[6:7], v6, -1
	v_cndmask_b32_e32 v2, v3, v27, vcc
	v_mov_b32_e32 v3, v28
	v_add_u32_e32 v27, 20, v30
	v_bfi_b32 v6, v6, 0, v2
	v_lshlrev_b64 v[36:37], v27, 1
	v_lshrrev_b64 v[2:3], v30, v[2:3]
	v_bfi_b32 v7, v7, 0, 0
	v_cmp_eq_u64_e64 s[20:21], v[6:7], v[36:37]
	v_mov_b32_e32 v7, v3
	v_mov_b32_e32 v6, v2
	s_and_saveexec_b64 s[92:93], s[20:21]
; %bb.1193:                             ;   in Loop: Header=BB6_129 Depth=2
	v_bfe_u32 v3, v2, 21, 1
	v_add_co_u32_e64 v3, s[20:21], v2, v3
	v_add_co_u32_e64 v6, s[20:21], -1, v3
; %bb.1194:                             ;   in Loop: Header=BB6_129 Depth=2
	s_or_b64 exec, exec, s[92:93]
	v_add_u32_e32 v3, 0xffffff81, v29
	v_mov_b32_e32 v7, 0xffffff82
	v_cndmask_b32_e32 v3, v3, v7, vcc
	v_lshrrev_b32_e32 v7, 23, v2
	v_add3_u32 v29, v30, v3, v7
	v_add_u32_e32 v7, 14, v29
	v_and_b32_e32 v3, 0x1fffff, v6
	v_add_u32_e32 v27, v3, v2
	v_cmp_ne_u32_e32 vcc, 0, v7
                                        ; implicit-def: $vgpr2_vgpr3
                                        ; implicit-def: $vgpr6
	s_and_saveexec_b64 s[20:21], vcc
	s_xor_b64 s[20:21], exec, s[20:21]
; %bb.1195:                             ;   in Loop: Header=BB6_129 Depth=2
	v_cmp_lt_u64_e32 vcc, s[72:73], v[27:28]
	v_add_u32_e32 v2, 15, v29
	v_cndmask_b32_e32 v6, v7, v2, vcc
	v_cndmask_b32_e64 v2, 0, 1, vcc
	v_lshrrev_b64 v[2:3], v2, v[27:28]
; %bb.1196:                             ;   in Loop: Header=BB6_129 Depth=2
	s_andn2_saveexec_b64 s[20:21], s[20:21]
; %bb.1197:                             ;   in Loop: Header=BB6_129 Depth=2
	v_mov_b32_e32 v2, v27
	v_mov_b32_e32 v3, v28
	v_bfe_u32 v6, v27, 23, 1
; %bb.1198:                             ;   in Loop: Header=BB6_129 Depth=2
	s_or_b64 exec, exec, s[20:21]
	v_lshrrev_b64 v[2:3], 21, v[2:3]
	v_cmp_gt_i32_e32 vcc, 32, v6
	v_cndmask_b32_e32 v3, 0, v3, vcc
	v_cndmask_b32_e32 v2, 3, v2, vcc
	v_cmp_eq_u64_e64 s[20:21], 0, v[2:3]
	v_min_i32_e32 v3, 31, v6
	v_lshlrev_b32_e32 v3, 2, v3
	v_cmp_eq_u32_e32 vcc, 0, v6
	v_and_b32_e32 v3, 0xfc, v3
	v_and_or_b32 v2, v2, 3, v3
	s_and_b64 s[20:21], vcc, s[20:21]
	v_cndmask_b32_e64 v2, v2, 0, s[20:21]
	v_or_b32_e32 v62, v2, v26
.LBB6_1199:                             ;   in Loop: Header=BB6_129 Depth=2
	s_or_b64 exec, exec, s[90:91]
                                        ; implicit-def: $vgpr26
.LBB6_1200:                             ;   in Loop: Header=BB6_129 Depth=2
	s_andn2_saveexec_b64 s[20:21], s[88:89]
; %bb.1201:                             ;   in Loop: Header=BB6_129 Depth=2
	v_or_b32_e32 v62, 0x7b, v26
; %bb.1202:                             ;   in Loop: Header=BB6_129 Depth=2
	s_or_b64 exec, exec, s[20:21]
                                        ; implicit-def: $vgpr2
.LBB6_1203:                             ;   in Loop: Header=BB6_129 Depth=2
	s_andn2_saveexec_b64 s[20:21], s[78:79]
	s_cbranch_execz .LBB6_1209
; %bb.1204:                             ;   in Loop: Header=BB6_129 Depth=2
	v_cmp_ne_u64_e32 vcc, 0, v[27:28]
                                        ; implicit-def: $vgpr62
	s_and_saveexec_b64 s[78:79], vcc
	s_xor_b64 s[78:79], exec, s[78:79]
; %bb.1205:                             ;   in Loop: Header=BB6_129 Depth=2
	v_or_b32_sdwa v62, v2, s65 dst_sel:DWORD dst_unused:UNUSED_PAD src0_sel:BYTE_3 src1_sel:DWORD
                                        ; implicit-def: $vgpr2
; %bb.1206:                             ;   in Loop: Header=BB6_129 Depth=2
	s_andn2_saveexec_b64 s[78:79], s[78:79]
; %bb.1207:                             ;   in Loop: Header=BB6_129 Depth=2
	v_cmp_lt_i32_e32 vcc, -1, v2
	v_bfrev_b32_e32 v2, 0.5
	v_mov_b32_e32 v3, 0x7c
	v_cndmask_b32_e32 v62, v2, v3, vcc
; %bb.1208:                             ;   in Loop: Header=BB6_129 Depth=2
	s_or_b64 exec, exec, s[78:79]
.LBB6_1209:                             ;   in Loop: Header=BB6_129 Depth=2
	s_or_b64 exec, exec, s[20:21]
	v_lshrrev_b32_e32 v2, 16, v35
	v_cmp_ne_u16_sdwa s[78:79], v2, v28 src0_sel:BYTE_0 src1_sel:DWORD
	v_mov_b32_e32 v3, 0
	v_mov_b32_e32 v6, 0
	s_and_saveexec_b64 s[20:21], s[78:79]
	s_cbranch_execz .LBB6_1217
; %bb.1210:                             ;   in Loop: Header=BB6_129 Depth=2
	v_cmp_ne_u16_sdwa s[88:89], v2, s55 src0_sel:BYTE_0 src1_sel:DWORD
	v_bfrev_b32_e32 v6, 1
	s_and_saveexec_b64 s[78:79], s[88:89]
	s_cbranch_execz .LBB6_1216
; %bb.1211:                             ;   in Loop: Header=BB6_129 Depth=2
	v_and_b32_e32 v6, 0x7c0000, v35
	v_bfe_u32 v7, v35, 16, 2
	v_cmp_ne_u32_e32 vcc, s66, v6
                                        ; implicit-def: $vgpr6
	s_and_saveexec_b64 s[88:89], vcc
	s_xor_b64 s[88:89], exec, s[88:89]
	s_cbranch_execz .LBB6_1213
; %bb.1212:                             ;   in Loop: Header=BB6_129 Depth=2
	v_ffbh_u32_e32 v26, v7
	v_min_u32_e32 v29, 32, v26
	v_subrev_u32_e32 v26, 29, v29
	v_lshlrev_b64 v[26:27], v26, v[2:3]
	v_bfe_u32 v6, v35, 18, 5
	v_sub_u32_e32 v2, 30, v29
	v_and_b32_e32 v26, 3, v26
	v_cmp_eq_u32_e32 vcc, 0, v6
	v_cndmask_b32_e32 v2, v6, v2, vcc
	v_cndmask_b32_e32 v6, v7, v26, vcc
	v_lshlrev_b32_e32 v7, 8, v35
	v_and_b32_e32 v7, 0x80000000, v7
	v_lshl_add_u32 v2, v2, 23, v7
	v_lshl_or_b32 v2, v6, 21, v2
	v_add_u32_e32 v6, 0x38000000, v2
                                        ; implicit-def: $vgpr7
                                        ; implicit-def: $vgpr2
.LBB6_1213:                             ;   in Loop: Header=BB6_129 Depth=2
	s_andn2_saveexec_b64 s[88:89], s[88:89]
; %bb.1214:                             ;   in Loop: Header=BB6_129 Depth=2
	v_mov_b32_e32 v6, -1
	v_cmp_gt_i16_sdwa vcc, sext(v2), v6 src0_sel:BYTE_0 src1_sel:DWORD
	v_mov_b32_e32 v2, 0xff800000
	v_mov_b32_e32 v6, 0x7f800000
	v_cndmask_b32_e32 v2, v2, v6, vcc
	v_cmp_eq_u32_e32 vcc, 0, v7
	v_mov_b32_e32 v6, 0x7f800001
	v_cndmask_b32_e32 v6, v6, v2, vcc
; %bb.1215:                             ;   in Loop: Header=BB6_129 Depth=2
	s_or_b64 exec, exec, s[88:89]
.LBB6_1216:                             ;   in Loop: Header=BB6_129 Depth=2
	s_or_b64 exec, exec, s[78:79]
.LBB6_1217:                             ;   in Loop: Header=BB6_129 Depth=2
	s_or_b64 exec, exec, s[20:21]
	v_lshrrev_b32_e32 v2, 16, v5
	v_cmp_ne_u16_sdwa s[78:79], v2, v28 src0_sel:BYTE_0 src1_sel:DWORD
	s_and_saveexec_b64 s[20:21], s[78:79]
	s_cbranch_execz .LBB6_1225
; %bb.1218:                             ;   in Loop: Header=BB6_129 Depth=2
	v_cmp_ne_u16_sdwa s[88:89], v2, s55 src0_sel:BYTE_0 src1_sel:DWORD
	v_bfrev_b32_e32 v3, 1
	s_and_saveexec_b64 s[78:79], s[88:89]
	s_cbranch_execz .LBB6_1224
; %bb.1219:                             ;   in Loop: Header=BB6_129 Depth=2
	v_and_b32_e32 v3, 0x7c0000, v5
	v_bfe_u32 v7, v5, 16, 2
	v_cmp_ne_u32_e32 vcc, s66, v3
                                        ; implicit-def: $vgpr3
	s_and_saveexec_b64 s[88:89], vcc
	s_xor_b64 s[88:89], exec, s[88:89]
	s_cbranch_execz .LBB6_1221
; %bb.1220:                             ;   in Loop: Header=BB6_129 Depth=2
	v_ffbh_u32_e32 v3, v7
	v_min_u32_e32 v27, 32, v3
	v_subrev_u32_e32 v3, 29, v27
	v_lshlrev_b64 v[2:3], v3, v[2:3]
	v_bfe_u32 v26, v5, 18, 5
	v_and_b32_e32 v2, 3, v2
	v_cmp_eq_u32_e32 vcc, 0, v26
	v_sub_u32_e32 v3, 30, v27
	v_cndmask_b32_e32 v2, v7, v2, vcc
	v_lshlrev_b32_e32 v7, 8, v5
	v_cndmask_b32_e32 v3, v26, v3, vcc
	v_and_b32_e32 v7, 0x80000000, v7
	v_lshl_add_u32 v3, v3, 23, v7
	v_lshl_or_b32 v2, v2, 21, v3
	v_add_u32_e32 v3, 0x38000000, v2
                                        ; implicit-def: $vgpr7
                                        ; implicit-def: $vgpr2
.LBB6_1221:                             ;   in Loop: Header=BB6_129 Depth=2
	s_andn2_saveexec_b64 s[88:89], s[88:89]
; %bb.1222:                             ;   in Loop: Header=BB6_129 Depth=2
	v_mov_b32_e32 v3, -1
	v_cmp_gt_i16_sdwa vcc, sext(v2), v3 src0_sel:BYTE_0 src1_sel:DWORD
	v_mov_b32_e32 v2, 0xff800000
	v_mov_b32_e32 v3, 0x7f800000
	v_cndmask_b32_e32 v2, v2, v3, vcc
	v_cmp_eq_u32_e32 vcc, 0, v7
	v_mov_b32_e32 v3, 0x7f800001
	v_cndmask_b32_e32 v3, v3, v2, vcc
; %bb.1223:                             ;   in Loop: Header=BB6_129 Depth=2
	s_or_b64 exec, exec, s[88:89]
.LBB6_1224:                             ;   in Loop: Header=BB6_129 Depth=2
	s_or_b64 exec, exec, s[78:79]
.LBB6_1225:                             ;   in Loop: Header=BB6_129 Depth=2
	s_or_b64 exec, exec, s[20:21]
	v_mul_f32_e32 v2, v6, v3
	v_and_b32_e32 v6, 0x7f800000, v2
	v_mov_b32_e32 v7, v28
	v_cmp_ne_u64_e32 vcc, s[60:61], v[6:7]
	v_and_b32_e32 v27, 0x7fffff, v2
                                        ; implicit-def: $vgpr6
	s_and_saveexec_b64 s[20:21], vcc
	s_xor_b64 s[78:79], exec, s[20:21]
	s_cbranch_execz .LBB6_1239
; %bb.1226:                             ;   in Loop: Header=BB6_129 Depth=2
	v_and_b32_e32 v6, 0x7fffffff, v2
	v_mov_b32_e32 v7, v28
	v_cmp_gt_u64_e32 vcc, s[62:63], v[6:7]
	v_and_b32_sdwa v26, v2, s55 dst_sel:DWORD dst_unused:UNUSED_PAD src0_sel:BYTE_3 src1_sel:DWORD
                                        ; implicit-def: $vgpr6
	s_and_saveexec_b64 s[20:21], vcc
	s_xor_b64 s[88:89], exec, s[20:21]
	s_cbranch_execz .LBB6_1236
; %bb.1227:                             ;   in Loop: Header=BB6_129 Depth=2
	v_mov_b32_e32 v6, 0
	v_cmp_ne_u32_e32 vcc, 0, v2
	s_and_saveexec_b64 s[90:91], vcc
	s_cbranch_execz .LBB6_1235
; %bb.1228:                             ;   in Loop: Header=BB6_129 Depth=2
	v_bfe_u32 v29, v2, 23, 8
	v_cmp_gt_u32_e64 s[20:21], s64, v29
	v_sub_u32_e32 v2, 0x71, v29
	v_cmp_eq_u32_e32 vcc, 0, v29
	v_cndmask_b32_e64 v2, 0, v2, s[20:21]
	v_mov_b32_e32 v6, 0x70
	v_cndmask_b32_e32 v30, v2, v6, vcc
	v_add_u32_e32 v6, 21, v30
	v_or_b32_e32 v3, 0x800000, v27
	v_lshlrev_b64 v[6:7], v6, -1
	v_cndmask_b32_e32 v2, v3, v27, vcc
	v_mov_b32_e32 v3, v28
	v_add_u32_e32 v27, 20, v30
	v_bfi_b32 v6, v6, 0, v2
	v_lshlrev_b64 v[36:37], v27, 1
	v_lshrrev_b64 v[2:3], v30, v[2:3]
	v_bfi_b32 v7, v7, 0, 0
	v_cmp_eq_u64_e64 s[20:21], v[6:7], v[36:37]
	v_mov_b32_e32 v7, v3
	v_mov_b32_e32 v6, v2
	s_and_saveexec_b64 s[92:93], s[20:21]
; %bb.1229:                             ;   in Loop: Header=BB6_129 Depth=2
	v_bfe_u32 v3, v2, 21, 1
	v_add_co_u32_e64 v3, s[20:21], v2, v3
	v_add_co_u32_e64 v6, s[20:21], -1, v3
; %bb.1230:                             ;   in Loop: Header=BB6_129 Depth=2
	s_or_b64 exec, exec, s[92:93]
	v_add_u32_e32 v3, 0xffffff81, v29
	v_mov_b32_e32 v7, 0xffffff82
	v_cndmask_b32_e32 v3, v3, v7, vcc
	v_lshrrev_b32_e32 v7, 23, v2
	v_add3_u32 v29, v30, v3, v7
	v_add_u32_e32 v7, 14, v29
	v_and_b32_e32 v3, 0x1fffff, v6
	v_add_u32_e32 v27, v3, v2
	v_cmp_ne_u32_e32 vcc, 0, v7
                                        ; implicit-def: $vgpr2_vgpr3
                                        ; implicit-def: $vgpr6
	s_and_saveexec_b64 s[20:21], vcc
	s_xor_b64 s[20:21], exec, s[20:21]
; %bb.1231:                             ;   in Loop: Header=BB6_129 Depth=2
	v_cmp_lt_u64_e32 vcc, s[72:73], v[27:28]
	v_add_u32_e32 v2, 15, v29
	v_cndmask_b32_e32 v6, v7, v2, vcc
	v_cndmask_b32_e64 v2, 0, 1, vcc
	v_lshrrev_b64 v[2:3], v2, v[27:28]
; %bb.1232:                             ;   in Loop: Header=BB6_129 Depth=2
	s_andn2_saveexec_b64 s[20:21], s[20:21]
; %bb.1233:                             ;   in Loop: Header=BB6_129 Depth=2
	v_mov_b32_e32 v2, v27
	v_mov_b32_e32 v3, v28
	v_bfe_u32 v6, v27, 23, 1
; %bb.1234:                             ;   in Loop: Header=BB6_129 Depth=2
	s_or_b64 exec, exec, s[20:21]
	v_lshrrev_b64 v[2:3], 21, v[2:3]
	v_cmp_gt_i32_e32 vcc, 32, v6
	v_cndmask_b32_e32 v3, 0, v3, vcc
	v_cndmask_b32_e32 v2, 3, v2, vcc
	v_cmp_eq_u64_e64 s[20:21], 0, v[2:3]
	v_min_i32_e32 v3, 31, v6
	v_lshlrev_b32_e32 v3, 2, v3
	v_cmp_eq_u32_e32 vcc, 0, v6
	v_and_b32_e32 v3, 0xfc, v3
	v_and_or_b32 v2, v2, 3, v3
	s_and_b64 s[20:21], vcc, s[20:21]
	v_cndmask_b32_e64 v2, v2, 0, s[20:21]
	v_or_b32_e32 v6, v2, v26
.LBB6_1235:                             ;   in Loop: Header=BB6_129 Depth=2
	s_or_b64 exec, exec, s[90:91]
                                        ; implicit-def: $vgpr26
.LBB6_1236:                             ;   in Loop: Header=BB6_129 Depth=2
	s_andn2_saveexec_b64 s[20:21], s[88:89]
; %bb.1237:                             ;   in Loop: Header=BB6_129 Depth=2
	v_or_b32_e32 v6, 0x7b, v26
; %bb.1238:                             ;   in Loop: Header=BB6_129 Depth=2
	s_or_b64 exec, exec, s[20:21]
                                        ; implicit-def: $vgpr2
.LBB6_1239:                             ;   in Loop: Header=BB6_129 Depth=2
	s_andn2_saveexec_b64 s[20:21], s[78:79]
	s_cbranch_execz .LBB6_1245
; %bb.1240:                             ;   in Loop: Header=BB6_129 Depth=2
	v_cmp_ne_u64_e32 vcc, 0, v[27:28]
                                        ; implicit-def: $vgpr6
	s_and_saveexec_b64 s[78:79], vcc
	s_xor_b64 s[78:79], exec, s[78:79]
; %bb.1241:                             ;   in Loop: Header=BB6_129 Depth=2
	v_or_b32_sdwa v6, v2, s65 dst_sel:DWORD dst_unused:UNUSED_PAD src0_sel:BYTE_3 src1_sel:DWORD
                                        ; implicit-def: $vgpr2
; %bb.1242:                             ;   in Loop: Header=BB6_129 Depth=2
	s_andn2_saveexec_b64 s[78:79], s[78:79]
; %bb.1243:                             ;   in Loop: Header=BB6_129 Depth=2
	v_cmp_lt_i32_e32 vcc, -1, v2
	v_bfrev_b32_e32 v2, 0.5
	v_mov_b32_e32 v3, 0x7c
	v_cndmask_b32_e32 v6, v2, v3, vcc
; %bb.1244:                             ;   in Loop: Header=BB6_129 Depth=2
	s_or_b64 exec, exec, s[78:79]
.LBB6_1245:                             ;   in Loop: Header=BB6_129 Depth=2
	s_or_b64 exec, exec, s[20:21]
	v_cmp_lt_u64_e32 vcc, s[58:59], v[34:35]
	v_mov_b32_e32 v3, 0
	v_mov_b32_e32 v7, 0
	s_and_saveexec_b64 s[20:21], vcc
	s_cbranch_execz .LBB6_1253
; %bb.1246:                             ;   in Loop: Header=BB6_129 Depth=2
	v_lshrrev_b32_e32 v2, 24, v35
	v_cmp_ne_u32_e32 vcc, s55, v2
	v_bfrev_b32_e32 v7, 1
	s_and_saveexec_b64 s[78:79], vcc
	s_cbranch_execz .LBB6_1252
; %bb.1247:                             ;   in Loop: Header=BB6_129 Depth=2
	v_and_b32_e32 v7, 0x7c000000, v35
	v_bfe_u32 v26, v35, 24, 2
	v_cmp_ne_u32_e32 vcc, s67, v7
                                        ; implicit-def: $vgpr7
	s_and_saveexec_b64 s[88:89], vcc
	s_xor_b64 s[88:89], exec, s[88:89]
	s_cbranch_execz .LBB6_1249
; %bb.1248:                             ;   in Loop: Header=BB6_129 Depth=2
	v_ffbh_u32_e32 v27, v26
	v_min_u32_e32 v27, 32, v27
	v_subrev_u32_e32 v29, 29, v27
	v_lshlrev_b64 v[29:30], v29, v[2:3]
	v_bfe_u32 v7, v35, 26, 5
	v_sub_u32_e32 v2, 30, v27
	v_and_b32_e32 v27, 3, v29
	v_cmp_eq_u32_e32 vcc, 0, v7
	v_cndmask_b32_e32 v2, v7, v2, vcc
	v_cndmask_b32_e32 v7, v26, v27, vcc
	v_and_b32_e32 v26, 0x80000000, v35
	v_lshl_add_u32 v2, v2, 23, v26
	v_lshl_or_b32 v2, v7, 21, v2
	v_add_u32_e32 v7, 0x38000000, v2
                                        ; implicit-def: $vgpr26
                                        ; implicit-def: $vgpr34_vgpr35
.LBB6_1249:                             ;   in Loop: Header=BB6_129 Depth=2
	s_andn2_saveexec_b64 s[88:89], s[88:89]
; %bb.1250:                             ;   in Loop: Header=BB6_129 Depth=2
	v_cmp_lt_i64_e32 vcc, -1, v[34:35]
	v_mov_b32_e32 v2, 0xff800000
	v_mov_b32_e32 v7, 0x7f800000
	v_cndmask_b32_e32 v2, v2, v7, vcc
	v_cmp_eq_u32_e32 vcc, 0, v26
	v_mov_b32_e32 v7, 0x7f800001
	v_cndmask_b32_e32 v7, v7, v2, vcc
; %bb.1251:                             ;   in Loop: Header=BB6_129 Depth=2
	s_or_b64 exec, exec, s[88:89]
.LBB6_1252:                             ;   in Loop: Header=BB6_129 Depth=2
	s_or_b64 exec, exec, s[78:79]
.LBB6_1253:                             ;   in Loop: Header=BB6_129 Depth=2
	s_or_b64 exec, exec, s[20:21]
	v_cmp_lt_u64_e32 vcc, s[58:59], v[4:5]
	s_and_saveexec_b64 s[20:21], vcc
	s_cbranch_execz .LBB6_1261
; %bb.1254:                             ;   in Loop: Header=BB6_129 Depth=2
	v_lshrrev_b32_e32 v2, 24, v5
	v_cmp_ne_u32_e32 vcc, s55, v2
	v_bfrev_b32_e32 v3, 1
	s_and_saveexec_b64 s[78:79], vcc
	s_cbranch_execz .LBB6_1260
; %bb.1255:                             ;   in Loop: Header=BB6_129 Depth=2
	v_and_b32_e32 v3, 0x7c000000, v5
	v_bfe_u32 v26, v5, 24, 2
	v_cmp_ne_u32_e32 vcc, s67, v3
                                        ; implicit-def: $vgpr3
	s_and_saveexec_b64 s[88:89], vcc
	s_xor_b64 s[88:89], exec, s[88:89]
	s_cbranch_execz .LBB6_1257
; %bb.1256:                             ;   in Loop: Header=BB6_129 Depth=2
	v_ffbh_u32_e32 v3, v26
	v_min_u32_e32 v27, 32, v3
	v_subrev_u32_e32 v3, 29, v27
	v_bfe_u32 v4, v5, 26, 5
	v_lshlrev_b64 v[2:3], v3, v[2:3]
	v_sub_u32_e32 v3, 30, v27
	v_cmp_eq_u32_e32 vcc, 0, v4
	v_and_b32_e32 v2, 3, v2
	v_cndmask_b32_e32 v3, v4, v3, vcc
	v_and_b32_e32 v4, 0x80000000, v5
	v_cndmask_b32_e32 v2, v26, v2, vcc
	v_lshl_add_u32 v3, v3, 23, v4
	v_lshl_or_b32 v2, v2, 21, v3
	v_add_u32_e32 v3, 0x38000000, v2
                                        ; implicit-def: $vgpr26
                                        ; implicit-def: $vgpr4_vgpr5
.LBB6_1257:                             ;   in Loop: Header=BB6_129 Depth=2
	s_andn2_saveexec_b64 s[88:89], s[88:89]
; %bb.1258:                             ;   in Loop: Header=BB6_129 Depth=2
	v_cmp_lt_i64_e32 vcc, -1, v[4:5]
	v_mov_b32_e32 v2, 0xff800000
	v_mov_b32_e32 v3, 0x7f800000
	v_cndmask_b32_e32 v2, v2, v3, vcc
	v_cmp_eq_u32_e32 vcc, 0, v26
	v_mov_b32_e32 v3, 0x7f800001
	v_cndmask_b32_e32 v3, v3, v2, vcc
; %bb.1259:                             ;   in Loop: Header=BB6_129 Depth=2
	s_or_b64 exec, exec, s[88:89]
.LBB6_1260:                             ;   in Loop: Header=BB6_129 Depth=2
	s_or_b64 exec, exec, s[78:79]
.LBB6_1261:                             ;   in Loop: Header=BB6_129 Depth=2
	s_or_b64 exec, exec, s[20:21]
	v_mul_f32_e32 v2, v7, v3
	v_and_b32_e32 v3, 0x7f800000, v2
	v_mov_b32_e32 v4, v28
	v_cmp_ne_u64_e32 vcc, s[60:61], v[3:4]
	v_and_b32_e32 v27, 0x7fffff, v2
                                        ; implicit-def: $vgpr5
	s_and_saveexec_b64 s[20:21], vcc
	s_xor_b64 s[78:79], exec, s[20:21]
	s_cbranch_execz .LBB6_1275
; %bb.1262:                             ;   in Loop: Header=BB6_129 Depth=2
	v_and_b32_e32 v3, 0x7fffffff, v2
	v_mov_b32_e32 v4, v28
	v_cmp_gt_u64_e32 vcc, s[62:63], v[3:4]
	v_and_b32_sdwa v7, v2, s55 dst_sel:DWORD dst_unused:UNUSED_PAD src0_sel:BYTE_3 src1_sel:DWORD
                                        ; implicit-def: $vgpr5
	s_and_saveexec_b64 s[20:21], vcc
	s_xor_b64 s[88:89], exec, s[20:21]
	s_cbranch_execz .LBB6_1272
; %bb.1263:                             ;   in Loop: Header=BB6_129 Depth=2
	v_mov_b32_e32 v5, 0
	v_cmp_ne_u32_e32 vcc, 0, v2
	s_and_saveexec_b64 s[90:91], vcc
	s_cbranch_execz .LBB6_1271
; %bb.1264:                             ;   in Loop: Header=BB6_129 Depth=2
	v_bfe_u32 v5, v2, 23, 8
	v_cmp_gt_u32_e64 s[20:21], s64, v5
	v_sub_u32_e32 v2, 0x71, v5
	v_cmp_eq_u32_e32 vcc, 0, v5
	v_cndmask_b32_e64 v2, 0, v2, s[20:21]
	v_mov_b32_e32 v4, 0x70
	v_cndmask_b32_e32 v26, v2, v4, vcc
	v_add_u32_e32 v4, 21, v26
	v_or_b32_e32 v3, 0x800000, v27
	v_lshlrev_b64 v[29:30], v4, -1
	v_cndmask_b32_e32 v2, v3, v27, vcc
	v_mov_b32_e32 v3, v28
	v_add_u32_e32 v4, 20, v26
	v_bfi_b32 v29, v29, 0, v2
	v_lshlrev_b64 v[34:35], v4, 1
	v_lshrrev_b64 v[2:3], v26, v[2:3]
	v_bfi_b32 v30, v30, 0, 0
	v_cmp_eq_u64_e64 s[20:21], v[29:30], v[34:35]
	v_mov_b32_e32 v4, v3
	v_mov_b32_e32 v3, v2
	s_and_saveexec_b64 s[92:93], s[20:21]
; %bb.1265:                             ;   in Loop: Header=BB6_129 Depth=2
	v_bfe_u32 v3, v2, 21, 1
	v_add_co_u32_e64 v3, s[20:21], v2, v3
	v_add_co_u32_e64 v3, s[20:21], -1, v3
; %bb.1266:                             ;   in Loop: Header=BB6_129 Depth=2
	s_or_b64 exec, exec, s[92:93]
	v_add_u32_e32 v4, 0xffffff81, v5
	v_mov_b32_e32 v5, 0xffffff82
	v_cndmask_b32_e32 v4, v4, v5, vcc
	v_lshrrev_b32_e32 v5, 23, v2
	v_add3_u32 v26, v26, v4, v5
	v_add_u32_e32 v5, 14, v26
	v_and_b32_e32 v3, 0x1fffff, v3
	v_add_u32_e32 v27, v3, v2
	v_cmp_ne_u32_e32 vcc, 0, v5
                                        ; implicit-def: $vgpr2_vgpr3
                                        ; implicit-def: $vgpr4
	s_and_saveexec_b64 s[20:21], vcc
	s_xor_b64 s[20:21], exec, s[20:21]
; %bb.1267:                             ;   in Loop: Header=BB6_129 Depth=2
	v_cmp_lt_u64_e32 vcc, s[72:73], v[27:28]
	v_add_u32_e32 v2, 15, v26
	v_cndmask_b32_e32 v4, v5, v2, vcc
	v_cndmask_b32_e64 v2, 0, 1, vcc
	v_lshrrev_b64 v[2:3], v2, v[27:28]
; %bb.1268:                             ;   in Loop: Header=BB6_129 Depth=2
	s_andn2_saveexec_b64 s[20:21], s[20:21]
; %bb.1269:                             ;   in Loop: Header=BB6_129 Depth=2
	v_mov_b32_e32 v2, v27
	v_mov_b32_e32 v3, v28
	v_bfe_u32 v4, v27, 23, 1
; %bb.1270:                             ;   in Loop: Header=BB6_129 Depth=2
	s_or_b64 exec, exec, s[20:21]
	v_lshrrev_b64 v[2:3], 21, v[2:3]
	v_cmp_gt_i32_e32 vcc, 32, v4
	v_cndmask_b32_e32 v3, 0, v3, vcc
	v_cndmask_b32_e32 v2, 3, v2, vcc
	v_cmp_eq_u64_e64 s[20:21], 0, v[2:3]
	v_min_i32_e32 v3, 31, v4
	v_lshlrev_b32_e32 v3, 2, v3
	v_cmp_eq_u32_e32 vcc, 0, v4
	v_and_b32_e32 v3, 0xfc, v3
	v_and_or_b32 v2, v2, 3, v3
	s_and_b64 s[20:21], vcc, s[20:21]
	v_cndmask_b32_e64 v2, v2, 0, s[20:21]
	v_or_b32_e32 v5, v2, v7
.LBB6_1271:                             ;   in Loop: Header=BB6_129 Depth=2
	s_or_b64 exec, exec, s[90:91]
                                        ; implicit-def: $vgpr7
.LBB6_1272:                             ;   in Loop: Header=BB6_129 Depth=2
	s_andn2_saveexec_b64 s[20:21], s[88:89]
; %bb.1273:                             ;   in Loop: Header=BB6_129 Depth=2
	v_or_b32_e32 v5, 0x7b, v7
; %bb.1274:                             ;   in Loop: Header=BB6_129 Depth=2
	s_or_b64 exec, exec, s[20:21]
                                        ; implicit-def: $vgpr2
.LBB6_1275:                             ;   in Loop: Header=BB6_129 Depth=2
	s_andn2_saveexec_b64 s[20:21], s[78:79]
	s_cbranch_execz .LBB6_1281
; %bb.1276:                             ;   in Loop: Header=BB6_129 Depth=2
	v_cmp_ne_u64_e32 vcc, 0, v[27:28]
                                        ; implicit-def: $vgpr5
	s_and_saveexec_b64 s[78:79], vcc
	s_xor_b64 s[78:79], exec, s[78:79]
; %bb.1277:                             ;   in Loop: Header=BB6_129 Depth=2
	v_or_b32_sdwa v5, v2, s65 dst_sel:DWORD dst_unused:UNUSED_PAD src0_sel:BYTE_3 src1_sel:DWORD
                                        ; implicit-def: $vgpr2
; %bb.1278:                             ;   in Loop: Header=BB6_129 Depth=2
	s_andn2_saveexec_b64 s[78:79], s[78:79]
; %bb.1279:                             ;   in Loop: Header=BB6_129 Depth=2
	v_cmp_lt_i32_e32 vcc, -1, v2
	v_bfrev_b32_e32 v2, 0.5
	v_mov_b32_e32 v3, 0x7c
	v_cndmask_b32_e32 v5, v2, v3, vcc
; %bb.1280:                             ;   in Loop: Header=BB6_129 Depth=2
	s_or_b64 exec, exec, s[78:79]
.LBB6_1281:                             ;   in Loop: Header=BB6_129 Depth=2
	s_or_b64 exec, exec, s[20:21]
	v_cmp_ne_u16_sdwa s[78:79], v22, v28 src0_sel:BYTE_0 src1_sel:DWORD
	v_mov_b32_e32 v2, 0
	v_mov_b32_e32 v3, 0
	s_and_saveexec_b64 s[20:21], s[78:79]
	s_cbranch_execz .LBB6_1289
; %bb.1282:                             ;   in Loop: Header=BB6_129 Depth=2
	v_cmp_ne_u16_sdwa s[88:89], sext(v22), s52 src0_sel:BYTE_0 src1_sel:DWORD
	v_bfrev_b32_e32 v3, 1
	s_and_saveexec_b64 s[78:79], s[88:89]
	s_cbranch_execz .LBB6_1288
; %bb.1283:                             ;   in Loop: Header=BB6_129 Depth=2
	v_and_b32_e32 v3, 0x7c, v22
	v_and_b32_e32 v4, 3, v22
	v_cmp_ne_u32_e32 vcc, s53, v3
                                        ; implicit-def: $vgpr3
	s_and_saveexec_b64 s[88:89], vcc
	s_xor_b64 s[88:89], exec, s[88:89]
	s_cbranch_execz .LBB6_1285
; %bb.1284:                             ;   in Loop: Header=BB6_129 Depth=2
	v_ffbh_u32_e32 v7, v4
	v_min_u32_e32 v7, 32, v7
	v_bfe_u32 v3, v22, 2, 5
	v_subrev_u32_e32 v26, 29, v7
	v_lshlrev_b64 v[26:27], v26, v[22:23]
	v_sub_u32_e32 v7, 30, v7
	v_cmp_eq_u32_e32 vcc, 0, v3
	v_cndmask_b32_e32 v3, v3, v7, vcc
	v_lshlrev_b32_e32 v7, 24, v22
	v_and_b32_e32 v26, 3, v26
	v_and_b32_e32 v7, 0x80000000, v7
	v_cndmask_b32_e32 v4, v4, v26, vcc
	v_lshl_add_u32 v3, v3, 23, v7
	v_lshl_or_b32 v3, v4, 21, v3
	v_add_u32_e32 v3, 0x38000000, v3
                                        ; implicit-def: $vgpr4
.LBB6_1285:                             ;   in Loop: Header=BB6_129 Depth=2
	s_andn2_saveexec_b64 s[88:89], s[88:89]
; %bb.1286:                             ;   in Loop: Header=BB6_129 Depth=2
	v_mov_b32_e32 v3, -1
	v_cmp_gt_i16_sdwa vcc, sext(v22), v3 src0_sel:BYTE_0 src1_sel:DWORD
	v_mov_b32_e32 v3, 0xff800000
	v_mov_b32_e32 v7, 0x7f800000
	v_cndmask_b32_e32 v3, v3, v7, vcc
	v_cmp_eq_u32_e32 vcc, 0, v4
	v_mov_b32_e32 v4, 0x7f800001
	v_cndmask_b32_e32 v3, v4, v3, vcc
; %bb.1287:                             ;   in Loop: Header=BB6_129 Depth=2
	s_or_b64 exec, exec, s[88:89]
.LBB6_1288:                             ;   in Loop: Header=BB6_129 Depth=2
	s_or_b64 exec, exec, s[78:79]
.LBB6_1289:                             ;   in Loop: Header=BB6_129 Depth=2
	s_or_b64 exec, exec, s[20:21]
	s_waitcnt vmcnt(1)
	v_cmp_ne_u16_sdwa s[78:79], v18, v28 src0_sel:BYTE_0 src1_sel:DWORD
	s_and_saveexec_b64 s[20:21], s[78:79]
	s_cbranch_execz .LBB6_1297
; %bb.1290:                             ;   in Loop: Header=BB6_129 Depth=2
	v_cmp_ne_u16_sdwa s[88:89], sext(v18), s52 src0_sel:BYTE_0 src1_sel:DWORD
	v_bfrev_b32_e32 v2, 1
	s_and_saveexec_b64 s[78:79], s[88:89]
	s_cbranch_execz .LBB6_1296
; %bb.1291:                             ;   in Loop: Header=BB6_129 Depth=2
	v_and_b32_e32 v2, 0x7c, v18
	v_and_b32_e32 v4, 3, v18
	v_cmp_ne_u32_e32 vcc, s53, v2
                                        ; implicit-def: $vgpr2
	s_and_saveexec_b64 s[88:89], vcc
	s_xor_b64 s[88:89], exec, s[88:89]
	s_cbranch_execz .LBB6_1293
; %bb.1292:                             ;   in Loop: Header=BB6_129 Depth=2
	v_ffbh_u32_e32 v7, v4
	v_min_u32_e32 v7, 32, v7
	v_bfe_u32 v2, v18, 2, 5
	v_subrev_u32_e32 v26, 29, v7
	v_lshlrev_b64 v[26:27], v26, v[18:19]
	v_sub_u32_e32 v7, 30, v7
	v_cmp_eq_u32_e32 vcc, 0, v2
	v_cndmask_b32_e32 v2, v2, v7, vcc
	v_lshlrev_b32_e32 v7, 24, v18
	v_and_b32_e32 v26, 3, v26
	v_and_b32_e32 v7, 0x80000000, v7
	v_cndmask_b32_e32 v4, v4, v26, vcc
	v_lshl_add_u32 v2, v2, 23, v7
	v_lshl_or_b32 v2, v4, 21, v2
	v_add_u32_e32 v2, 0x38000000, v2
                                        ; implicit-def: $vgpr4
.LBB6_1293:                             ;   in Loop: Header=BB6_129 Depth=2
	s_andn2_saveexec_b64 s[88:89], s[88:89]
; %bb.1294:                             ;   in Loop: Header=BB6_129 Depth=2
	v_mov_b32_e32 v2, -1
	v_cmp_gt_i16_sdwa vcc, sext(v18), v2 src0_sel:BYTE_0 src1_sel:DWORD
	v_mov_b32_e32 v2, 0xff800000
	v_mov_b32_e32 v7, 0x7f800000
	v_cndmask_b32_e32 v2, v2, v7, vcc
	v_cmp_eq_u32_e32 vcc, 0, v4
	v_mov_b32_e32 v4, 0x7f800001
	v_cndmask_b32_e32 v2, v4, v2, vcc
; %bb.1295:                             ;   in Loop: Header=BB6_129 Depth=2
	s_or_b64 exec, exec, s[88:89]
.LBB6_1296:                             ;   in Loop: Header=BB6_129 Depth=2
	s_or_b64 exec, exec, s[78:79]
.LBB6_1297:                             ;   in Loop: Header=BB6_129 Depth=2
	s_or_b64 exec, exec, s[20:21]
	v_mul_f32_e32 v2, v3, v2
	v_and_b32_e32 v3, 0x7f800000, v2
	v_mov_b32_e32 v4, v28
	v_cmp_ne_u64_e32 vcc, s[60:61], v[3:4]
	v_and_b32_e32 v27, 0x7fffff, v2
                                        ; implicit-def: $vgpr7
	s_and_saveexec_b64 s[20:21], vcc
	s_xor_b64 s[78:79], exec, s[20:21]
	s_cbranch_execz .LBB6_1311
; %bb.1298:                             ;   in Loop: Header=BB6_129 Depth=2
	v_and_b32_e32 v3, 0x7fffffff, v2
	v_mov_b32_e32 v4, v28
	v_cmp_gt_u64_e32 vcc, s[62:63], v[3:4]
	v_and_b32_sdwa v26, v2, s55 dst_sel:DWORD dst_unused:UNUSED_PAD src0_sel:BYTE_3 src1_sel:DWORD
                                        ; implicit-def: $vgpr7
	s_and_saveexec_b64 s[20:21], vcc
	s_xor_b64 s[88:89], exec, s[20:21]
	s_cbranch_execz .LBB6_1308
; %bb.1299:                             ;   in Loop: Header=BB6_129 Depth=2
	v_mov_b32_e32 v7, 0
	v_cmp_ne_u32_e32 vcc, 0, v2
	s_and_saveexec_b64 s[90:91], vcc
	s_cbranch_execz .LBB6_1307
; %bb.1300:                             ;   in Loop: Header=BB6_129 Depth=2
	v_bfe_u32 v7, v2, 23, 8
	v_cmp_gt_u32_e64 s[20:21], s64, v7
	v_sub_u32_e32 v2, 0x71, v7
	v_cmp_eq_u32_e32 vcc, 0, v7
	v_cndmask_b32_e64 v2, 0, v2, s[20:21]
	v_mov_b32_e32 v4, 0x70
	v_cndmask_b32_e32 v29, v2, v4, vcc
	v_add_u32_e32 v4, 21, v29
	v_or_b32_e32 v3, 0x800000, v27
	v_lshlrev_b64 v[30:31], v4, -1
	v_cndmask_b32_e32 v2, v3, v27, vcc
	v_mov_b32_e32 v3, v28
	v_add_u32_e32 v4, 20, v29
	v_bfi_b32 v30, v30, 0, v2
	v_lshlrev_b64 v[34:35], v4, 1
	v_lshrrev_b64 v[2:3], v29, v[2:3]
	v_bfi_b32 v31, v31, 0, 0
	v_cmp_eq_u64_e64 s[20:21], v[30:31], v[34:35]
	v_mov_b32_e32 v4, v3
	v_mov_b32_e32 v3, v2
	s_and_saveexec_b64 s[92:93], s[20:21]
; %bb.1301:                             ;   in Loop: Header=BB6_129 Depth=2
	v_bfe_u32 v3, v2, 21, 1
	v_add_co_u32_e64 v3, s[20:21], v2, v3
	v_add_co_u32_e64 v3, s[20:21], -1, v3
; %bb.1302:                             ;   in Loop: Header=BB6_129 Depth=2
	s_or_b64 exec, exec, s[92:93]
	v_add_u32_e32 v4, 0xffffff81, v7
	v_mov_b32_e32 v7, 0xffffff82
	v_cndmask_b32_e32 v4, v4, v7, vcc
	v_lshrrev_b32_e32 v7, 23, v2
	v_add3_u32 v29, v29, v4, v7
	v_add_u32_e32 v7, 14, v29
	v_and_b32_e32 v3, 0x1fffff, v3
	v_add_u32_e32 v27, v3, v2
	v_cmp_ne_u32_e32 vcc, 0, v7
                                        ; implicit-def: $vgpr2_vgpr3
                                        ; implicit-def: $vgpr4
	s_and_saveexec_b64 s[20:21], vcc
	s_xor_b64 s[20:21], exec, s[20:21]
; %bb.1303:                             ;   in Loop: Header=BB6_129 Depth=2
	v_cmp_lt_u64_e32 vcc, s[72:73], v[27:28]
	v_add_u32_e32 v2, 15, v29
	v_cndmask_b32_e32 v4, v7, v2, vcc
	v_cndmask_b32_e64 v2, 0, 1, vcc
	v_lshrrev_b64 v[2:3], v2, v[27:28]
; %bb.1304:                             ;   in Loop: Header=BB6_129 Depth=2
	s_andn2_saveexec_b64 s[20:21], s[20:21]
; %bb.1305:                             ;   in Loop: Header=BB6_129 Depth=2
	v_mov_b32_e32 v2, v27
	v_mov_b32_e32 v3, v28
	v_bfe_u32 v4, v27, 23, 1
; %bb.1306:                             ;   in Loop: Header=BB6_129 Depth=2
	s_or_b64 exec, exec, s[20:21]
	v_lshrrev_b64 v[2:3], 21, v[2:3]
	v_cmp_gt_i32_e32 vcc, 32, v4
	v_cndmask_b32_e32 v3, 0, v3, vcc
	v_cndmask_b32_e32 v2, 3, v2, vcc
	v_cmp_eq_u64_e64 s[20:21], 0, v[2:3]
	v_min_i32_e32 v3, 31, v4
	v_lshlrev_b32_e32 v3, 2, v3
	v_cmp_eq_u32_e32 vcc, 0, v4
	v_and_b32_e32 v3, 0xfc, v3
	v_and_or_b32 v2, v2, 3, v3
	s_and_b64 s[20:21], vcc, s[20:21]
	v_cndmask_b32_e64 v2, v2, 0, s[20:21]
	v_or_b32_e32 v7, v2, v26
.LBB6_1307:                             ;   in Loop: Header=BB6_129 Depth=2
	s_or_b64 exec, exec, s[90:91]
                                        ; implicit-def: $vgpr26
.LBB6_1308:                             ;   in Loop: Header=BB6_129 Depth=2
	s_andn2_saveexec_b64 s[20:21], s[88:89]
; %bb.1309:                             ;   in Loop: Header=BB6_129 Depth=2
	v_or_b32_e32 v7, 0x7b, v26
; %bb.1310:                             ;   in Loop: Header=BB6_129 Depth=2
	s_or_b64 exec, exec, s[20:21]
                                        ; implicit-def: $vgpr2
.LBB6_1311:                             ;   in Loop: Header=BB6_129 Depth=2
	s_andn2_saveexec_b64 s[20:21], s[78:79]
	s_cbranch_execz .LBB6_1317
; %bb.1312:                             ;   in Loop: Header=BB6_129 Depth=2
	v_cmp_ne_u64_e32 vcc, 0, v[27:28]
                                        ; implicit-def: $vgpr7
	s_and_saveexec_b64 s[78:79], vcc
	s_xor_b64 s[78:79], exec, s[78:79]
; %bb.1313:                             ;   in Loop: Header=BB6_129 Depth=2
	v_or_b32_sdwa v7, v2, s65 dst_sel:DWORD dst_unused:UNUSED_PAD src0_sel:BYTE_3 src1_sel:DWORD
                                        ; implicit-def: $vgpr2
; %bb.1314:                             ;   in Loop: Header=BB6_129 Depth=2
	s_andn2_saveexec_b64 s[78:79], s[78:79]
; %bb.1315:                             ;   in Loop: Header=BB6_129 Depth=2
	v_cmp_lt_i32_e32 vcc, -1, v2
	v_bfrev_b32_e32 v2, 0.5
	v_mov_b32_e32 v3, 0x7c
	v_cndmask_b32_e32 v7, v2, v3, vcc
; %bb.1316:                             ;   in Loop: Header=BB6_129 Depth=2
	s_or_b64 exec, exec, s[78:79]
.LBB6_1317:                             ;   in Loop: Header=BB6_129 Depth=2
	s_or_b64 exec, exec, s[20:21]
	v_lshrrev_b16_e32 v2, 8, v22
	v_cmp_ne_u16_e32 vcc, 0, v2
	v_mov_b32_e32 v4, 0
	v_mov_b32_e32 v26, 0
	s_and_saveexec_b64 s[20:21], vcc
	s_cbranch_execz .LBB6_1325
; %bb.1318:                             ;   in Loop: Header=BB6_129 Depth=2
	v_cmp_ne_u16_e32 vcc, s55, v2
	v_bfrev_b32_e32 v26, 1
	s_and_saveexec_b64 s[78:79], vcc
	s_cbranch_execz .LBB6_1324
; %bb.1319:                             ;   in Loop: Header=BB6_129 Depth=2
	v_and_b32_e32 v3, 0x7c, v2
	v_and_b32_e32 v27, 3, v2
	v_cmp_ne_u32_e32 vcc, s53, v3
                                        ; implicit-def: $vgpr26
	s_and_saveexec_b64 s[88:89], vcc
	s_xor_b64 s[88:89], exec, s[88:89]
	s_cbranch_execz .LBB6_1321
; %bb.1320:                             ;   in Loop: Header=BB6_129 Depth=2
	v_ffbh_u32_e32 v29, v27
	v_min_u32_e32 v29, 32, v29
	v_mov_b32_e32 v3, v28
	v_subrev_u32_e32 v30, 29, v29
	v_bfe_u32 v26, v2, 2, 5
	v_lshlrev_b64 v[2:3], v30, v[2:3]
	v_sub_u32_e32 v3, 30, v29
	v_cmp_eq_u32_e32 vcc, 0, v26
	v_cndmask_b32_e32 v3, v26, v3, vcc
	v_lshlrev_b32_e32 v26, 16, v22
	v_and_b32_e32 v2, 3, v2
	v_and_b32_e32 v26, 0x80000000, v26
	v_cndmask_b32_e32 v2, v27, v2, vcc
	v_lshl_add_u32 v3, v3, 23, v26
	v_lshl_or_b32 v2, v2, 21, v3
	v_add_u32_e32 v26, 0x38000000, v2
                                        ; implicit-def: $vgpr27
.LBB6_1321:                             ;   in Loop: Header=BB6_129 Depth=2
	s_andn2_saveexec_b64 s[88:89], s[88:89]
; %bb.1322:                             ;   in Loop: Header=BB6_129 Depth=2
	v_cmp_lt_i16_e32 vcc, -1, v22
	v_mov_b32_e32 v2, 0xff800000
	v_mov_b32_e32 v3, 0x7f800000
	v_cndmask_b32_e32 v2, v2, v3, vcc
	v_cmp_eq_u32_e32 vcc, 0, v27
	v_mov_b32_e32 v3, 0x7f800001
	v_cndmask_b32_e32 v26, v3, v2, vcc
; %bb.1323:                             ;   in Loop: Header=BB6_129 Depth=2
	s_or_b64 exec, exec, s[88:89]
.LBB6_1324:                             ;   in Loop: Header=BB6_129 Depth=2
	s_or_b64 exec, exec, s[78:79]
.LBB6_1325:                             ;   in Loop: Header=BB6_129 Depth=2
	s_or_b64 exec, exec, s[20:21]
	v_lshrrev_b16_e32 v2, 8, v18
	v_cmp_ne_u16_e32 vcc, 0, v2
	s_and_saveexec_b64 s[20:21], vcc
	s_cbranch_execz .LBB6_1333
; %bb.1326:                             ;   in Loop: Header=BB6_129 Depth=2
	v_cmp_ne_u16_e32 vcc, s55, v2
	v_bfrev_b32_e32 v4, 1
	s_and_saveexec_b64 s[78:79], vcc
	s_cbranch_execz .LBB6_1332
; %bb.1327:                             ;   in Loop: Header=BB6_129 Depth=2
	v_and_b32_e32 v3, 0x7c, v2
	v_and_b32_e32 v27, 3, v2
	v_cmp_ne_u32_e32 vcc, s53, v3
                                        ; implicit-def: $vgpr4
	s_and_saveexec_b64 s[88:89], vcc
	s_xor_b64 s[88:89], exec, s[88:89]
	s_cbranch_execz .LBB6_1329
; %bb.1328:                             ;   in Loop: Header=BB6_129 Depth=2
	v_ffbh_u32_e32 v29, v27
	v_min_u32_e32 v29, 32, v29
	v_mov_b32_e32 v3, v28
	v_subrev_u32_e32 v30, 29, v29
	v_bfe_u32 v4, v2, 2, 5
	v_lshlrev_b64 v[2:3], v30, v[2:3]
	v_sub_u32_e32 v3, 30, v29
	v_cmp_eq_u32_e32 vcc, 0, v4
	v_cndmask_b32_e32 v3, v4, v3, vcc
	v_lshlrev_b32_e32 v4, 16, v18
	v_and_b32_e32 v2, 3, v2
	v_and_b32_e32 v4, 0x80000000, v4
	v_cndmask_b32_e32 v2, v27, v2, vcc
	v_lshl_add_u32 v3, v3, 23, v4
	v_lshl_or_b32 v2, v2, 21, v3
	v_add_u32_e32 v4, 0x38000000, v2
                                        ; implicit-def: $vgpr27
.LBB6_1329:                             ;   in Loop: Header=BB6_129 Depth=2
	s_andn2_saveexec_b64 s[88:89], s[88:89]
; %bb.1330:                             ;   in Loop: Header=BB6_129 Depth=2
	v_cmp_lt_i16_e32 vcc, -1, v18
	v_mov_b32_e32 v2, 0xff800000
	v_mov_b32_e32 v3, 0x7f800000
	v_cndmask_b32_e32 v2, v2, v3, vcc
	v_cmp_eq_u32_e32 vcc, 0, v27
	v_mov_b32_e32 v3, 0x7f800001
	v_cndmask_b32_e32 v4, v3, v2, vcc
; %bb.1331:                             ;   in Loop: Header=BB6_129 Depth=2
	s_or_b64 exec, exec, s[88:89]
.LBB6_1332:                             ;   in Loop: Header=BB6_129 Depth=2
	s_or_b64 exec, exec, s[78:79]
.LBB6_1333:                             ;   in Loop: Header=BB6_129 Depth=2
	s_or_b64 exec, exec, s[20:21]
	v_mul_f32_e32 v2, v26, v4
	v_and_b32_e32 v3, 0x7f800000, v2
	v_mov_b32_e32 v4, v28
	v_cmp_ne_u64_e32 vcc, s[60:61], v[3:4]
	v_and_b32_e32 v27, 0x7fffff, v2
                                        ; implicit-def: $vgpr34
	s_and_saveexec_b64 s[20:21], vcc
	s_xor_b64 s[78:79], exec, s[20:21]
	s_cbranch_execz .LBB6_1347
; %bb.1334:                             ;   in Loop: Header=BB6_129 Depth=2
	v_and_b32_e32 v3, 0x7fffffff, v2
	v_mov_b32_e32 v4, v28
	v_cmp_gt_u64_e32 vcc, s[62:63], v[3:4]
	v_and_b32_sdwa v26, v2, s55 dst_sel:DWORD dst_unused:UNUSED_PAD src0_sel:BYTE_3 src1_sel:DWORD
                                        ; implicit-def: $vgpr34
	s_and_saveexec_b64 s[20:21], vcc
	s_xor_b64 s[88:89], exec, s[20:21]
	s_cbranch_execz .LBB6_1344
; %bb.1335:                             ;   in Loop: Header=BB6_129 Depth=2
	v_mov_b32_e32 v34, 0
	v_cmp_ne_u32_e32 vcc, 0, v2
	s_and_saveexec_b64 s[90:91], vcc
	s_cbranch_execz .LBB6_1343
; %bb.1336:                             ;   in Loop: Header=BB6_129 Depth=2
	v_bfe_u32 v29, v2, 23, 8
	v_cmp_gt_u32_e64 s[20:21], s64, v29
	v_sub_u32_e32 v2, 0x71, v29
	v_cmp_eq_u32_e32 vcc, 0, v29
	v_cndmask_b32_e64 v2, 0, v2, s[20:21]
	v_mov_b32_e32 v4, 0x70
	v_cndmask_b32_e32 v30, v2, v4, vcc
	v_add_u32_e32 v4, 21, v30
	v_or_b32_e32 v3, 0x800000, v27
	v_lshlrev_b64 v[34:35], v4, -1
	v_cndmask_b32_e32 v2, v3, v27, vcc
	v_mov_b32_e32 v3, v28
	v_add_u32_e32 v4, 20, v30
	v_bfi_b32 v34, v34, 0, v2
	v_lshlrev_b64 v[36:37], v4, 1
	v_lshrrev_b64 v[2:3], v30, v[2:3]
	v_bfi_b32 v35, v35, 0, 0
	v_cmp_eq_u64_e64 s[20:21], v[34:35], v[36:37]
	v_mov_b32_e32 v4, v3
	v_mov_b32_e32 v3, v2
	s_and_saveexec_b64 s[92:93], s[20:21]
; %bb.1337:                             ;   in Loop: Header=BB6_129 Depth=2
	v_bfe_u32 v3, v2, 21, 1
	v_add_co_u32_e64 v3, s[20:21], v2, v3
	v_add_co_u32_e64 v3, s[20:21], -1, v3
; %bb.1338:                             ;   in Loop: Header=BB6_129 Depth=2
	s_or_b64 exec, exec, s[92:93]
	v_add_u32_e32 v4, 0xffffff81, v29
	v_mov_b32_e32 v27, 0xffffff82
	v_cndmask_b32_e32 v4, v4, v27, vcc
	v_lshrrev_b32_e32 v27, 23, v2
	v_add3_u32 v30, v30, v4, v27
	v_add_u32_e32 v29, 14, v30
	v_and_b32_e32 v3, 0x1fffff, v3
	v_add_u32_e32 v27, v3, v2
	v_cmp_ne_u32_e32 vcc, 0, v29
                                        ; implicit-def: $vgpr2_vgpr3
                                        ; implicit-def: $vgpr4
	s_and_saveexec_b64 s[20:21], vcc
	s_xor_b64 s[20:21], exec, s[20:21]
; %bb.1339:                             ;   in Loop: Header=BB6_129 Depth=2
	v_cmp_lt_u64_e32 vcc, s[72:73], v[27:28]
	v_add_u32_e32 v2, 15, v30
	v_cndmask_b32_e32 v4, v29, v2, vcc
	v_cndmask_b32_e64 v2, 0, 1, vcc
	v_lshrrev_b64 v[2:3], v2, v[27:28]
; %bb.1340:                             ;   in Loop: Header=BB6_129 Depth=2
	s_andn2_saveexec_b64 s[20:21], s[20:21]
; %bb.1341:                             ;   in Loop: Header=BB6_129 Depth=2
	v_mov_b32_e32 v2, v27
	v_mov_b32_e32 v3, v28
	v_bfe_u32 v4, v27, 23, 1
; %bb.1342:                             ;   in Loop: Header=BB6_129 Depth=2
	s_or_b64 exec, exec, s[20:21]
	v_lshrrev_b64 v[2:3], 21, v[2:3]
	v_cmp_gt_i32_e32 vcc, 32, v4
	v_cndmask_b32_e32 v3, 0, v3, vcc
	v_cndmask_b32_e32 v2, 3, v2, vcc
	v_cmp_eq_u64_e64 s[20:21], 0, v[2:3]
	v_min_i32_e32 v3, 31, v4
	v_lshlrev_b32_e32 v3, 2, v3
	v_cmp_eq_u32_e32 vcc, 0, v4
	v_and_b32_e32 v3, 0xfc, v3
	v_and_or_b32 v2, v2, 3, v3
	s_and_b64 s[20:21], vcc, s[20:21]
	v_cndmask_b32_e64 v2, v2, 0, s[20:21]
	v_or_b32_e32 v34, v2, v26
.LBB6_1343:                             ;   in Loop: Header=BB6_129 Depth=2
	s_or_b64 exec, exec, s[90:91]
                                        ; implicit-def: $vgpr26
.LBB6_1344:                             ;   in Loop: Header=BB6_129 Depth=2
	s_andn2_saveexec_b64 s[20:21], s[88:89]
; %bb.1345:                             ;   in Loop: Header=BB6_129 Depth=2
	v_or_b32_e32 v34, 0x7b, v26
; %bb.1346:                             ;   in Loop: Header=BB6_129 Depth=2
	s_or_b64 exec, exec, s[20:21]
                                        ; implicit-def: $vgpr2
.LBB6_1347:                             ;   in Loop: Header=BB6_129 Depth=2
	s_andn2_saveexec_b64 s[20:21], s[78:79]
	s_cbranch_execz .LBB6_1353
; %bb.1348:                             ;   in Loop: Header=BB6_129 Depth=2
	v_cmp_ne_u64_e32 vcc, 0, v[27:28]
                                        ; implicit-def: $vgpr34
	s_and_saveexec_b64 s[78:79], vcc
	s_xor_b64 s[78:79], exec, s[78:79]
; %bb.1349:                             ;   in Loop: Header=BB6_129 Depth=2
	v_or_b32_sdwa v34, v2, s65 dst_sel:DWORD dst_unused:UNUSED_PAD src0_sel:BYTE_3 src1_sel:DWORD
                                        ; implicit-def: $vgpr2
; %bb.1350:                             ;   in Loop: Header=BB6_129 Depth=2
	s_andn2_saveexec_b64 s[78:79], s[78:79]
; %bb.1351:                             ;   in Loop: Header=BB6_129 Depth=2
	v_cmp_lt_i32_e32 vcc, -1, v2
	v_bfrev_b32_e32 v2, 0.5
	v_mov_b32_e32 v3, 0x7c
	v_cndmask_b32_e32 v34, v2, v3, vcc
; %bb.1352:                             ;   in Loop: Header=BB6_129 Depth=2
	s_or_b64 exec, exec, s[78:79]
.LBB6_1353:                             ;   in Loop: Header=BB6_129 Depth=2
	s_or_b64 exec, exec, s[20:21]
	v_lshrrev_b32_e32 v2, 16, v22
	v_cmp_ne_u16_sdwa s[78:79], v2, v28 src0_sel:BYTE_0 src1_sel:DWORD
	v_mov_b32_e32 v3, 0
	v_mov_b32_e32 v4, 0
	s_and_saveexec_b64 s[20:21], s[78:79]
	s_cbranch_execz .LBB6_1361
; %bb.1354:                             ;   in Loop: Header=BB6_129 Depth=2
	v_cmp_ne_u16_sdwa s[88:89], v2, s55 src0_sel:BYTE_0 src1_sel:DWORD
	v_bfrev_b32_e32 v4, 1
	s_and_saveexec_b64 s[78:79], s[88:89]
	s_cbranch_execz .LBB6_1360
; %bb.1355:                             ;   in Loop: Header=BB6_129 Depth=2
	v_and_b32_e32 v4, 0x7c0000, v22
	v_bfe_u32 v26, v22, 16, 2
	v_cmp_ne_u32_e32 vcc, s66, v4
                                        ; implicit-def: $vgpr4
	s_and_saveexec_b64 s[88:89], vcc
	s_xor_b64 s[88:89], exec, s[88:89]
	s_cbranch_execz .LBB6_1357
; %bb.1356:                             ;   in Loop: Header=BB6_129 Depth=2
	v_ffbh_u32_e32 v27, v26
	v_min_u32_e32 v27, 32, v27
	v_subrev_u32_e32 v29, 29, v27
	v_lshlrev_b64 v[29:30], v29, v[2:3]
	v_bfe_u32 v4, v22, 18, 5
	v_sub_u32_e32 v2, 30, v27
	v_and_b32_e32 v27, 3, v29
	v_cmp_eq_u32_e32 vcc, 0, v4
	v_cndmask_b32_e32 v2, v4, v2, vcc
	v_cndmask_b32_e32 v4, v26, v27, vcc
	v_lshlrev_b32_e32 v26, 8, v22
	v_and_b32_e32 v26, 0x80000000, v26
	v_lshl_add_u32 v2, v2, 23, v26
	v_lshl_or_b32 v2, v4, 21, v2
	v_add_u32_e32 v4, 0x38000000, v2
                                        ; implicit-def: $vgpr26
                                        ; implicit-def: $vgpr2
.LBB6_1357:                             ;   in Loop: Header=BB6_129 Depth=2
	s_andn2_saveexec_b64 s[88:89], s[88:89]
; %bb.1358:                             ;   in Loop: Header=BB6_129 Depth=2
	v_mov_b32_e32 v4, -1
	v_cmp_gt_i16_sdwa vcc, sext(v2), v4 src0_sel:BYTE_0 src1_sel:DWORD
	v_mov_b32_e32 v2, 0xff800000
	v_mov_b32_e32 v4, 0x7f800000
	v_cndmask_b32_e32 v2, v2, v4, vcc
	v_cmp_eq_u32_e32 vcc, 0, v26
	v_mov_b32_e32 v4, 0x7f800001
	v_cndmask_b32_e32 v4, v4, v2, vcc
; %bb.1359:                             ;   in Loop: Header=BB6_129 Depth=2
	s_or_b64 exec, exec, s[88:89]
.LBB6_1360:                             ;   in Loop: Header=BB6_129 Depth=2
	s_or_b64 exec, exec, s[78:79]
.LBB6_1361:                             ;   in Loop: Header=BB6_129 Depth=2
	s_or_b64 exec, exec, s[20:21]
	v_lshrrev_b32_e32 v2, 16, v18
	v_cmp_ne_u16_sdwa s[78:79], v2, v28 src0_sel:BYTE_0 src1_sel:DWORD
	s_and_saveexec_b64 s[20:21], s[78:79]
	s_cbranch_execz .LBB6_1369
; %bb.1362:                             ;   in Loop: Header=BB6_129 Depth=2
	v_cmp_ne_u16_sdwa s[88:89], v2, s55 src0_sel:BYTE_0 src1_sel:DWORD
	v_bfrev_b32_e32 v3, 1
	s_and_saveexec_b64 s[78:79], s[88:89]
	s_cbranch_execz .LBB6_1368
; %bb.1363:                             ;   in Loop: Header=BB6_129 Depth=2
	v_and_b32_e32 v3, 0x7c0000, v18
	v_bfe_u32 v26, v18, 16, 2
	v_cmp_ne_u32_e32 vcc, s66, v3
                                        ; implicit-def: $vgpr3
	s_and_saveexec_b64 s[88:89], vcc
	s_xor_b64 s[88:89], exec, s[88:89]
	s_cbranch_execz .LBB6_1365
; %bb.1364:                             ;   in Loop: Header=BB6_129 Depth=2
	v_ffbh_u32_e32 v3, v26
	v_min_u32_e32 v29, 32, v3
	v_subrev_u32_e32 v3, 29, v29
	v_lshlrev_b64 v[2:3], v3, v[2:3]
	v_bfe_u32 v27, v18, 18, 5
	v_and_b32_e32 v2, 3, v2
	v_cmp_eq_u32_e32 vcc, 0, v27
	v_sub_u32_e32 v3, 30, v29
	v_cndmask_b32_e32 v2, v26, v2, vcc
	v_lshlrev_b32_e32 v26, 8, v18
	v_cndmask_b32_e32 v3, v27, v3, vcc
	v_and_b32_e32 v26, 0x80000000, v26
	v_lshl_add_u32 v3, v3, 23, v26
	v_lshl_or_b32 v2, v2, 21, v3
	v_add_u32_e32 v3, 0x38000000, v2
                                        ; implicit-def: $vgpr26
                                        ; implicit-def: $vgpr2
.LBB6_1365:                             ;   in Loop: Header=BB6_129 Depth=2
	s_andn2_saveexec_b64 s[88:89], s[88:89]
; %bb.1366:                             ;   in Loop: Header=BB6_129 Depth=2
	v_mov_b32_e32 v3, -1
	v_cmp_gt_i16_sdwa vcc, sext(v2), v3 src0_sel:BYTE_0 src1_sel:DWORD
	v_mov_b32_e32 v2, 0xff800000
	v_mov_b32_e32 v3, 0x7f800000
	v_cndmask_b32_e32 v2, v2, v3, vcc
	v_cmp_eq_u32_e32 vcc, 0, v26
	v_mov_b32_e32 v3, 0x7f800001
	v_cndmask_b32_e32 v3, v3, v2, vcc
; %bb.1367:                             ;   in Loop: Header=BB6_129 Depth=2
	s_or_b64 exec, exec, s[88:89]
.LBB6_1368:                             ;   in Loop: Header=BB6_129 Depth=2
	s_or_b64 exec, exec, s[78:79]
.LBB6_1369:                             ;   in Loop: Header=BB6_129 Depth=2
	s_or_b64 exec, exec, s[20:21]
	v_mul_f32_e32 v2, v4, v3
	v_and_b32_e32 v3, 0x7f800000, v2
	v_mov_b32_e32 v4, v28
	v_cmp_ne_u64_e32 vcc, s[60:61], v[3:4]
	v_and_b32_e32 v27, 0x7fffff, v2
                                        ; implicit-def: $vgpr35
	s_and_saveexec_b64 s[20:21], vcc
	s_xor_b64 s[78:79], exec, s[20:21]
	s_cbranch_execz .LBB6_1383
; %bb.1370:                             ;   in Loop: Header=BB6_129 Depth=2
	v_and_b32_e32 v3, 0x7fffffff, v2
	v_mov_b32_e32 v4, v28
	v_cmp_gt_u64_e32 vcc, s[62:63], v[3:4]
	v_and_b32_sdwa v26, v2, s55 dst_sel:DWORD dst_unused:UNUSED_PAD src0_sel:BYTE_3 src1_sel:DWORD
                                        ; implicit-def: $vgpr35
	s_and_saveexec_b64 s[20:21], vcc
	s_xor_b64 s[88:89], exec, s[20:21]
	s_cbranch_execz .LBB6_1380
; %bb.1371:                             ;   in Loop: Header=BB6_129 Depth=2
	v_mov_b32_e32 v35, 0
	v_cmp_ne_u32_e32 vcc, 0, v2
	s_and_saveexec_b64 s[90:91], vcc
	s_cbranch_execz .LBB6_1379
; %bb.1372:                             ;   in Loop: Header=BB6_129 Depth=2
	v_bfe_u32 v29, v2, 23, 8
	v_cmp_gt_u32_e64 s[20:21], s64, v29
	v_sub_u32_e32 v2, 0x71, v29
	v_cmp_eq_u32_e32 vcc, 0, v29
	v_cndmask_b32_e64 v2, 0, v2, s[20:21]
	v_mov_b32_e32 v4, 0x70
	v_cndmask_b32_e32 v30, v2, v4, vcc
	v_add_u32_e32 v4, 21, v30
	v_or_b32_e32 v3, 0x800000, v27
	v_lshlrev_b64 v[35:36], v4, -1
	v_cndmask_b32_e32 v2, v3, v27, vcc
	v_mov_b32_e32 v3, v28
	v_add_u32_e32 v4, 20, v30
	v_bfi_b32 v35, v35, 0, v2
	v_lshlrev_b64 v[37:38], v4, 1
	v_lshrrev_b64 v[2:3], v30, v[2:3]
	v_bfi_b32 v36, v36, 0, 0
	v_cmp_eq_u64_e64 s[20:21], v[35:36], v[37:38]
	v_mov_b32_e32 v4, v3
	v_mov_b32_e32 v3, v2
	s_and_saveexec_b64 s[92:93], s[20:21]
; %bb.1373:                             ;   in Loop: Header=BB6_129 Depth=2
	v_bfe_u32 v3, v2, 21, 1
	v_add_co_u32_e64 v3, s[20:21], v2, v3
	v_add_co_u32_e64 v3, s[20:21], -1, v3
; %bb.1374:                             ;   in Loop: Header=BB6_129 Depth=2
	s_or_b64 exec, exec, s[92:93]
	v_add_u32_e32 v4, 0xffffff81, v29
	v_mov_b32_e32 v27, 0xffffff82
	v_cndmask_b32_e32 v4, v4, v27, vcc
	v_lshrrev_b32_e32 v27, 23, v2
	v_add3_u32 v30, v30, v4, v27
	v_add_u32_e32 v29, 14, v30
	v_and_b32_e32 v3, 0x1fffff, v3
	v_add_u32_e32 v27, v3, v2
	v_cmp_ne_u32_e32 vcc, 0, v29
                                        ; implicit-def: $vgpr2_vgpr3
                                        ; implicit-def: $vgpr4
	s_and_saveexec_b64 s[20:21], vcc
	s_xor_b64 s[20:21], exec, s[20:21]
; %bb.1375:                             ;   in Loop: Header=BB6_129 Depth=2
	v_cmp_lt_u64_e32 vcc, s[72:73], v[27:28]
	v_add_u32_e32 v2, 15, v30
	v_cndmask_b32_e32 v4, v29, v2, vcc
	v_cndmask_b32_e64 v2, 0, 1, vcc
	v_lshrrev_b64 v[2:3], v2, v[27:28]
; %bb.1376:                             ;   in Loop: Header=BB6_129 Depth=2
	s_andn2_saveexec_b64 s[20:21], s[20:21]
; %bb.1377:                             ;   in Loop: Header=BB6_129 Depth=2
	v_mov_b32_e32 v2, v27
	v_mov_b32_e32 v3, v28
	v_bfe_u32 v4, v27, 23, 1
; %bb.1378:                             ;   in Loop: Header=BB6_129 Depth=2
	s_or_b64 exec, exec, s[20:21]
	v_lshrrev_b64 v[2:3], 21, v[2:3]
	v_cmp_gt_i32_e32 vcc, 32, v4
	v_cndmask_b32_e32 v3, 0, v3, vcc
	v_cndmask_b32_e32 v2, 3, v2, vcc
	v_cmp_eq_u64_e64 s[20:21], 0, v[2:3]
	v_min_i32_e32 v3, 31, v4
	v_lshlrev_b32_e32 v3, 2, v3
	v_cmp_eq_u32_e32 vcc, 0, v4
	v_and_b32_e32 v3, 0xfc, v3
	v_and_or_b32 v2, v2, 3, v3
	s_and_b64 s[20:21], vcc, s[20:21]
	v_cndmask_b32_e64 v2, v2, 0, s[20:21]
	v_or_b32_e32 v35, v2, v26
.LBB6_1379:                             ;   in Loop: Header=BB6_129 Depth=2
	s_or_b64 exec, exec, s[90:91]
                                        ; implicit-def: $vgpr26
.LBB6_1380:                             ;   in Loop: Header=BB6_129 Depth=2
	s_andn2_saveexec_b64 s[20:21], s[88:89]
; %bb.1381:                             ;   in Loop: Header=BB6_129 Depth=2
	v_or_b32_e32 v35, 0x7b, v26
; %bb.1382:                             ;   in Loop: Header=BB6_129 Depth=2
	s_or_b64 exec, exec, s[20:21]
                                        ; implicit-def: $vgpr2
.LBB6_1383:                             ;   in Loop: Header=BB6_129 Depth=2
	s_andn2_saveexec_b64 s[20:21], s[78:79]
	s_cbranch_execz .LBB6_1389
; %bb.1384:                             ;   in Loop: Header=BB6_129 Depth=2
	v_cmp_ne_u64_e32 vcc, 0, v[27:28]
                                        ; implicit-def: $vgpr35
	s_and_saveexec_b64 s[78:79], vcc
	s_xor_b64 s[78:79], exec, s[78:79]
; %bb.1385:                             ;   in Loop: Header=BB6_129 Depth=2
	v_or_b32_sdwa v35, v2, s65 dst_sel:DWORD dst_unused:UNUSED_PAD src0_sel:BYTE_3 src1_sel:DWORD
                                        ; implicit-def: $vgpr2
; %bb.1386:                             ;   in Loop: Header=BB6_129 Depth=2
	s_andn2_saveexec_b64 s[78:79], s[78:79]
; %bb.1387:                             ;   in Loop: Header=BB6_129 Depth=2
	v_cmp_lt_i32_e32 vcc, -1, v2
	v_bfrev_b32_e32 v2, 0.5
	v_mov_b32_e32 v3, 0x7c
	v_cndmask_b32_e32 v35, v2, v3, vcc
; %bb.1388:                             ;   in Loop: Header=BB6_129 Depth=2
	s_or_b64 exec, exec, s[78:79]
.LBB6_1389:                             ;   in Loop: Header=BB6_129 Depth=2
	s_or_b64 exec, exec, s[20:21]
	v_cmp_lt_u32_e32 vcc, s59, v22
	v_mov_b32_e32 v3, 0
	v_mov_b32_e32 v4, 0
	s_and_saveexec_b64 s[20:21], vcc
	s_cbranch_execz .LBB6_1397
; %bb.1390:                             ;   in Loop: Header=BB6_129 Depth=2
	v_lshrrev_b32_e32 v2, 24, v22
	v_cmp_ne_u32_e32 vcc, s55, v2
	v_bfrev_b32_e32 v4, 1
	s_and_saveexec_b64 s[78:79], vcc
	s_cbranch_execz .LBB6_1396
; %bb.1391:                             ;   in Loop: Header=BB6_129 Depth=2
	v_and_b32_e32 v4, 0x7c000000, v22
	v_bfe_u32 v26, v22, 24, 2
	v_cmp_ne_u32_e32 vcc, s67, v4
                                        ; implicit-def: $vgpr4
	s_and_saveexec_b64 s[88:89], vcc
	s_xor_b64 s[88:89], exec, s[88:89]
	s_cbranch_execz .LBB6_1393
; %bb.1392:                             ;   in Loop: Header=BB6_129 Depth=2
	v_ffbh_u32_e32 v27, v26
	v_min_u32_e32 v27, 32, v27
	v_subrev_u32_e32 v29, 29, v27
	v_lshlrev_b64 v[29:30], v29, v[2:3]
	v_bfe_u32 v4, v22, 26, 5
	v_sub_u32_e32 v2, 30, v27
	v_and_b32_e32 v27, 3, v29
	v_cmp_eq_u32_e32 vcc, 0, v4
	v_cndmask_b32_e32 v2, v4, v2, vcc
	v_cndmask_b32_e32 v4, v26, v27, vcc
	v_and_b32_e32 v26, 0x80000000, v22
	v_lshl_add_u32 v2, v2, 23, v26
	v_lshl_or_b32 v2, v4, 21, v2
	v_add_u32_e32 v4, 0x38000000, v2
                                        ; implicit-def: $vgpr26
.LBB6_1393:                             ;   in Loop: Header=BB6_129 Depth=2
	s_andn2_saveexec_b64 s[88:89], s[88:89]
; %bb.1394:                             ;   in Loop: Header=BB6_129 Depth=2
	v_cmp_lt_i32_e32 vcc, -1, v22
	v_mov_b32_e32 v2, 0xff800000
	v_mov_b32_e32 v4, 0x7f800000
	v_cndmask_b32_e32 v2, v2, v4, vcc
	v_cmp_eq_u32_e32 vcc, 0, v26
	v_mov_b32_e32 v4, 0x7f800001
	v_cndmask_b32_e32 v4, v4, v2, vcc
; %bb.1395:                             ;   in Loop: Header=BB6_129 Depth=2
	s_or_b64 exec, exec, s[88:89]
.LBB6_1396:                             ;   in Loop: Header=BB6_129 Depth=2
	s_or_b64 exec, exec, s[78:79]
.LBB6_1397:                             ;   in Loop: Header=BB6_129 Depth=2
	s_or_b64 exec, exec, s[20:21]
	v_cmp_lt_u32_e32 vcc, s59, v18
	s_and_saveexec_b64 s[20:21], vcc
	s_cbranch_execz .LBB6_1405
; %bb.1398:                             ;   in Loop: Header=BB6_129 Depth=2
	v_lshrrev_b32_e32 v2, 24, v18
	v_cmp_ne_u32_e32 vcc, s55, v2
	v_bfrev_b32_e32 v3, 1
	s_and_saveexec_b64 s[78:79], vcc
	s_cbranch_execz .LBB6_1404
; %bb.1399:                             ;   in Loop: Header=BB6_129 Depth=2
	v_and_b32_e32 v3, 0x7c000000, v18
	v_bfe_u32 v26, v18, 24, 2
	v_cmp_ne_u32_e32 vcc, s67, v3
                                        ; implicit-def: $vgpr3
	s_and_saveexec_b64 s[88:89], vcc
	s_xor_b64 s[88:89], exec, s[88:89]
	s_cbranch_execz .LBB6_1401
; %bb.1400:                             ;   in Loop: Header=BB6_129 Depth=2
	v_ffbh_u32_e32 v3, v26
	v_min_u32_e32 v29, 32, v3
	v_subrev_u32_e32 v3, 29, v29
	v_lshlrev_b64 v[2:3], v3, v[2:3]
	v_bfe_u32 v27, v18, 26, 5
	v_sub_u32_e32 v3, 30, v29
	v_and_b32_e32 v2, 3, v2
	v_cmp_eq_u32_e32 vcc, 0, v27
	v_cndmask_b32_e32 v3, v27, v3, vcc
	v_cndmask_b32_e32 v2, v26, v2, vcc
	v_and_b32_e32 v26, 0x80000000, v18
	v_lshl_add_u32 v3, v3, 23, v26
	v_lshl_or_b32 v2, v2, 21, v3
	v_add_u32_e32 v3, 0x38000000, v2
                                        ; implicit-def: $vgpr26
.LBB6_1401:                             ;   in Loop: Header=BB6_129 Depth=2
	s_andn2_saveexec_b64 s[88:89], s[88:89]
; %bb.1402:                             ;   in Loop: Header=BB6_129 Depth=2
	v_cmp_lt_i32_e32 vcc, -1, v18
	v_mov_b32_e32 v2, 0xff800000
	v_mov_b32_e32 v3, 0x7f800000
	v_cndmask_b32_e32 v2, v2, v3, vcc
	v_cmp_eq_u32_e32 vcc, 0, v26
	v_mov_b32_e32 v3, 0x7f800001
	v_cndmask_b32_e32 v3, v3, v2, vcc
; %bb.1403:                             ;   in Loop: Header=BB6_129 Depth=2
	s_or_b64 exec, exec, s[88:89]
.LBB6_1404:                             ;   in Loop: Header=BB6_129 Depth=2
	s_or_b64 exec, exec, s[78:79]
.LBB6_1405:                             ;   in Loop: Header=BB6_129 Depth=2
	s_or_b64 exec, exec, s[20:21]
	v_mul_f32_e32 v2, v4, v3
	v_and_b32_e32 v3, 0x7f800000, v2
	v_mov_b32_e32 v4, v28
	v_cmp_ne_u64_e32 vcc, s[60:61], v[3:4]
	v_and_b32_e32 v27, 0x7fffff, v2
                                        ; implicit-def: $vgpr26
	s_and_saveexec_b64 s[20:21], vcc
	s_xor_b64 s[78:79], exec, s[20:21]
	s_cbranch_execz .LBB6_1419
; %bb.1406:                             ;   in Loop: Header=BB6_129 Depth=2
	v_and_b32_e32 v3, 0x7fffffff, v2
	v_mov_b32_e32 v4, v28
	v_cmp_gt_u64_e32 vcc, s[62:63], v[3:4]
	v_and_b32_sdwa v29, v2, s55 dst_sel:DWORD dst_unused:UNUSED_PAD src0_sel:BYTE_3 src1_sel:DWORD
                                        ; implicit-def: $vgpr26
	s_and_saveexec_b64 s[20:21], vcc
	s_xor_b64 s[88:89], exec, s[20:21]
	s_cbranch_execz .LBB6_1416
; %bb.1407:                             ;   in Loop: Header=BB6_129 Depth=2
	v_mov_b32_e32 v26, 0
	v_cmp_ne_u32_e32 vcc, 0, v2
	s_and_saveexec_b64 s[90:91], vcc
	s_cbranch_execz .LBB6_1415
; %bb.1408:                             ;   in Loop: Header=BB6_129 Depth=2
	v_bfe_u32 v26, v2, 23, 8
	v_cmp_gt_u32_e64 s[20:21], s64, v26
	v_sub_u32_e32 v2, 0x71, v26
	v_cmp_eq_u32_e32 vcc, 0, v26
	v_cndmask_b32_e64 v2, 0, v2, s[20:21]
	v_mov_b32_e32 v4, 0x70
	v_cndmask_b32_e32 v30, v2, v4, vcc
	v_add_u32_e32 v4, 21, v30
	v_or_b32_e32 v3, 0x800000, v27
	v_lshlrev_b64 v[36:37], v4, -1
	v_cndmask_b32_e32 v2, v3, v27, vcc
	v_mov_b32_e32 v3, v28
	v_add_u32_e32 v4, 20, v30
	v_bfi_b32 v36, v36, 0, v2
	v_lshlrev_b64 v[38:39], v4, 1
	v_lshrrev_b64 v[2:3], v30, v[2:3]
	v_bfi_b32 v37, v37, 0, 0
	v_cmp_eq_u64_e64 s[20:21], v[36:37], v[38:39]
	v_mov_b32_e32 v4, v3
	v_mov_b32_e32 v3, v2
	s_and_saveexec_b64 s[92:93], s[20:21]
; %bb.1409:                             ;   in Loop: Header=BB6_129 Depth=2
	v_bfe_u32 v3, v2, 21, 1
	v_add_co_u32_e64 v3, s[20:21], v2, v3
	v_add_co_u32_e64 v3, s[20:21], -1, v3
; %bb.1410:                             ;   in Loop: Header=BB6_129 Depth=2
	s_or_b64 exec, exec, s[92:93]
	v_add_u32_e32 v4, 0xffffff81, v26
	v_mov_b32_e32 v26, 0xffffff82
	v_cndmask_b32_e32 v4, v4, v26, vcc
	v_lshrrev_b32_e32 v26, 23, v2
	v_add3_u32 v30, v30, v4, v26
	v_add_u32_e32 v26, 14, v30
	v_and_b32_e32 v3, 0x1fffff, v3
	v_add_u32_e32 v27, v3, v2
	v_cmp_ne_u32_e32 vcc, 0, v26
                                        ; implicit-def: $vgpr2_vgpr3
                                        ; implicit-def: $vgpr4
	s_and_saveexec_b64 s[20:21], vcc
	s_xor_b64 s[20:21], exec, s[20:21]
; %bb.1411:                             ;   in Loop: Header=BB6_129 Depth=2
	v_cmp_lt_u64_e32 vcc, s[72:73], v[27:28]
	v_add_u32_e32 v2, 15, v30
	v_cndmask_b32_e32 v4, v26, v2, vcc
	v_cndmask_b32_e64 v2, 0, 1, vcc
	v_lshrrev_b64 v[2:3], v2, v[27:28]
; %bb.1412:                             ;   in Loop: Header=BB6_129 Depth=2
	s_andn2_saveexec_b64 s[20:21], s[20:21]
; %bb.1413:                             ;   in Loop: Header=BB6_129 Depth=2
	v_mov_b32_e32 v2, v27
	v_mov_b32_e32 v3, v28
	v_bfe_u32 v4, v27, 23, 1
; %bb.1414:                             ;   in Loop: Header=BB6_129 Depth=2
	s_or_b64 exec, exec, s[20:21]
	v_lshrrev_b64 v[2:3], 21, v[2:3]
	v_cmp_gt_i32_e32 vcc, 32, v4
	v_cndmask_b32_e32 v3, 0, v3, vcc
	v_cndmask_b32_e32 v2, 3, v2, vcc
	v_cmp_eq_u64_e64 s[20:21], 0, v[2:3]
	v_min_i32_e32 v3, 31, v4
	v_lshlrev_b32_e32 v3, 2, v3
	v_cmp_eq_u32_e32 vcc, 0, v4
	v_and_b32_e32 v3, 0xfc, v3
	v_and_or_b32 v2, v2, 3, v3
	s_and_b64 s[20:21], vcc, s[20:21]
	v_cndmask_b32_e64 v2, v2, 0, s[20:21]
	v_or_b32_e32 v26, v2, v29
.LBB6_1415:                             ;   in Loop: Header=BB6_129 Depth=2
	s_or_b64 exec, exec, s[90:91]
                                        ; implicit-def: $vgpr29
.LBB6_1416:                             ;   in Loop: Header=BB6_129 Depth=2
	s_andn2_saveexec_b64 s[20:21], s[88:89]
; %bb.1417:                             ;   in Loop: Header=BB6_129 Depth=2
	v_or_b32_e32 v26, 0x7b, v29
; %bb.1418:                             ;   in Loop: Header=BB6_129 Depth=2
	s_or_b64 exec, exec, s[20:21]
                                        ; implicit-def: $vgpr2
.LBB6_1419:                             ;   in Loop: Header=BB6_129 Depth=2
	s_andn2_saveexec_b64 s[20:21], s[78:79]
	s_cbranch_execz .LBB6_1425
; %bb.1420:                             ;   in Loop: Header=BB6_129 Depth=2
	v_cmp_ne_u64_e32 vcc, 0, v[27:28]
                                        ; implicit-def: $vgpr26
	s_and_saveexec_b64 s[78:79], vcc
	s_xor_b64 s[78:79], exec, s[78:79]
; %bb.1421:                             ;   in Loop: Header=BB6_129 Depth=2
	v_or_b32_sdwa v26, v2, s65 dst_sel:DWORD dst_unused:UNUSED_PAD src0_sel:BYTE_3 src1_sel:DWORD
                                        ; implicit-def: $vgpr2
; %bb.1422:                             ;   in Loop: Header=BB6_129 Depth=2
	s_andn2_saveexec_b64 s[78:79], s[78:79]
; %bb.1423:                             ;   in Loop: Header=BB6_129 Depth=2
	v_cmp_lt_i32_e32 vcc, -1, v2
	v_bfrev_b32_e32 v2, 0.5
	v_mov_b32_e32 v3, 0x7c
	v_cndmask_b32_e32 v26, v2, v3, vcc
; %bb.1424:                             ;   in Loop: Header=BB6_129 Depth=2
	s_or_b64 exec, exec, s[78:79]
.LBB6_1425:                             ;   in Loop: Header=BB6_129 Depth=2
	s_or_b64 exec, exec, s[20:21]
	v_mov_b32_e32 v27, v23
	v_cmp_ne_u16_sdwa s[78:79], v23, v28 src0_sel:BYTE_0 src1_sel:DWORD
	v_mov_b32_e32 v3, 0
	v_mov_b32_e32 v2, 0
	s_and_saveexec_b64 s[20:21], s[78:79]
	s_cbranch_execz .LBB6_1433
; %bb.1426:                             ;   in Loop: Header=BB6_129 Depth=2
	v_cmp_ne_u16_sdwa s[88:89], v23, s55 src0_sel:BYTE_0 src1_sel:DWORD
	v_bfrev_b32_e32 v2, 1
	s_and_saveexec_b64 s[78:79], s[88:89]
	s_cbranch_execz .LBB6_1432
; %bb.1427:                             ;   in Loop: Header=BB6_129 Depth=2
	v_and_b32_e32 v2, 0x7c, v23
	v_and_b32_e32 v4, 3, v23
	v_cmp_ne_u32_e32 vcc, s53, v2
                                        ; implicit-def: $vgpr2
	s_and_saveexec_b64 s[88:89], vcc
	s_xor_b64 s[88:89], exec, s[88:89]
	s_cbranch_execz .LBB6_1429
; %bb.1428:                             ;   in Loop: Header=BB6_129 Depth=2
	v_ffbh_u32_e32 v29, v4
	v_min_u32_e32 v31, 32, v29
	v_subrev_u32_e32 v29, 29, v31
	v_lshlrev_b64 v[29:30], v29, v[27:28]
	v_bfe_u32 v2, v23, 2, 5
	v_and_b32_e32 v29, 3, v29
	v_cmp_eq_u32_e32 vcc, 0, v2
	v_sub_u32_e32 v30, 30, v31
	v_cndmask_b32_e32 v4, v4, v29, vcc
	v_lshlrev_b32_e32 v29, 24, v23
	v_cndmask_b32_e32 v2, v2, v30, vcc
	v_and_b32_e32 v29, 0x80000000, v29
	v_lshl_add_u32 v2, v2, 23, v29
	v_lshl_or_b32 v2, v4, 21, v2
	v_add_u32_e32 v2, 0x38000000, v2
                                        ; implicit-def: $vgpr4
.LBB6_1429:                             ;   in Loop: Header=BB6_129 Depth=2
	s_andn2_saveexec_b64 s[88:89], s[88:89]
; %bb.1430:                             ;   in Loop: Header=BB6_129 Depth=2
	v_mov_b32_e32 v2, -1
	v_cmp_gt_i16_sdwa vcc, sext(v23), v2 src0_sel:BYTE_0 src1_sel:DWORD
	v_mov_b32_e32 v2, 0xff800000
	v_mov_b32_e32 v29, 0x7f800000
	v_cndmask_b32_e32 v2, v2, v29, vcc
	v_cmp_eq_u32_e32 vcc, 0, v4
	v_mov_b32_e32 v4, 0x7f800001
	v_cndmask_b32_e32 v2, v4, v2, vcc
; %bb.1431:                             ;   in Loop: Header=BB6_129 Depth=2
	s_or_b64 exec, exec, s[88:89]
.LBB6_1432:                             ;   in Loop: Header=BB6_129 Depth=2
	s_or_b64 exec, exec, s[78:79]
.LBB6_1433:                             ;   in Loop: Header=BB6_129 Depth=2
	s_or_b64 exec, exec, s[20:21]
	v_cmp_ne_u16_sdwa s[78:79], v19, v28 src0_sel:BYTE_0 src1_sel:DWORD
	s_and_saveexec_b64 s[20:21], s[78:79]
	s_cbranch_execz .LBB6_1441
; %bb.1434:                             ;   in Loop: Header=BB6_129 Depth=2
	v_cmp_ne_u16_sdwa s[88:89], v19, s55 src0_sel:BYTE_0 src1_sel:DWORD
	v_bfrev_b32_e32 v3, 1
	s_and_saveexec_b64 s[78:79], s[88:89]
	s_cbranch_execz .LBB6_1440
; %bb.1435:                             ;   in Loop: Header=BB6_129 Depth=2
	v_and_b32_e32 v3, 0x7c, v19
	v_and_b32_e32 v4, 3, v19
	v_cmp_ne_u32_e32 vcc, s53, v3
                                        ; implicit-def: $vgpr3
	s_and_saveexec_b64 s[88:89], vcc
	s_xor_b64 s[88:89], exec, s[88:89]
	s_cbranch_execz .LBB6_1437
; %bb.1436:                             ;   in Loop: Header=BB6_129 Depth=2
	v_ffbh_u32_e32 v31, v4
	v_min_u32_e32 v31, 32, v31
	v_mov_b32_e32 v29, v19
	v_mov_b32_e32 v30, v28
	v_subrev_u32_e32 v32, 29, v31
	v_lshlrev_b64 v[29:30], v32, v[29:30]
	v_bfe_u32 v3, v19, 2, 5
	v_and_b32_e32 v29, 3, v29
	v_cmp_eq_u32_e32 vcc, 0, v3
	v_sub_u32_e32 v30, 30, v31
	v_cndmask_b32_e32 v4, v4, v29, vcc
	v_lshlrev_b32_e32 v29, 24, v19
	v_cndmask_b32_e32 v3, v3, v30, vcc
	v_and_b32_e32 v29, 0x80000000, v29
	v_lshl_add_u32 v3, v3, 23, v29
	v_lshl_or_b32 v3, v4, 21, v3
	v_add_u32_e32 v3, 0x38000000, v3
                                        ; implicit-def: $vgpr4
.LBB6_1437:                             ;   in Loop: Header=BB6_129 Depth=2
	s_andn2_saveexec_b64 s[88:89], s[88:89]
; %bb.1438:                             ;   in Loop: Header=BB6_129 Depth=2
	v_mov_b32_e32 v3, -1
	v_cmp_gt_i16_sdwa vcc, sext(v19), v3 src0_sel:BYTE_0 src1_sel:DWORD
	v_mov_b32_e32 v3, 0xff800000
	v_mov_b32_e32 v29, 0x7f800000
	v_cndmask_b32_e32 v3, v3, v29, vcc
	v_cmp_eq_u32_e32 vcc, 0, v4
	v_mov_b32_e32 v4, 0x7f800001
	v_cndmask_b32_e32 v3, v4, v3, vcc
; %bb.1439:                             ;   in Loop: Header=BB6_129 Depth=2
	s_or_b64 exec, exec, s[88:89]
.LBB6_1440:                             ;   in Loop: Header=BB6_129 Depth=2
	s_or_b64 exec, exec, s[78:79]
.LBB6_1441:                             ;   in Loop: Header=BB6_129 Depth=2
	s_or_b64 exec, exec, s[20:21]
	v_mul_f32_e32 v4, v2, v3
	v_and_b32_e32 v29, 0x7f800000, v4
	v_mov_b32_e32 v30, v28
	v_cmp_ne_u64_e32 vcc, s[60:61], v[29:30]
	v_and_b32_e32 v2, 0x7fffff, v4
	v_mov_b32_e32 v3, v28
                                        ; implicit-def: $vgpr29
	s_and_saveexec_b64 s[20:21], vcc
	s_xor_b64 s[78:79], exec, s[20:21]
	s_cbranch_execz .LBB6_1455
; %bb.1442:                             ;   in Loop: Header=BB6_129 Depth=2
	v_and_b32_e32 v29, 0x7fffffff, v4
	v_mov_b32_e32 v30, v28
	v_cmp_gt_u64_e32 vcc, s[62:63], v[29:30]
	v_and_b32_sdwa v30, v4, s55 dst_sel:DWORD dst_unused:UNUSED_PAD src0_sel:BYTE_3 src1_sel:DWORD
                                        ; implicit-def: $vgpr29
	s_and_saveexec_b64 s[20:21], vcc
	s_xor_b64 s[88:89], exec, s[20:21]
	s_cbranch_execz .LBB6_1452
; %bb.1443:                             ;   in Loop: Header=BB6_129 Depth=2
	v_mov_b32_e32 v29, 0
	v_cmp_ne_u32_e32 vcc, 0, v4
	s_and_saveexec_b64 s[90:91], vcc
	s_cbranch_execz .LBB6_1451
; %bb.1444:                             ;   in Loop: Header=BB6_129 Depth=2
	v_bfe_u32 v29, v4, 23, 8
	v_cmp_gt_u32_e64 s[20:21], s64, v29
	v_sub_u32_e32 v4, 0x71, v29
	v_cmp_eq_u32_e32 vcc, 0, v29
	v_cndmask_b32_e64 v4, 0, v4, s[20:21]
	v_mov_b32_e32 v31, 0x70
	v_cndmask_b32_e32 v31, v4, v31, vcc
	v_add_u32_e32 v4, 21, v31
	v_or_b32_e32 v32, 0x800000, v2
	v_lshlrev_b64 v[36:37], v4, -1
	v_cndmask_b32_e32 v2, v32, v2, vcc
	v_add_u32_e32 v4, 20, v31
	v_bfi_b32 v36, v36, 0, v2
	v_lshlrev_b64 v[38:39], v4, 1
	v_lshrrev_b64 v[2:3], v31, v[2:3]
	v_bfi_b32 v37, v37, 0, 0
	v_cmp_eq_u64_e64 s[20:21], v[36:37], v[38:39]
	v_mov_b32_e32 v4, v3
	v_mov_b32_e32 v3, v2
	s_and_saveexec_b64 s[92:93], s[20:21]
; %bb.1445:                             ;   in Loop: Header=BB6_129 Depth=2
	v_bfe_u32 v3, v2, 21, 1
	v_add_co_u32_e64 v3, s[20:21], v2, v3
	v_add_co_u32_e64 v3, s[20:21], -1, v3
; %bb.1446:                             ;   in Loop: Header=BB6_129 Depth=2
	s_or_b64 exec, exec, s[92:93]
	v_add_u32_e32 v4, 0xffffff81, v29
	v_mov_b32_e32 v29, 0xffffff82
	v_cndmask_b32_e32 v4, v4, v29, vcc
	v_lshrrev_b32_e32 v29, 23, v2
	v_add3_u32 v31, v31, v4, v29
	v_add_u32_e32 v29, 14, v31
	v_and_b32_e32 v3, 0x1fffff, v3
	v_add_u32_e32 v2, v3, v2
	v_mov_b32_e32 v3, v28
	v_cmp_ne_u32_e32 vcc, 0, v29
                                        ; implicit-def: $vgpr4
	s_and_saveexec_b64 s[20:21], vcc
	s_xor_b64 s[20:21], exec, s[20:21]
; %bb.1447:                             ;   in Loop: Header=BB6_129 Depth=2
	v_cmp_lt_u64_e32 vcc, s[72:73], v[2:3]
	v_add_u32_e32 v4, 15, v31
	v_cndmask_b32_e32 v4, v29, v4, vcc
	v_cndmask_b32_e64 v29, 0, 1, vcc
	v_lshrrev_b64 v[2:3], v29, v[2:3]
; %bb.1448:                             ;   in Loop: Header=BB6_129 Depth=2
	s_andn2_saveexec_b64 s[20:21], s[20:21]
; %bb.1449:                             ;   in Loop: Header=BB6_129 Depth=2
	v_bfe_u32 v4, v2, 23, 1
; %bb.1450:                             ;   in Loop: Header=BB6_129 Depth=2
	s_or_b64 exec, exec, s[20:21]
	v_lshrrev_b64 v[2:3], 21, v[2:3]
	v_cmp_gt_i32_e32 vcc, 32, v4
	v_cndmask_b32_e32 v3, 0, v3, vcc
	v_cndmask_b32_e32 v2, 3, v2, vcc
	v_cmp_eq_u64_e64 s[20:21], 0, v[2:3]
	v_min_i32_e32 v3, 31, v4
	v_lshlrev_b32_e32 v3, 2, v3
	v_cmp_eq_u32_e32 vcc, 0, v4
	v_and_b32_e32 v3, 0xfc, v3
	v_and_or_b32 v2, v2, 3, v3
	s_and_b64 s[20:21], vcc, s[20:21]
	v_cndmask_b32_e64 v2, v2, 0, s[20:21]
	v_or_b32_e32 v29, v2, v30
.LBB6_1451:                             ;   in Loop: Header=BB6_129 Depth=2
	s_or_b64 exec, exec, s[90:91]
                                        ; implicit-def: $vgpr30
.LBB6_1452:                             ;   in Loop: Header=BB6_129 Depth=2
	s_andn2_saveexec_b64 s[20:21], s[88:89]
; %bb.1453:                             ;   in Loop: Header=BB6_129 Depth=2
	v_or_b32_e32 v29, 0x7b, v30
; %bb.1454:                             ;   in Loop: Header=BB6_129 Depth=2
	s_or_b64 exec, exec, s[20:21]
                                        ; implicit-def: $vgpr4
                                        ; implicit-def: $vgpr2_vgpr3
.LBB6_1455:                             ;   in Loop: Header=BB6_129 Depth=2
	s_andn2_saveexec_b64 s[20:21], s[78:79]
	s_cbranch_execz .LBB6_1461
; %bb.1456:                             ;   in Loop: Header=BB6_129 Depth=2
	v_cmp_ne_u64_e32 vcc, 0, v[2:3]
                                        ; implicit-def: $vgpr29
	s_and_saveexec_b64 s[78:79], vcc
	s_xor_b64 s[78:79], exec, s[78:79]
; %bb.1457:                             ;   in Loop: Header=BB6_129 Depth=2
	v_or_b32_sdwa v29, v4, s65 dst_sel:DWORD dst_unused:UNUSED_PAD src0_sel:BYTE_3 src1_sel:DWORD
                                        ; implicit-def: $vgpr4
; %bb.1458:                             ;   in Loop: Header=BB6_129 Depth=2
	s_andn2_saveexec_b64 s[78:79], s[78:79]
; %bb.1459:                             ;   in Loop: Header=BB6_129 Depth=2
	v_cmp_lt_i32_e32 vcc, -1, v4
	v_bfrev_b32_e32 v2, 0.5
	v_mov_b32_e32 v3, 0x7c
	v_cndmask_b32_e32 v29, v2, v3, vcc
; %bb.1460:                             ;   in Loop: Header=BB6_129 Depth=2
	s_or_b64 exec, exec, s[78:79]
.LBB6_1461:                             ;   in Loop: Header=BB6_129 Depth=2
	s_or_b64 exec, exec, s[20:21]
	v_lshrrev_b16_e32 v2, 8, v27
	v_cmp_ne_u16_e32 vcc, 0, v2
	v_mov_b32_e32 v4, 0
	v_mov_b32_e32 v30, 0
	s_and_saveexec_b64 s[20:21], vcc
	s_cbranch_execz .LBB6_1469
; %bb.1462:                             ;   in Loop: Header=BB6_129 Depth=2
	v_cmp_ne_u16_e32 vcc, s55, v2
	v_bfrev_b32_e32 v30, 1
	s_and_saveexec_b64 s[78:79], vcc
	s_cbranch_execz .LBB6_1468
; %bb.1463:                             ;   in Loop: Header=BB6_129 Depth=2
	v_and_b32_e32 v3, 0x7c, v2
	v_and_b32_e32 v31, 3, v2
	v_cmp_ne_u32_e32 vcc, s53, v3
                                        ; implicit-def: $vgpr30
	s_and_saveexec_b64 s[88:89], vcc
	s_xor_b64 s[88:89], exec, s[88:89]
	s_cbranch_execz .LBB6_1465
; %bb.1464:                             ;   in Loop: Header=BB6_129 Depth=2
	v_ffbh_u32_e32 v32, v31
	v_min_u32_e32 v32, 32, v32
	v_mov_b32_e32 v3, v28
	v_subrev_u32_e32 v33, 29, v32
	v_bfe_u32 v30, v2, 2, 5
	v_lshlrev_b64 v[2:3], v33, v[2:3]
	v_sub_u32_e32 v3, 30, v32
	v_cmp_eq_u32_e32 vcc, 0, v30
	v_lshlrev_b32_e32 v27, 16, v27
	v_and_b32_e32 v2, 3, v2
	v_cndmask_b32_e32 v3, v30, v3, vcc
	v_and_b32_e32 v27, 0x80000000, v27
	v_cndmask_b32_e32 v2, v31, v2, vcc
	v_lshl_add_u32 v3, v3, 23, v27
	v_lshl_or_b32 v2, v2, 21, v3
	v_add_u32_e32 v30, 0x38000000, v2
                                        ; implicit-def: $vgpr31
.LBB6_1465:                             ;   in Loop: Header=BB6_129 Depth=2
	s_andn2_saveexec_b64 s[88:89], s[88:89]
; %bb.1466:                             ;   in Loop: Header=BB6_129 Depth=2
	v_cmp_lt_i16_e32 vcc, -1, v27
	v_mov_b32_e32 v2, 0xff800000
	v_mov_b32_e32 v3, 0x7f800000
	v_cndmask_b32_e32 v2, v2, v3, vcc
	v_cmp_eq_u32_e32 vcc, 0, v31
	v_mov_b32_e32 v3, 0x7f800001
	v_cndmask_b32_e32 v30, v3, v2, vcc
; %bb.1467:                             ;   in Loop: Header=BB6_129 Depth=2
	s_or_b64 exec, exec, s[88:89]
.LBB6_1468:                             ;   in Loop: Header=BB6_129 Depth=2
	s_or_b64 exec, exec, s[78:79]
.LBB6_1469:                             ;   in Loop: Header=BB6_129 Depth=2
	s_or_b64 exec, exec, s[20:21]
	v_lshrrev_b16_e32 v2, 8, v19
	v_cmp_ne_u16_e32 vcc, 0, v2
	s_and_saveexec_b64 s[20:21], vcc
	s_cbranch_execz .LBB6_1477
; %bb.1470:                             ;   in Loop: Header=BB6_129 Depth=2
	v_cmp_ne_u16_e32 vcc, s55, v2
	v_bfrev_b32_e32 v4, 1
	s_and_saveexec_b64 s[78:79], vcc
	s_cbranch_execz .LBB6_1476
; %bb.1471:                             ;   in Loop: Header=BB6_129 Depth=2
	v_and_b32_e32 v3, 0x7c, v2
	v_and_b32_e32 v27, 3, v2
	v_cmp_ne_u32_e32 vcc, s53, v3
                                        ; implicit-def: $vgpr4
	s_and_saveexec_b64 s[88:89], vcc
	s_xor_b64 s[88:89], exec, s[88:89]
	s_cbranch_execz .LBB6_1473
; %bb.1472:                             ;   in Loop: Header=BB6_129 Depth=2
	v_ffbh_u32_e32 v31, v27
	v_min_u32_e32 v31, 32, v31
	v_mov_b32_e32 v3, v28
	v_subrev_u32_e32 v32, 29, v31
	v_bfe_u32 v4, v2, 2, 5
	v_lshlrev_b64 v[2:3], v32, v[2:3]
	v_sub_u32_e32 v3, 30, v31
	v_cmp_eq_u32_e32 vcc, 0, v4
	v_cndmask_b32_e32 v3, v4, v3, vcc
	v_lshlrev_b32_e32 v4, 16, v19
	v_and_b32_e32 v2, 3, v2
	v_and_b32_e32 v4, 0x80000000, v4
	v_cndmask_b32_e32 v2, v27, v2, vcc
	v_lshl_add_u32 v3, v3, 23, v4
	v_lshl_or_b32 v2, v2, 21, v3
	v_add_u32_e32 v4, 0x38000000, v2
                                        ; implicit-def: $vgpr27
.LBB6_1473:                             ;   in Loop: Header=BB6_129 Depth=2
	s_andn2_saveexec_b64 s[88:89], s[88:89]
; %bb.1474:                             ;   in Loop: Header=BB6_129 Depth=2
	v_cmp_lt_i16_e32 vcc, -1, v19
	v_mov_b32_e32 v2, 0xff800000
	v_mov_b32_e32 v3, 0x7f800000
	v_cndmask_b32_e32 v2, v2, v3, vcc
	v_cmp_eq_u32_e32 vcc, 0, v27
	v_mov_b32_e32 v3, 0x7f800001
	v_cndmask_b32_e32 v4, v3, v2, vcc
; %bb.1475:                             ;   in Loop: Header=BB6_129 Depth=2
	s_or_b64 exec, exec, s[88:89]
.LBB6_1476:                             ;   in Loop: Header=BB6_129 Depth=2
	s_or_b64 exec, exec, s[78:79]
.LBB6_1477:                             ;   in Loop: Header=BB6_129 Depth=2
	s_or_b64 exec, exec, s[20:21]
	v_mul_f32_e32 v2, v30, v4
	v_and_b32_e32 v3, 0x7f800000, v2
	v_mov_b32_e32 v4, v28
	v_cmp_ne_u64_e32 vcc, s[60:61], v[3:4]
	v_and_b32_e32 v27, 0x7fffff, v2
                                        ; implicit-def: $vgpr30
	s_and_saveexec_b64 s[20:21], vcc
	s_xor_b64 s[78:79], exec, s[20:21]
	s_cbranch_execz .LBB6_1491
; %bb.1478:                             ;   in Loop: Header=BB6_129 Depth=2
	v_and_b32_e32 v3, 0x7fffffff, v2
	v_mov_b32_e32 v4, v28
	v_cmp_gt_u64_e32 vcc, s[62:63], v[3:4]
	v_and_b32_sdwa v31, v2, s55 dst_sel:DWORD dst_unused:UNUSED_PAD src0_sel:BYTE_3 src1_sel:DWORD
                                        ; implicit-def: $vgpr30
	s_and_saveexec_b64 s[20:21], vcc
	s_xor_b64 s[88:89], exec, s[20:21]
	s_cbranch_execz .LBB6_1488
; %bb.1479:                             ;   in Loop: Header=BB6_129 Depth=2
	v_mov_b32_e32 v30, 0
	v_cmp_ne_u32_e32 vcc, 0, v2
	s_and_saveexec_b64 s[90:91], vcc
	s_cbranch_execz .LBB6_1487
; %bb.1480:                             ;   in Loop: Header=BB6_129 Depth=2
	v_bfe_u32 v30, v2, 23, 8
	v_cmp_gt_u32_e64 s[20:21], s64, v30
	v_sub_u32_e32 v2, 0x71, v30
	v_cmp_eq_u32_e32 vcc, 0, v30
	v_cndmask_b32_e64 v2, 0, v2, s[20:21]
	v_mov_b32_e32 v4, 0x70
	v_cndmask_b32_e32 v36, v2, v4, vcc
	v_add_u32_e32 v4, 21, v36
	v_or_b32_e32 v3, 0x800000, v27
	v_lshlrev_b64 v[37:38], v4, -1
	v_cndmask_b32_e32 v2, v3, v27, vcc
	v_mov_b32_e32 v3, v28
	v_add_u32_e32 v4, 20, v36
	v_bfi_b32 v37, v37, 0, v2
	v_lshlrev_b64 v[48:49], v4, 1
	v_lshrrev_b64 v[2:3], v36, v[2:3]
	v_bfi_b32 v38, v38, 0, 0
	v_cmp_eq_u64_e64 s[20:21], v[37:38], v[48:49]
	v_mov_b32_e32 v4, v3
	v_mov_b32_e32 v3, v2
	s_and_saveexec_b64 s[92:93], s[20:21]
; %bb.1481:                             ;   in Loop: Header=BB6_129 Depth=2
	v_bfe_u32 v3, v2, 21, 1
	v_add_co_u32_e64 v3, s[20:21], v2, v3
	v_add_co_u32_e64 v3, s[20:21], -1, v3
; %bb.1482:                             ;   in Loop: Header=BB6_129 Depth=2
	s_or_b64 exec, exec, s[92:93]
	v_add_u32_e32 v4, 0xffffff81, v30
	v_mov_b32_e32 v27, 0xffffff82
	v_cndmask_b32_e32 v4, v4, v27, vcc
	v_lshrrev_b32_e32 v27, 23, v2
	v_add3_u32 v36, v36, v4, v27
	v_add_u32_e32 v30, 14, v36
	v_and_b32_e32 v3, 0x1fffff, v3
	v_add_u32_e32 v27, v3, v2
	v_cmp_ne_u32_e32 vcc, 0, v30
                                        ; implicit-def: $vgpr2_vgpr3
                                        ; implicit-def: $vgpr4
	s_and_saveexec_b64 s[20:21], vcc
	s_xor_b64 s[20:21], exec, s[20:21]
; %bb.1483:                             ;   in Loop: Header=BB6_129 Depth=2
	v_cmp_lt_u64_e32 vcc, s[72:73], v[27:28]
	v_add_u32_e32 v2, 15, v36
	v_cndmask_b32_e32 v4, v30, v2, vcc
	v_cndmask_b32_e64 v2, 0, 1, vcc
	v_lshrrev_b64 v[2:3], v2, v[27:28]
; %bb.1484:                             ;   in Loop: Header=BB6_129 Depth=2
	s_andn2_saveexec_b64 s[20:21], s[20:21]
; %bb.1485:                             ;   in Loop: Header=BB6_129 Depth=2
	v_mov_b32_e32 v2, v27
	v_mov_b32_e32 v3, v28
	v_bfe_u32 v4, v27, 23, 1
; %bb.1486:                             ;   in Loop: Header=BB6_129 Depth=2
	s_or_b64 exec, exec, s[20:21]
	v_lshrrev_b64 v[2:3], 21, v[2:3]
	v_cmp_gt_i32_e32 vcc, 32, v4
	v_cndmask_b32_e32 v3, 0, v3, vcc
	v_cndmask_b32_e32 v2, 3, v2, vcc
	v_cmp_eq_u64_e64 s[20:21], 0, v[2:3]
	v_min_i32_e32 v3, 31, v4
	v_lshlrev_b32_e32 v3, 2, v3
	v_cmp_eq_u32_e32 vcc, 0, v4
	v_and_b32_e32 v3, 0xfc, v3
	v_and_or_b32 v2, v2, 3, v3
	s_and_b64 s[20:21], vcc, s[20:21]
	v_cndmask_b32_e64 v2, v2, 0, s[20:21]
	v_or_b32_e32 v30, v2, v31
.LBB6_1487:                             ;   in Loop: Header=BB6_129 Depth=2
	s_or_b64 exec, exec, s[90:91]
                                        ; implicit-def: $vgpr31
.LBB6_1488:                             ;   in Loop: Header=BB6_129 Depth=2
	s_andn2_saveexec_b64 s[20:21], s[88:89]
; %bb.1489:                             ;   in Loop: Header=BB6_129 Depth=2
	v_or_b32_e32 v30, 0x7b, v31
; %bb.1490:                             ;   in Loop: Header=BB6_129 Depth=2
	s_or_b64 exec, exec, s[20:21]
                                        ; implicit-def: $vgpr2
.LBB6_1491:                             ;   in Loop: Header=BB6_129 Depth=2
	s_andn2_saveexec_b64 s[20:21], s[78:79]
	s_cbranch_execz .LBB6_1497
; %bb.1492:                             ;   in Loop: Header=BB6_129 Depth=2
	v_cmp_ne_u64_e32 vcc, 0, v[27:28]
                                        ; implicit-def: $vgpr30
	s_and_saveexec_b64 s[78:79], vcc
	s_xor_b64 s[78:79], exec, s[78:79]
; %bb.1493:                             ;   in Loop: Header=BB6_129 Depth=2
	v_or_b32_sdwa v30, v2, s65 dst_sel:DWORD dst_unused:UNUSED_PAD src0_sel:BYTE_3 src1_sel:DWORD
                                        ; implicit-def: $vgpr2
; %bb.1494:                             ;   in Loop: Header=BB6_129 Depth=2
	s_andn2_saveexec_b64 s[78:79], s[78:79]
; %bb.1495:                             ;   in Loop: Header=BB6_129 Depth=2
	v_cmp_lt_i32_e32 vcc, -1, v2
	v_bfrev_b32_e32 v2, 0.5
	v_mov_b32_e32 v3, 0x7c
	v_cndmask_b32_e32 v30, v2, v3, vcc
; %bb.1496:                             ;   in Loop: Header=BB6_129 Depth=2
	s_or_b64 exec, exec, s[78:79]
.LBB6_1497:                             ;   in Loop: Header=BB6_129 Depth=2
	s_or_b64 exec, exec, s[20:21]
	v_lshrrev_b32_e32 v2, 16, v23
	v_cmp_ne_u16_sdwa s[78:79], v2, v28 src0_sel:BYTE_0 src1_sel:DWORD
	v_mov_b32_e32 v3, 0
	v_mov_b32_e32 v4, 0
	s_and_saveexec_b64 s[20:21], s[78:79]
	s_cbranch_execz .LBB6_1505
; %bb.1498:                             ;   in Loop: Header=BB6_129 Depth=2
	v_cmp_ne_u16_sdwa s[88:89], v2, s55 src0_sel:BYTE_0 src1_sel:DWORD
	v_bfrev_b32_e32 v4, 1
	s_and_saveexec_b64 s[78:79], s[88:89]
	s_cbranch_execz .LBB6_1504
; %bb.1499:                             ;   in Loop: Header=BB6_129 Depth=2
	v_and_b32_e32 v4, 0x7c0000, v23
	v_bfe_u32 v27, v23, 16, 2
	v_cmp_ne_u32_e32 vcc, s66, v4
                                        ; implicit-def: $vgpr4
	s_and_saveexec_b64 s[88:89], vcc
	s_xor_b64 s[88:89], exec, s[88:89]
	s_cbranch_execz .LBB6_1501
; %bb.1500:                             ;   in Loop: Header=BB6_129 Depth=2
	v_ffbh_u32_e32 v31, v27
	v_min_u32_e32 v31, 32, v31
	v_subrev_u32_e32 v32, 29, v31
	v_lshlrev_b64 v[36:37], v32, v[2:3]
	v_bfe_u32 v4, v23, 18, 5
	v_sub_u32_e32 v2, 30, v31
	v_and_b32_e32 v31, 3, v36
	v_cmp_eq_u32_e32 vcc, 0, v4
	v_cndmask_b32_e32 v2, v4, v2, vcc
	v_cndmask_b32_e32 v4, v27, v31, vcc
	v_lshlrev_b32_e32 v27, 8, v23
	v_and_b32_e32 v27, 0x80000000, v27
	v_lshl_add_u32 v2, v2, 23, v27
	v_lshl_or_b32 v2, v4, 21, v2
	v_add_u32_e32 v4, 0x38000000, v2
                                        ; implicit-def: $vgpr27
                                        ; implicit-def: $vgpr2
.LBB6_1501:                             ;   in Loop: Header=BB6_129 Depth=2
	s_andn2_saveexec_b64 s[88:89], s[88:89]
; %bb.1502:                             ;   in Loop: Header=BB6_129 Depth=2
	v_mov_b32_e32 v4, -1
	v_cmp_gt_i16_sdwa vcc, sext(v2), v4 src0_sel:BYTE_0 src1_sel:DWORD
	v_mov_b32_e32 v2, 0xff800000
	v_mov_b32_e32 v4, 0x7f800000
	v_cndmask_b32_e32 v2, v2, v4, vcc
	v_cmp_eq_u32_e32 vcc, 0, v27
	v_mov_b32_e32 v4, 0x7f800001
	v_cndmask_b32_e32 v4, v4, v2, vcc
; %bb.1503:                             ;   in Loop: Header=BB6_129 Depth=2
	s_or_b64 exec, exec, s[88:89]
.LBB6_1504:                             ;   in Loop: Header=BB6_129 Depth=2
	s_or_b64 exec, exec, s[78:79]
.LBB6_1505:                             ;   in Loop: Header=BB6_129 Depth=2
	s_or_b64 exec, exec, s[20:21]
	v_lshrrev_b32_e32 v2, 16, v19
	v_cmp_ne_u16_sdwa s[78:79], v2, v28 src0_sel:BYTE_0 src1_sel:DWORD
	s_and_saveexec_b64 s[20:21], s[78:79]
	s_cbranch_execz .LBB6_1513
; %bb.1506:                             ;   in Loop: Header=BB6_129 Depth=2
	v_cmp_ne_u16_sdwa s[88:89], v2, s55 src0_sel:BYTE_0 src1_sel:DWORD
	v_bfrev_b32_e32 v3, 1
	s_and_saveexec_b64 s[78:79], s[88:89]
	s_cbranch_execz .LBB6_1512
; %bb.1507:                             ;   in Loop: Header=BB6_129 Depth=2
	v_and_b32_e32 v3, 0x7c0000, v19
	v_bfe_u32 v27, v19, 16, 2
	v_cmp_ne_u32_e32 vcc, s66, v3
                                        ; implicit-def: $vgpr3
	s_and_saveexec_b64 s[88:89], vcc
	s_xor_b64 s[88:89], exec, s[88:89]
	s_cbranch_execz .LBB6_1509
; %bb.1508:                             ;   in Loop: Header=BB6_129 Depth=2
	v_ffbh_u32_e32 v3, v27
	v_min_u32_e32 v32, 32, v3
	v_subrev_u32_e32 v3, 29, v32
	v_lshlrev_b64 v[2:3], v3, v[2:3]
	v_bfe_u32 v31, v19, 18, 5
	v_and_b32_e32 v2, 3, v2
	v_cmp_eq_u32_e32 vcc, 0, v31
	v_sub_u32_e32 v3, 30, v32
	v_cndmask_b32_e32 v2, v27, v2, vcc
	v_lshlrev_b32_e32 v27, 8, v19
	v_cndmask_b32_e32 v3, v31, v3, vcc
	v_and_b32_e32 v27, 0x80000000, v27
	v_lshl_add_u32 v3, v3, 23, v27
	v_lshl_or_b32 v2, v2, 21, v3
	v_add_u32_e32 v3, 0x38000000, v2
                                        ; implicit-def: $vgpr27
                                        ; implicit-def: $vgpr2
.LBB6_1509:                             ;   in Loop: Header=BB6_129 Depth=2
	s_andn2_saveexec_b64 s[88:89], s[88:89]
; %bb.1510:                             ;   in Loop: Header=BB6_129 Depth=2
	v_mov_b32_e32 v3, -1
	v_cmp_gt_i16_sdwa vcc, sext(v2), v3 src0_sel:BYTE_0 src1_sel:DWORD
	v_mov_b32_e32 v2, 0xff800000
	v_mov_b32_e32 v3, 0x7f800000
	v_cndmask_b32_e32 v2, v2, v3, vcc
	v_cmp_eq_u32_e32 vcc, 0, v27
	v_mov_b32_e32 v3, 0x7f800001
	v_cndmask_b32_e32 v3, v3, v2, vcc
; %bb.1511:                             ;   in Loop: Header=BB6_129 Depth=2
	s_or_b64 exec, exec, s[88:89]
.LBB6_1512:                             ;   in Loop: Header=BB6_129 Depth=2
	s_or_b64 exec, exec, s[78:79]
.LBB6_1513:                             ;   in Loop: Header=BB6_129 Depth=2
	s_or_b64 exec, exec, s[20:21]
	v_mul_f32_e32 v2, v4, v3
	v_and_b32_e32 v3, 0x7f800000, v2
	v_mov_b32_e32 v4, v28
	v_cmp_ne_u64_e32 vcc, s[60:61], v[3:4]
	v_and_b32_e32 v27, 0x7fffff, v2
                                        ; implicit-def: $vgpr31
	s_and_saveexec_b64 s[20:21], vcc
	s_xor_b64 s[78:79], exec, s[20:21]
	s_cbranch_execz .LBB6_1527
; %bb.1514:                             ;   in Loop: Header=BB6_129 Depth=2
	v_and_b32_e32 v3, 0x7fffffff, v2
	v_mov_b32_e32 v4, v28
	v_cmp_gt_u64_e32 vcc, s[62:63], v[3:4]
	v_and_b32_sdwa v36, v2, s55 dst_sel:DWORD dst_unused:UNUSED_PAD src0_sel:BYTE_3 src1_sel:DWORD
                                        ; implicit-def: $vgpr31
	s_and_saveexec_b64 s[20:21], vcc
	s_xor_b64 s[88:89], exec, s[20:21]
	s_cbranch_execz .LBB6_1524
; %bb.1515:                             ;   in Loop: Header=BB6_129 Depth=2
	v_mov_b32_e32 v31, 0
	v_cmp_ne_u32_e32 vcc, 0, v2
	s_and_saveexec_b64 s[90:91], vcc
	s_cbranch_execz .LBB6_1523
; %bb.1516:                             ;   in Loop: Header=BB6_129 Depth=2
	v_bfe_u32 v31, v2, 23, 8
	v_cmp_gt_u32_e64 s[20:21], s64, v31
	v_sub_u32_e32 v2, 0x71, v31
	v_cmp_eq_u32_e32 vcc, 0, v31
	v_cndmask_b32_e64 v2, 0, v2, s[20:21]
	v_mov_b32_e32 v4, 0x70
	v_cndmask_b32_e32 v37, v2, v4, vcc
	v_add_u32_e32 v4, 21, v37
	v_or_b32_e32 v3, 0x800000, v27
	v_lshlrev_b64 v[38:39], v4, -1
	v_cndmask_b32_e32 v2, v3, v27, vcc
	v_mov_b32_e32 v3, v28
	v_add_u32_e32 v4, 20, v37
	v_bfi_b32 v38, v38, 0, v2
	v_lshlrev_b64 v[48:49], v4, 1
	v_lshrrev_b64 v[2:3], v37, v[2:3]
	v_bfi_b32 v39, v39, 0, 0
	v_cmp_eq_u64_e64 s[20:21], v[38:39], v[48:49]
	v_mov_b32_e32 v4, v3
	v_mov_b32_e32 v3, v2
	s_and_saveexec_b64 s[92:93], s[20:21]
; %bb.1517:                             ;   in Loop: Header=BB6_129 Depth=2
	v_bfe_u32 v3, v2, 21, 1
	v_add_co_u32_e64 v3, s[20:21], v2, v3
	v_add_co_u32_e64 v3, s[20:21], -1, v3
; %bb.1518:                             ;   in Loop: Header=BB6_129 Depth=2
	s_or_b64 exec, exec, s[92:93]
	v_add_u32_e32 v4, 0xffffff81, v31
	v_mov_b32_e32 v27, 0xffffff82
	v_cndmask_b32_e32 v4, v4, v27, vcc
	v_lshrrev_b32_e32 v27, 23, v2
	v_add3_u32 v37, v37, v4, v27
	v_add_u32_e32 v31, 14, v37
	v_and_b32_e32 v3, 0x1fffff, v3
	v_add_u32_e32 v27, v3, v2
	v_cmp_ne_u32_e32 vcc, 0, v31
                                        ; implicit-def: $vgpr2_vgpr3
                                        ; implicit-def: $vgpr4
	s_and_saveexec_b64 s[20:21], vcc
	s_xor_b64 s[20:21], exec, s[20:21]
; %bb.1519:                             ;   in Loop: Header=BB6_129 Depth=2
	v_cmp_lt_u64_e32 vcc, s[72:73], v[27:28]
	v_add_u32_e32 v2, 15, v37
	v_cndmask_b32_e32 v4, v31, v2, vcc
	v_cndmask_b32_e64 v2, 0, 1, vcc
	v_lshrrev_b64 v[2:3], v2, v[27:28]
; %bb.1520:                             ;   in Loop: Header=BB6_129 Depth=2
	s_andn2_saveexec_b64 s[20:21], s[20:21]
; %bb.1521:                             ;   in Loop: Header=BB6_129 Depth=2
	v_mov_b32_e32 v2, v27
	v_mov_b32_e32 v3, v28
	v_bfe_u32 v4, v27, 23, 1
; %bb.1522:                             ;   in Loop: Header=BB6_129 Depth=2
	s_or_b64 exec, exec, s[20:21]
	v_lshrrev_b64 v[2:3], 21, v[2:3]
	v_cmp_gt_i32_e32 vcc, 32, v4
	v_cndmask_b32_e32 v3, 0, v3, vcc
	v_cndmask_b32_e32 v2, 3, v2, vcc
	v_cmp_eq_u64_e64 s[20:21], 0, v[2:3]
	v_min_i32_e32 v3, 31, v4
	v_lshlrev_b32_e32 v3, 2, v3
	v_cmp_eq_u32_e32 vcc, 0, v4
	v_and_b32_e32 v3, 0xfc, v3
	v_and_or_b32 v2, v2, 3, v3
	s_and_b64 s[20:21], vcc, s[20:21]
	v_cndmask_b32_e64 v2, v2, 0, s[20:21]
	v_or_b32_e32 v31, v2, v36
.LBB6_1523:                             ;   in Loop: Header=BB6_129 Depth=2
	s_or_b64 exec, exec, s[90:91]
                                        ; implicit-def: $vgpr36
.LBB6_1524:                             ;   in Loop: Header=BB6_129 Depth=2
	s_andn2_saveexec_b64 s[20:21], s[88:89]
; %bb.1525:                             ;   in Loop: Header=BB6_129 Depth=2
	v_or_b32_e32 v31, 0x7b, v36
; %bb.1526:                             ;   in Loop: Header=BB6_129 Depth=2
	s_or_b64 exec, exec, s[20:21]
                                        ; implicit-def: $vgpr2
.LBB6_1527:                             ;   in Loop: Header=BB6_129 Depth=2
	s_andn2_saveexec_b64 s[20:21], s[78:79]
	s_cbranch_execz .LBB6_1533
; %bb.1528:                             ;   in Loop: Header=BB6_129 Depth=2
	v_cmp_ne_u64_e32 vcc, 0, v[27:28]
                                        ; implicit-def: $vgpr31
	s_and_saveexec_b64 s[78:79], vcc
	s_xor_b64 s[78:79], exec, s[78:79]
; %bb.1529:                             ;   in Loop: Header=BB6_129 Depth=2
	v_or_b32_sdwa v31, v2, s65 dst_sel:DWORD dst_unused:UNUSED_PAD src0_sel:BYTE_3 src1_sel:DWORD
                                        ; implicit-def: $vgpr2
; %bb.1530:                             ;   in Loop: Header=BB6_129 Depth=2
	s_andn2_saveexec_b64 s[78:79], s[78:79]
; %bb.1531:                             ;   in Loop: Header=BB6_129 Depth=2
	v_cmp_lt_i32_e32 vcc, -1, v2
	v_bfrev_b32_e32 v2, 0.5
	v_mov_b32_e32 v3, 0x7c
	v_cndmask_b32_e32 v31, v2, v3, vcc
; %bb.1532:                             ;   in Loop: Header=BB6_129 Depth=2
	s_or_b64 exec, exec, s[78:79]
.LBB6_1533:                             ;   in Loop: Header=BB6_129 Depth=2
	s_or_b64 exec, exec, s[20:21]
	v_cmp_lt_u64_e32 vcc, s[58:59], v[22:23]
	v_mov_b32_e32 v3, 0
	v_mov_b32_e32 v4, 0
	s_and_saveexec_b64 s[20:21], vcc
	s_cbranch_execz .LBB6_1541
; %bb.1534:                             ;   in Loop: Header=BB6_129 Depth=2
	v_lshrrev_b32_e32 v2, 24, v23
	v_cmp_ne_u32_e32 vcc, s55, v2
	v_bfrev_b32_e32 v4, 1
	s_and_saveexec_b64 s[78:79], vcc
	s_cbranch_execz .LBB6_1540
; %bb.1535:                             ;   in Loop: Header=BB6_129 Depth=2
	v_and_b32_e32 v4, 0x7c000000, v23
	v_bfe_u32 v27, v23, 24, 2
	v_cmp_ne_u32_e32 vcc, s67, v4
                                        ; implicit-def: $vgpr4
	s_and_saveexec_b64 s[88:89], vcc
	s_xor_b64 s[88:89], exec, s[88:89]
	s_cbranch_execz .LBB6_1537
; %bb.1536:                             ;   in Loop: Header=BB6_129 Depth=2
	v_ffbh_u32_e32 v32, v27
	v_min_u32_e32 v32, 32, v32
	v_subrev_u32_e32 v33, 29, v32
	v_lshlrev_b64 v[36:37], v33, v[2:3]
	v_bfe_u32 v4, v23, 26, 5
	v_sub_u32_e32 v2, 30, v32
	v_and_b32_e32 v32, 3, v36
	v_cmp_eq_u32_e32 vcc, 0, v4
	v_cndmask_b32_e32 v2, v4, v2, vcc
	v_cndmask_b32_e32 v4, v27, v32, vcc
	v_and_b32_e32 v27, 0x80000000, v23
	v_lshl_add_u32 v2, v2, 23, v27
	v_lshl_or_b32 v2, v4, 21, v2
	v_add_u32_e32 v4, 0x38000000, v2
                                        ; implicit-def: $vgpr27
.LBB6_1537:                             ;   in Loop: Header=BB6_129 Depth=2
	s_andn2_saveexec_b64 s[88:89], s[88:89]
; %bb.1538:                             ;   in Loop: Header=BB6_129 Depth=2
	v_cmp_lt_i64_e32 vcc, -1, v[22:23]
	v_mov_b32_e32 v2, 0xff800000
	v_mov_b32_e32 v4, 0x7f800000
	v_cndmask_b32_e32 v2, v2, v4, vcc
	v_cmp_eq_u32_e32 vcc, 0, v27
	v_mov_b32_e32 v4, 0x7f800001
	v_cndmask_b32_e32 v4, v4, v2, vcc
; %bb.1539:                             ;   in Loop: Header=BB6_129 Depth=2
	s_or_b64 exec, exec, s[88:89]
.LBB6_1540:                             ;   in Loop: Header=BB6_129 Depth=2
	s_or_b64 exec, exec, s[78:79]
.LBB6_1541:                             ;   in Loop: Header=BB6_129 Depth=2
	s_or_b64 exec, exec, s[20:21]
	v_cmp_lt_u64_e32 vcc, s[58:59], v[18:19]
	s_and_saveexec_b64 s[20:21], vcc
	s_cbranch_execz .LBB6_1549
; %bb.1542:                             ;   in Loop: Header=BB6_129 Depth=2
	v_lshrrev_b32_e32 v2, 24, v19
	v_cmp_ne_u32_e32 vcc, s55, v2
	v_bfrev_b32_e32 v3, 1
	s_and_saveexec_b64 s[78:79], vcc
	s_cbranch_execz .LBB6_1548
; %bb.1543:                             ;   in Loop: Header=BB6_129 Depth=2
	v_and_b32_e32 v3, 0x7c000000, v19
	v_bfe_u32 v22, v19, 24, 2
	v_cmp_ne_u32_e32 vcc, s67, v3
                                        ; implicit-def: $vgpr3
	s_and_saveexec_b64 s[88:89], vcc
	s_xor_b64 s[88:89], exec, s[88:89]
	s_cbranch_execz .LBB6_1545
; %bb.1544:                             ;   in Loop: Header=BB6_129 Depth=2
	v_ffbh_u32_e32 v3, v22
	v_min_u32_e32 v27, 32, v3
	v_subrev_u32_e32 v3, 29, v27
	v_lshlrev_b64 v[2:3], v3, v[2:3]
	v_bfe_u32 v23, v19, 26, 5
	v_sub_u32_e32 v3, 30, v27
	v_and_b32_e32 v2, 3, v2
	v_cmp_eq_u32_e32 vcc, 0, v23
	v_cndmask_b32_e32 v3, v23, v3, vcc
	v_cndmask_b32_e32 v2, v22, v2, vcc
	v_and_b32_e32 v22, 0x80000000, v19
	v_lshl_add_u32 v3, v3, 23, v22
	v_lshl_or_b32 v2, v2, 21, v3
	v_add_u32_e32 v3, 0x38000000, v2
                                        ; implicit-def: $vgpr22
.LBB6_1545:                             ;   in Loop: Header=BB6_129 Depth=2
	s_andn2_saveexec_b64 s[88:89], s[88:89]
; %bb.1546:                             ;   in Loop: Header=BB6_129 Depth=2
	v_cmp_lt_i64_e32 vcc, -1, v[18:19]
	v_mov_b32_e32 v2, 0xff800000
	v_mov_b32_e32 v3, 0x7f800000
	v_cndmask_b32_e32 v2, v2, v3, vcc
	v_cmp_eq_u32_e32 vcc, 0, v22
	v_mov_b32_e32 v3, 0x7f800001
	v_cndmask_b32_e32 v3, v3, v2, vcc
; %bb.1547:                             ;   in Loop: Header=BB6_129 Depth=2
	s_or_b64 exec, exec, s[88:89]
.LBB6_1548:                             ;   in Loop: Header=BB6_129 Depth=2
	s_or_b64 exec, exec, s[78:79]
.LBB6_1549:                             ;   in Loop: Header=BB6_129 Depth=2
	s_or_b64 exec, exec, s[20:21]
	v_mul_f32_e32 v2, v4, v3
	v_and_b32_e32 v3, 0x7f800000, v2
	v_mov_b32_e32 v4, v28
	v_cmp_ne_u64_e32 vcc, s[60:61], v[3:4]
	v_and_b32_e32 v27, 0x7fffff, v2
                                        ; implicit-def: $vgpr18
	s_and_saveexec_b64 s[20:21], vcc
	s_xor_b64 s[78:79], exec, s[20:21]
	s_cbranch_execz .LBB6_1563
; %bb.1550:                             ;   in Loop: Header=BB6_129 Depth=2
	v_and_b32_e32 v3, 0x7fffffff, v2
	v_mov_b32_e32 v4, v28
	v_cmp_gt_u64_e32 vcc, s[62:63], v[3:4]
	v_and_b32_sdwa v19, v2, s55 dst_sel:DWORD dst_unused:UNUSED_PAD src0_sel:BYTE_3 src1_sel:DWORD
                                        ; implicit-def: $vgpr18
	s_and_saveexec_b64 s[20:21], vcc
	s_xor_b64 s[88:89], exec, s[20:21]
	s_cbranch_execz .LBB6_1560
; %bb.1551:                             ;   in Loop: Header=BB6_129 Depth=2
	v_mov_b32_e32 v18, 0
	v_cmp_ne_u32_e32 vcc, 0, v2
	s_and_saveexec_b64 s[90:91], vcc
	s_cbranch_execz .LBB6_1559
; %bb.1552:                             ;   in Loop: Header=BB6_129 Depth=2
	v_bfe_u32 v18, v2, 23, 8
	v_cmp_gt_u32_e64 s[20:21], s64, v18
	v_sub_u32_e32 v2, 0x71, v18
	v_cmp_eq_u32_e32 vcc, 0, v18
	v_cndmask_b32_e64 v2, 0, v2, s[20:21]
	v_mov_b32_e32 v4, 0x70
	v_cndmask_b32_e32 v22, v2, v4, vcc
	v_add_u32_e32 v4, 21, v22
	v_or_b32_e32 v3, 0x800000, v27
	v_lshlrev_b64 v[36:37], v4, -1
	v_cndmask_b32_e32 v2, v3, v27, vcc
	v_mov_b32_e32 v3, v28
	v_add_u32_e32 v4, 20, v22
	v_bfi_b32 v36, v36, 0, v2
	v_lshlrev_b64 v[38:39], v4, 1
	v_lshrrev_b64 v[2:3], v22, v[2:3]
	v_bfi_b32 v37, v37, 0, 0
	v_cmp_eq_u64_e64 s[20:21], v[36:37], v[38:39]
	v_mov_b32_e32 v4, v3
	v_mov_b32_e32 v3, v2
	s_and_saveexec_b64 s[92:93], s[20:21]
; %bb.1553:                             ;   in Loop: Header=BB6_129 Depth=2
	v_bfe_u32 v3, v2, 21, 1
	v_add_co_u32_e64 v3, s[20:21], v2, v3
	v_add_co_u32_e64 v3, s[20:21], -1, v3
; %bb.1554:                             ;   in Loop: Header=BB6_129 Depth=2
	s_or_b64 exec, exec, s[92:93]
	v_add_u32_e32 v4, 0xffffff81, v18
	v_mov_b32_e32 v18, 0xffffff82
	v_cndmask_b32_e32 v4, v4, v18, vcc
	v_lshrrev_b32_e32 v18, 23, v2
	v_add3_u32 v22, v22, v4, v18
	v_add_u32_e32 v18, 14, v22
	v_and_b32_e32 v3, 0x1fffff, v3
	v_add_u32_e32 v27, v3, v2
	v_cmp_ne_u32_e32 vcc, 0, v18
                                        ; implicit-def: $vgpr2_vgpr3
                                        ; implicit-def: $vgpr4
	s_and_saveexec_b64 s[20:21], vcc
	s_xor_b64 s[20:21], exec, s[20:21]
; %bb.1555:                             ;   in Loop: Header=BB6_129 Depth=2
	v_cmp_lt_u64_e32 vcc, s[72:73], v[27:28]
	v_add_u32_e32 v2, 15, v22
	v_cndmask_b32_e32 v4, v18, v2, vcc
	v_cndmask_b32_e64 v2, 0, 1, vcc
	v_lshrrev_b64 v[2:3], v2, v[27:28]
; %bb.1556:                             ;   in Loop: Header=BB6_129 Depth=2
	s_andn2_saveexec_b64 s[20:21], s[20:21]
; %bb.1557:                             ;   in Loop: Header=BB6_129 Depth=2
	v_mov_b32_e32 v2, v27
	v_mov_b32_e32 v3, v28
	v_bfe_u32 v4, v27, 23, 1
; %bb.1558:                             ;   in Loop: Header=BB6_129 Depth=2
	s_or_b64 exec, exec, s[20:21]
	v_lshrrev_b64 v[2:3], 21, v[2:3]
	v_cmp_gt_i32_e32 vcc, 32, v4
	v_cndmask_b32_e32 v3, 0, v3, vcc
	v_cndmask_b32_e32 v2, 3, v2, vcc
	v_cmp_eq_u64_e64 s[20:21], 0, v[2:3]
	v_min_i32_e32 v3, 31, v4
	v_lshlrev_b32_e32 v3, 2, v3
	v_cmp_eq_u32_e32 vcc, 0, v4
	v_and_b32_e32 v3, 0xfc, v3
	v_and_or_b32 v2, v2, 3, v3
	s_and_b64 s[20:21], vcc, s[20:21]
	v_cndmask_b32_e64 v2, v2, 0, s[20:21]
	v_or_b32_e32 v18, v2, v19
.LBB6_1559:                             ;   in Loop: Header=BB6_129 Depth=2
	s_or_b64 exec, exec, s[90:91]
                                        ; implicit-def: $vgpr19
.LBB6_1560:                             ;   in Loop: Header=BB6_129 Depth=2
	s_andn2_saveexec_b64 s[20:21], s[88:89]
; %bb.1561:                             ;   in Loop: Header=BB6_129 Depth=2
	v_or_b32_e32 v18, 0x7b, v19
; %bb.1562:                             ;   in Loop: Header=BB6_129 Depth=2
	s_or_b64 exec, exec, s[20:21]
                                        ; implicit-def: $vgpr2
.LBB6_1563:                             ;   in Loop: Header=BB6_129 Depth=2
	s_andn2_saveexec_b64 s[20:21], s[78:79]
	s_cbranch_execz .LBB6_1569
; %bb.1564:                             ;   in Loop: Header=BB6_129 Depth=2
	v_cmp_ne_u64_e32 vcc, 0, v[27:28]
                                        ; implicit-def: $vgpr18
	s_and_saveexec_b64 s[78:79], vcc
	s_xor_b64 s[78:79], exec, s[78:79]
; %bb.1565:                             ;   in Loop: Header=BB6_129 Depth=2
	v_or_b32_sdwa v18, v2, s65 dst_sel:DWORD dst_unused:UNUSED_PAD src0_sel:BYTE_3 src1_sel:DWORD
                                        ; implicit-def: $vgpr2
; %bb.1566:                             ;   in Loop: Header=BB6_129 Depth=2
	s_andn2_saveexec_b64 s[78:79], s[78:79]
; %bb.1567:                             ;   in Loop: Header=BB6_129 Depth=2
	v_cmp_lt_i32_e32 vcc, -1, v2
	v_bfrev_b32_e32 v2, 0.5
	v_mov_b32_e32 v3, 0x7c
	v_cndmask_b32_e32 v18, v2, v3, vcc
; %bb.1568:                             ;   in Loop: Header=BB6_129 Depth=2
	s_or_b64 exec, exec, s[78:79]
.LBB6_1569:                             ;   in Loop: Header=BB6_129 Depth=2
	s_or_b64 exec, exec, s[20:21]
	v_cmp_ne_u16_sdwa s[78:79], v24, v28 src0_sel:BYTE_0 src1_sel:DWORD
	v_mov_b32_e32 v2, 0
	v_mov_b32_e32 v3, 0
	s_and_saveexec_b64 s[20:21], s[78:79]
	s_cbranch_execz .LBB6_1577
; %bb.1570:                             ;   in Loop: Header=BB6_129 Depth=2
	v_cmp_ne_u16_sdwa s[88:89], sext(v24), s52 src0_sel:BYTE_0 src1_sel:DWORD
	v_bfrev_b32_e32 v3, 1
	s_and_saveexec_b64 s[78:79], s[88:89]
	s_cbranch_execz .LBB6_1576
; %bb.1571:                             ;   in Loop: Header=BB6_129 Depth=2
	v_and_b32_e32 v3, 0x7c, v24
	v_and_b32_e32 v4, 3, v24
	v_cmp_ne_u32_e32 vcc, s53, v3
                                        ; implicit-def: $vgpr3
	s_and_saveexec_b64 s[88:89], vcc
	s_xor_b64 s[88:89], exec, s[88:89]
	s_cbranch_execz .LBB6_1573
; %bb.1572:                             ;   in Loop: Header=BB6_129 Depth=2
	v_ffbh_u32_e32 v19, v4
	v_min_u32_e32 v19, 32, v19
	v_bfe_u32 v3, v24, 2, 5
	v_subrev_u32_e32 v22, 29, v19
	v_lshlrev_b64 v[22:23], v22, v[24:25]
	v_sub_u32_e32 v19, 30, v19
	v_cmp_eq_u32_e32 vcc, 0, v3
	v_cndmask_b32_e32 v3, v3, v19, vcc
	v_lshlrev_b32_e32 v19, 24, v24
	v_and_b32_e32 v22, 3, v22
	v_and_b32_e32 v19, 0x80000000, v19
	v_cndmask_b32_e32 v4, v4, v22, vcc
	v_lshl_add_u32 v3, v3, 23, v19
	v_lshl_or_b32 v3, v4, 21, v3
	v_add_u32_e32 v3, 0x38000000, v3
                                        ; implicit-def: $vgpr4
.LBB6_1573:                             ;   in Loop: Header=BB6_129 Depth=2
	s_andn2_saveexec_b64 s[88:89], s[88:89]
; %bb.1574:                             ;   in Loop: Header=BB6_129 Depth=2
	v_mov_b32_e32 v3, -1
	v_cmp_gt_i16_sdwa vcc, sext(v24), v3 src0_sel:BYTE_0 src1_sel:DWORD
	v_mov_b32_e32 v3, 0xff800000
	v_mov_b32_e32 v19, 0x7f800000
	v_cndmask_b32_e32 v3, v3, v19, vcc
	v_cmp_eq_u32_e32 vcc, 0, v4
	v_mov_b32_e32 v4, 0x7f800001
	v_cndmask_b32_e32 v3, v4, v3, vcc
; %bb.1575:                             ;   in Loop: Header=BB6_129 Depth=2
	s_or_b64 exec, exec, s[88:89]
.LBB6_1576:                             ;   in Loop: Header=BB6_129 Depth=2
	s_or_b64 exec, exec, s[78:79]
.LBB6_1577:                             ;   in Loop: Header=BB6_129 Depth=2
	s_or_b64 exec, exec, s[20:21]
	v_cmp_ne_u16_sdwa s[78:79], v20, v28 src0_sel:BYTE_0 src1_sel:DWORD
	s_and_saveexec_b64 s[20:21], s[78:79]
	s_cbranch_execz .LBB6_1585
; %bb.1578:                             ;   in Loop: Header=BB6_129 Depth=2
	v_cmp_ne_u16_sdwa s[88:89], sext(v20), s52 src0_sel:BYTE_0 src1_sel:DWORD
	v_bfrev_b32_e32 v2, 1
	s_and_saveexec_b64 s[78:79], s[88:89]
	s_cbranch_execz .LBB6_1584
; %bb.1579:                             ;   in Loop: Header=BB6_129 Depth=2
	v_and_b32_e32 v2, 0x7c, v20
	v_and_b32_e32 v4, 3, v20
	v_cmp_ne_u32_e32 vcc, s53, v2
                                        ; implicit-def: $vgpr2
	s_and_saveexec_b64 s[88:89], vcc
	s_xor_b64 s[88:89], exec, s[88:89]
	s_cbranch_execz .LBB6_1581
; %bb.1580:                             ;   in Loop: Header=BB6_129 Depth=2
	v_ffbh_u32_e32 v19, v4
	v_min_u32_e32 v19, 32, v19
	v_bfe_u32 v2, v20, 2, 5
	v_subrev_u32_e32 v22, 29, v19
	v_lshlrev_b64 v[22:23], v22, v[20:21]
	v_sub_u32_e32 v19, 30, v19
	v_cmp_eq_u32_e32 vcc, 0, v2
	v_cndmask_b32_e32 v2, v2, v19, vcc
	v_lshlrev_b32_e32 v19, 24, v20
	v_and_b32_e32 v22, 3, v22
	v_and_b32_e32 v19, 0x80000000, v19
	v_cndmask_b32_e32 v4, v4, v22, vcc
	v_lshl_add_u32 v2, v2, 23, v19
	v_lshl_or_b32 v2, v4, 21, v2
	v_add_u32_e32 v2, 0x38000000, v2
                                        ; implicit-def: $vgpr4
.LBB6_1581:                             ;   in Loop: Header=BB6_129 Depth=2
	s_andn2_saveexec_b64 s[88:89], s[88:89]
; %bb.1582:                             ;   in Loop: Header=BB6_129 Depth=2
	v_mov_b32_e32 v2, -1
	v_cmp_gt_i16_sdwa vcc, sext(v20), v2 src0_sel:BYTE_0 src1_sel:DWORD
	v_mov_b32_e32 v2, 0xff800000
	v_mov_b32_e32 v19, 0x7f800000
	v_cndmask_b32_e32 v2, v2, v19, vcc
	v_cmp_eq_u32_e32 vcc, 0, v4
	v_mov_b32_e32 v4, 0x7f800001
	v_cndmask_b32_e32 v2, v4, v2, vcc
; %bb.1583:                             ;   in Loop: Header=BB6_129 Depth=2
	s_or_b64 exec, exec, s[88:89]
.LBB6_1584:                             ;   in Loop: Header=BB6_129 Depth=2
	s_or_b64 exec, exec, s[78:79]
.LBB6_1585:                             ;   in Loop: Header=BB6_129 Depth=2
	s_or_b64 exec, exec, s[20:21]
	v_mul_f32_e32 v2, v3, v2
	v_and_b32_e32 v3, 0x7f800000, v2
	v_mov_b32_e32 v4, v28
	v_cmp_ne_u64_e32 vcc, s[60:61], v[3:4]
	v_and_b32_e32 v27, 0x7fffff, v2
                                        ; implicit-def: $vgpr19
	s_and_saveexec_b64 s[20:21], vcc
	s_xor_b64 s[78:79], exec, s[20:21]
	s_cbranch_execz .LBB6_1599
; %bb.1586:                             ;   in Loop: Header=BB6_129 Depth=2
	v_and_b32_e32 v3, 0x7fffffff, v2
	v_mov_b32_e32 v4, v28
	v_cmp_gt_u64_e32 vcc, s[62:63], v[3:4]
	v_and_b32_sdwa v22, v2, s55 dst_sel:DWORD dst_unused:UNUSED_PAD src0_sel:BYTE_3 src1_sel:DWORD
                                        ; implicit-def: $vgpr19
	s_and_saveexec_b64 s[20:21], vcc
	s_xor_b64 s[88:89], exec, s[20:21]
	s_cbranch_execz .LBB6_1596
; %bb.1587:                             ;   in Loop: Header=BB6_129 Depth=2
	v_mov_b32_e32 v19, 0
	v_cmp_ne_u32_e32 vcc, 0, v2
	s_and_saveexec_b64 s[90:91], vcc
	s_cbranch_execz .LBB6_1595
; %bb.1588:                             ;   in Loop: Header=BB6_129 Depth=2
	v_bfe_u32 v19, v2, 23, 8
	v_cmp_gt_u32_e64 s[20:21], s64, v19
	v_sub_u32_e32 v2, 0x71, v19
	v_cmp_eq_u32_e32 vcc, 0, v19
	v_cndmask_b32_e64 v2, 0, v2, s[20:21]
	v_mov_b32_e32 v4, 0x70
	v_cndmask_b32_e32 v23, v2, v4, vcc
	v_add_u32_e32 v4, 21, v23
	v_or_b32_e32 v3, 0x800000, v27
	v_lshlrev_b64 v[36:37], v4, -1
	v_cndmask_b32_e32 v2, v3, v27, vcc
	v_mov_b32_e32 v3, v28
	v_add_u32_e32 v4, 20, v23
	v_bfi_b32 v36, v36, 0, v2
	v_lshlrev_b64 v[38:39], v4, 1
	v_lshrrev_b64 v[2:3], v23, v[2:3]
	v_bfi_b32 v37, v37, 0, 0
	v_cmp_eq_u64_e64 s[20:21], v[36:37], v[38:39]
	v_mov_b32_e32 v4, v3
	v_mov_b32_e32 v3, v2
	s_and_saveexec_b64 s[92:93], s[20:21]
; %bb.1589:                             ;   in Loop: Header=BB6_129 Depth=2
	v_bfe_u32 v3, v2, 21, 1
	v_add_co_u32_e64 v3, s[20:21], v2, v3
	v_add_co_u32_e64 v3, s[20:21], -1, v3
; %bb.1590:                             ;   in Loop: Header=BB6_129 Depth=2
	s_or_b64 exec, exec, s[92:93]
	v_add_u32_e32 v4, 0xffffff81, v19
	v_mov_b32_e32 v19, 0xffffff82
	v_cndmask_b32_e32 v4, v4, v19, vcc
	v_lshrrev_b32_e32 v19, 23, v2
	v_add3_u32 v23, v23, v4, v19
	v_add_u32_e32 v19, 14, v23
	v_and_b32_e32 v3, 0x1fffff, v3
	v_add_u32_e32 v27, v3, v2
	v_cmp_ne_u32_e32 vcc, 0, v19
                                        ; implicit-def: $vgpr2_vgpr3
                                        ; implicit-def: $vgpr4
	s_and_saveexec_b64 s[20:21], vcc
	s_xor_b64 s[20:21], exec, s[20:21]
; %bb.1591:                             ;   in Loop: Header=BB6_129 Depth=2
	v_cmp_lt_u64_e32 vcc, s[72:73], v[27:28]
	v_add_u32_e32 v2, 15, v23
	v_cndmask_b32_e32 v4, v19, v2, vcc
	v_cndmask_b32_e64 v2, 0, 1, vcc
	v_lshrrev_b64 v[2:3], v2, v[27:28]
; %bb.1592:                             ;   in Loop: Header=BB6_129 Depth=2
	s_andn2_saveexec_b64 s[20:21], s[20:21]
; %bb.1593:                             ;   in Loop: Header=BB6_129 Depth=2
	v_mov_b32_e32 v2, v27
	v_mov_b32_e32 v3, v28
	v_bfe_u32 v4, v27, 23, 1
; %bb.1594:                             ;   in Loop: Header=BB6_129 Depth=2
	s_or_b64 exec, exec, s[20:21]
	v_lshrrev_b64 v[2:3], 21, v[2:3]
	v_cmp_gt_i32_e32 vcc, 32, v4
	v_cndmask_b32_e32 v3, 0, v3, vcc
	v_cndmask_b32_e32 v2, 3, v2, vcc
	v_cmp_eq_u64_e64 s[20:21], 0, v[2:3]
	v_min_i32_e32 v3, 31, v4
	v_lshlrev_b32_e32 v3, 2, v3
	v_cmp_eq_u32_e32 vcc, 0, v4
	v_and_b32_e32 v3, 0xfc, v3
	v_and_or_b32 v2, v2, 3, v3
	s_and_b64 s[20:21], vcc, s[20:21]
	v_cndmask_b32_e64 v2, v2, 0, s[20:21]
	v_or_b32_e32 v19, v2, v22
.LBB6_1595:                             ;   in Loop: Header=BB6_129 Depth=2
	s_or_b64 exec, exec, s[90:91]
                                        ; implicit-def: $vgpr22
.LBB6_1596:                             ;   in Loop: Header=BB6_129 Depth=2
	s_andn2_saveexec_b64 s[20:21], s[88:89]
; %bb.1597:                             ;   in Loop: Header=BB6_129 Depth=2
	v_or_b32_e32 v19, 0x7b, v22
; %bb.1598:                             ;   in Loop: Header=BB6_129 Depth=2
	s_or_b64 exec, exec, s[20:21]
                                        ; implicit-def: $vgpr2
.LBB6_1599:                             ;   in Loop: Header=BB6_129 Depth=2
	s_andn2_saveexec_b64 s[20:21], s[78:79]
	s_cbranch_execz .LBB6_1605
; %bb.1600:                             ;   in Loop: Header=BB6_129 Depth=2
	v_cmp_ne_u64_e32 vcc, 0, v[27:28]
                                        ; implicit-def: $vgpr19
	s_and_saveexec_b64 s[78:79], vcc
	s_xor_b64 s[78:79], exec, s[78:79]
; %bb.1601:                             ;   in Loop: Header=BB6_129 Depth=2
	v_or_b32_sdwa v19, v2, s65 dst_sel:DWORD dst_unused:UNUSED_PAD src0_sel:BYTE_3 src1_sel:DWORD
                                        ; implicit-def: $vgpr2
; %bb.1602:                             ;   in Loop: Header=BB6_129 Depth=2
	s_andn2_saveexec_b64 s[78:79], s[78:79]
; %bb.1603:                             ;   in Loop: Header=BB6_129 Depth=2
	v_cmp_lt_i32_e32 vcc, -1, v2
	v_bfrev_b32_e32 v2, 0.5
	v_mov_b32_e32 v3, 0x7c
	v_cndmask_b32_e32 v19, v2, v3, vcc
; %bb.1604:                             ;   in Loop: Header=BB6_129 Depth=2
	s_or_b64 exec, exec, s[78:79]
.LBB6_1605:                             ;   in Loop: Header=BB6_129 Depth=2
	s_or_b64 exec, exec, s[20:21]
	v_lshrrev_b16_e32 v2, 8, v24
	v_cmp_ne_u16_e32 vcc, 0, v2
	v_mov_b32_e32 v4, 0
	v_mov_b32_e32 v22, 0
	s_and_saveexec_b64 s[20:21], vcc
	s_cbranch_execz .LBB6_1613
; %bb.1606:                             ;   in Loop: Header=BB6_129 Depth=2
	v_cmp_ne_u16_e32 vcc, s55, v2
	v_bfrev_b32_e32 v22, 1
	s_and_saveexec_b64 s[78:79], vcc
	s_cbranch_execz .LBB6_1612
; %bb.1607:                             ;   in Loop: Header=BB6_129 Depth=2
	v_and_b32_e32 v3, 0x7c, v2
	v_and_b32_e32 v23, 3, v2
	v_cmp_ne_u32_e32 vcc, s53, v3
                                        ; implicit-def: $vgpr22
	s_and_saveexec_b64 s[88:89], vcc
	s_xor_b64 s[88:89], exec, s[88:89]
	s_cbranch_execz .LBB6_1609
; %bb.1608:                             ;   in Loop: Header=BB6_129 Depth=2
	v_ffbh_u32_e32 v27, v23
	v_min_u32_e32 v27, 32, v27
	v_mov_b32_e32 v3, v28
	v_subrev_u32_e32 v32, 29, v27
	v_bfe_u32 v22, v2, 2, 5
	v_lshlrev_b64 v[2:3], v32, v[2:3]
	v_sub_u32_e32 v3, 30, v27
	v_cmp_eq_u32_e32 vcc, 0, v22
	v_cndmask_b32_e32 v3, v22, v3, vcc
	v_lshlrev_b32_e32 v22, 16, v24
	v_and_b32_e32 v2, 3, v2
	v_and_b32_e32 v22, 0x80000000, v22
	v_cndmask_b32_e32 v2, v23, v2, vcc
	v_lshl_add_u32 v3, v3, 23, v22
	v_lshl_or_b32 v2, v2, 21, v3
	v_add_u32_e32 v22, 0x38000000, v2
                                        ; implicit-def: $vgpr23
.LBB6_1609:                             ;   in Loop: Header=BB6_129 Depth=2
	s_andn2_saveexec_b64 s[88:89], s[88:89]
; %bb.1610:                             ;   in Loop: Header=BB6_129 Depth=2
	v_cmp_lt_i16_e32 vcc, -1, v24
	v_mov_b32_e32 v2, 0xff800000
	v_mov_b32_e32 v3, 0x7f800000
	v_cndmask_b32_e32 v2, v2, v3, vcc
	v_cmp_eq_u32_e32 vcc, 0, v23
	v_mov_b32_e32 v3, 0x7f800001
	v_cndmask_b32_e32 v22, v3, v2, vcc
; %bb.1611:                             ;   in Loop: Header=BB6_129 Depth=2
	s_or_b64 exec, exec, s[88:89]
.LBB6_1612:                             ;   in Loop: Header=BB6_129 Depth=2
	s_or_b64 exec, exec, s[78:79]
.LBB6_1613:                             ;   in Loop: Header=BB6_129 Depth=2
	s_or_b64 exec, exec, s[20:21]
	v_lshrrev_b16_e32 v2, 8, v20
	v_cmp_ne_u16_e32 vcc, 0, v2
	s_and_saveexec_b64 s[20:21], vcc
	s_cbranch_execz .LBB6_1621
; %bb.1614:                             ;   in Loop: Header=BB6_129 Depth=2
	v_cmp_ne_u16_e32 vcc, s55, v2
	v_bfrev_b32_e32 v4, 1
	s_and_saveexec_b64 s[78:79], vcc
	s_cbranch_execz .LBB6_1620
; %bb.1615:                             ;   in Loop: Header=BB6_129 Depth=2
	v_and_b32_e32 v3, 0x7c, v2
	v_and_b32_e32 v23, 3, v2
	v_cmp_ne_u32_e32 vcc, s53, v3
                                        ; implicit-def: $vgpr4
	s_and_saveexec_b64 s[88:89], vcc
	s_xor_b64 s[88:89], exec, s[88:89]
	s_cbranch_execz .LBB6_1617
; %bb.1616:                             ;   in Loop: Header=BB6_129 Depth=2
	v_ffbh_u32_e32 v27, v23
	v_min_u32_e32 v27, 32, v27
	v_mov_b32_e32 v3, v28
	v_subrev_u32_e32 v32, 29, v27
	v_bfe_u32 v4, v2, 2, 5
	v_lshlrev_b64 v[2:3], v32, v[2:3]
	v_sub_u32_e32 v3, 30, v27
	v_cmp_eq_u32_e32 vcc, 0, v4
	v_cndmask_b32_e32 v3, v4, v3, vcc
	v_lshlrev_b32_e32 v4, 16, v20
	v_and_b32_e32 v2, 3, v2
	v_and_b32_e32 v4, 0x80000000, v4
	v_cndmask_b32_e32 v2, v23, v2, vcc
	v_lshl_add_u32 v3, v3, 23, v4
	v_lshl_or_b32 v2, v2, 21, v3
	v_add_u32_e32 v4, 0x38000000, v2
                                        ; implicit-def: $vgpr23
.LBB6_1617:                             ;   in Loop: Header=BB6_129 Depth=2
	s_andn2_saveexec_b64 s[88:89], s[88:89]
; %bb.1618:                             ;   in Loop: Header=BB6_129 Depth=2
	v_cmp_lt_i16_e32 vcc, -1, v20
	v_mov_b32_e32 v2, 0xff800000
	v_mov_b32_e32 v3, 0x7f800000
	v_cndmask_b32_e32 v2, v2, v3, vcc
	v_cmp_eq_u32_e32 vcc, 0, v23
	v_mov_b32_e32 v3, 0x7f800001
	v_cndmask_b32_e32 v4, v3, v2, vcc
; %bb.1619:                             ;   in Loop: Header=BB6_129 Depth=2
	s_or_b64 exec, exec, s[88:89]
.LBB6_1620:                             ;   in Loop: Header=BB6_129 Depth=2
	s_or_b64 exec, exec, s[78:79]
.LBB6_1621:                             ;   in Loop: Header=BB6_129 Depth=2
	s_or_b64 exec, exec, s[20:21]
	v_mul_f32_e32 v2, v22, v4
	v_and_b32_e32 v3, 0x7f800000, v2
	v_mov_b32_e32 v4, v28
	v_cmp_ne_u64_e32 vcc, s[60:61], v[3:4]
	v_and_b32_e32 v27, 0x7fffff, v2
                                        ; implicit-def: $vgpr22
	s_and_saveexec_b64 s[20:21], vcc
	s_xor_b64 s[78:79], exec, s[20:21]
	s_cbranch_execz .LBB6_1635
; %bb.1622:                             ;   in Loop: Header=BB6_129 Depth=2
	v_and_b32_e32 v3, 0x7fffffff, v2
	v_mov_b32_e32 v4, v28
	v_cmp_gt_u64_e32 vcc, s[62:63], v[3:4]
	v_and_b32_sdwa v23, v2, s55 dst_sel:DWORD dst_unused:UNUSED_PAD src0_sel:BYTE_3 src1_sel:DWORD
                                        ; implicit-def: $vgpr22
	s_and_saveexec_b64 s[20:21], vcc
	s_xor_b64 s[88:89], exec, s[20:21]
	s_cbranch_execz .LBB6_1632
; %bb.1623:                             ;   in Loop: Header=BB6_129 Depth=2
	v_mov_b32_e32 v22, 0
	v_cmp_ne_u32_e32 vcc, 0, v2
	s_and_saveexec_b64 s[90:91], vcc
	s_cbranch_execz .LBB6_1631
; %bb.1624:                             ;   in Loop: Header=BB6_129 Depth=2
	v_bfe_u32 v22, v2, 23, 8
	v_cmp_gt_u32_e64 s[20:21], s64, v22
	v_sub_u32_e32 v2, 0x71, v22
	v_cmp_eq_u32_e32 vcc, 0, v22
	v_cndmask_b32_e64 v2, 0, v2, s[20:21]
	v_mov_b32_e32 v4, 0x70
	v_cndmask_b32_e32 v36, v2, v4, vcc
	v_add_u32_e32 v4, 21, v36
	v_or_b32_e32 v3, 0x800000, v27
	v_lshlrev_b64 v[37:38], v4, -1
	v_cndmask_b32_e32 v2, v3, v27, vcc
	v_mov_b32_e32 v3, v28
	v_add_u32_e32 v4, 20, v36
	v_bfi_b32 v37, v37, 0, v2
	v_lshlrev_b64 v[48:49], v4, 1
	v_lshrrev_b64 v[2:3], v36, v[2:3]
	v_bfi_b32 v38, v38, 0, 0
	v_cmp_eq_u64_e64 s[20:21], v[37:38], v[48:49]
	v_mov_b32_e32 v4, v3
	v_mov_b32_e32 v3, v2
	s_and_saveexec_b64 s[92:93], s[20:21]
; %bb.1625:                             ;   in Loop: Header=BB6_129 Depth=2
	v_bfe_u32 v3, v2, 21, 1
	v_add_co_u32_e64 v3, s[20:21], v2, v3
	v_add_co_u32_e64 v3, s[20:21], -1, v3
; %bb.1626:                             ;   in Loop: Header=BB6_129 Depth=2
	s_or_b64 exec, exec, s[92:93]
	v_add_u32_e32 v4, 0xffffff81, v22
	v_mov_b32_e32 v22, 0xffffff82
	v_cndmask_b32_e32 v4, v4, v22, vcc
	v_lshrrev_b32_e32 v22, 23, v2
	v_add3_u32 v36, v36, v4, v22
	v_add_u32_e32 v22, 14, v36
	v_and_b32_e32 v3, 0x1fffff, v3
	v_add_u32_e32 v27, v3, v2
	v_cmp_ne_u32_e32 vcc, 0, v22
                                        ; implicit-def: $vgpr2_vgpr3
                                        ; implicit-def: $vgpr4
	s_and_saveexec_b64 s[20:21], vcc
	s_xor_b64 s[20:21], exec, s[20:21]
; %bb.1627:                             ;   in Loop: Header=BB6_129 Depth=2
	v_cmp_lt_u64_e32 vcc, s[72:73], v[27:28]
	v_add_u32_e32 v2, 15, v36
	v_cndmask_b32_e32 v4, v22, v2, vcc
	v_cndmask_b32_e64 v2, 0, 1, vcc
	v_lshrrev_b64 v[2:3], v2, v[27:28]
; %bb.1628:                             ;   in Loop: Header=BB6_129 Depth=2
	s_andn2_saveexec_b64 s[20:21], s[20:21]
; %bb.1629:                             ;   in Loop: Header=BB6_129 Depth=2
	v_mov_b32_e32 v2, v27
	v_mov_b32_e32 v3, v28
	v_bfe_u32 v4, v27, 23, 1
; %bb.1630:                             ;   in Loop: Header=BB6_129 Depth=2
	s_or_b64 exec, exec, s[20:21]
	v_lshrrev_b64 v[2:3], 21, v[2:3]
	v_cmp_gt_i32_e32 vcc, 32, v4
	v_cndmask_b32_e32 v3, 0, v3, vcc
	v_cndmask_b32_e32 v2, 3, v2, vcc
	v_cmp_eq_u64_e64 s[20:21], 0, v[2:3]
	v_min_i32_e32 v3, 31, v4
	v_lshlrev_b32_e32 v3, 2, v3
	v_cmp_eq_u32_e32 vcc, 0, v4
	v_and_b32_e32 v3, 0xfc, v3
	v_and_or_b32 v2, v2, 3, v3
	s_and_b64 s[20:21], vcc, s[20:21]
	v_cndmask_b32_e64 v2, v2, 0, s[20:21]
	v_or_b32_e32 v22, v2, v23
.LBB6_1631:                             ;   in Loop: Header=BB6_129 Depth=2
	s_or_b64 exec, exec, s[90:91]
                                        ; implicit-def: $vgpr23
.LBB6_1632:                             ;   in Loop: Header=BB6_129 Depth=2
	s_andn2_saveexec_b64 s[20:21], s[88:89]
; %bb.1633:                             ;   in Loop: Header=BB6_129 Depth=2
	v_or_b32_e32 v22, 0x7b, v23
; %bb.1634:                             ;   in Loop: Header=BB6_129 Depth=2
	s_or_b64 exec, exec, s[20:21]
                                        ; implicit-def: $vgpr2
.LBB6_1635:                             ;   in Loop: Header=BB6_129 Depth=2
	s_andn2_saveexec_b64 s[20:21], s[78:79]
	s_cbranch_execz .LBB6_1641
; %bb.1636:                             ;   in Loop: Header=BB6_129 Depth=2
	v_cmp_ne_u64_e32 vcc, 0, v[27:28]
                                        ; implicit-def: $vgpr22
	s_and_saveexec_b64 s[78:79], vcc
	s_xor_b64 s[78:79], exec, s[78:79]
; %bb.1637:                             ;   in Loop: Header=BB6_129 Depth=2
	v_or_b32_sdwa v22, v2, s65 dst_sel:DWORD dst_unused:UNUSED_PAD src0_sel:BYTE_3 src1_sel:DWORD
                                        ; implicit-def: $vgpr2
; %bb.1638:                             ;   in Loop: Header=BB6_129 Depth=2
	s_andn2_saveexec_b64 s[78:79], s[78:79]
; %bb.1639:                             ;   in Loop: Header=BB6_129 Depth=2
	v_cmp_lt_i32_e32 vcc, -1, v2
	v_bfrev_b32_e32 v2, 0.5
	v_mov_b32_e32 v3, 0x7c
	v_cndmask_b32_e32 v22, v2, v3, vcc
; %bb.1640:                             ;   in Loop: Header=BB6_129 Depth=2
	s_or_b64 exec, exec, s[78:79]
.LBB6_1641:                             ;   in Loop: Header=BB6_129 Depth=2
	s_or_b64 exec, exec, s[20:21]
	v_lshrrev_b32_e32 v2, 16, v24
	v_cmp_ne_u16_sdwa s[78:79], v2, v28 src0_sel:BYTE_0 src1_sel:DWORD
	v_mov_b32_e32 v3, 0
	v_mov_b32_e32 v4, 0
	s_and_saveexec_b64 s[20:21], s[78:79]
	s_cbranch_execz .LBB6_1649
; %bb.1642:                             ;   in Loop: Header=BB6_129 Depth=2
	v_cmp_ne_u16_sdwa s[88:89], v2, s55 src0_sel:BYTE_0 src1_sel:DWORD
	v_bfrev_b32_e32 v4, 1
	s_and_saveexec_b64 s[78:79], s[88:89]
	s_cbranch_execz .LBB6_1648
; %bb.1643:                             ;   in Loop: Header=BB6_129 Depth=2
	v_and_b32_e32 v4, 0x7c0000, v24
	v_bfe_u32 v23, v24, 16, 2
	v_cmp_ne_u32_e32 vcc, s66, v4
                                        ; implicit-def: $vgpr4
	s_and_saveexec_b64 s[88:89], vcc
	s_xor_b64 s[88:89], exec, s[88:89]
	s_cbranch_execz .LBB6_1645
; %bb.1644:                             ;   in Loop: Header=BB6_129 Depth=2
	v_ffbh_u32_e32 v27, v23
	v_min_u32_e32 v27, 32, v27
	v_subrev_u32_e32 v32, 29, v27
	v_lshlrev_b64 v[36:37], v32, v[2:3]
	v_bfe_u32 v4, v24, 18, 5
	v_sub_u32_e32 v2, 30, v27
	v_and_b32_e32 v27, 3, v36
	v_cmp_eq_u32_e32 vcc, 0, v4
	v_cndmask_b32_e32 v2, v4, v2, vcc
	v_cndmask_b32_e32 v4, v23, v27, vcc
	v_lshlrev_b32_e32 v23, 8, v24
	v_and_b32_e32 v23, 0x80000000, v23
	v_lshl_add_u32 v2, v2, 23, v23
	v_lshl_or_b32 v2, v4, 21, v2
	v_add_u32_e32 v4, 0x38000000, v2
                                        ; implicit-def: $vgpr23
                                        ; implicit-def: $vgpr2
.LBB6_1645:                             ;   in Loop: Header=BB6_129 Depth=2
	s_andn2_saveexec_b64 s[88:89], s[88:89]
; %bb.1646:                             ;   in Loop: Header=BB6_129 Depth=2
	v_mov_b32_e32 v4, -1
	v_cmp_gt_i16_sdwa vcc, sext(v2), v4 src0_sel:BYTE_0 src1_sel:DWORD
	v_mov_b32_e32 v2, 0xff800000
	v_mov_b32_e32 v4, 0x7f800000
	v_cndmask_b32_e32 v2, v2, v4, vcc
	v_cmp_eq_u32_e32 vcc, 0, v23
	v_mov_b32_e32 v4, 0x7f800001
	v_cndmask_b32_e32 v4, v4, v2, vcc
; %bb.1647:                             ;   in Loop: Header=BB6_129 Depth=2
	s_or_b64 exec, exec, s[88:89]
.LBB6_1648:                             ;   in Loop: Header=BB6_129 Depth=2
	s_or_b64 exec, exec, s[78:79]
.LBB6_1649:                             ;   in Loop: Header=BB6_129 Depth=2
	s_or_b64 exec, exec, s[20:21]
	v_lshrrev_b32_e32 v2, 16, v20
	v_cmp_ne_u16_sdwa s[78:79], v2, v28 src0_sel:BYTE_0 src1_sel:DWORD
	s_and_saveexec_b64 s[20:21], s[78:79]
	s_cbranch_execz .LBB6_1657
; %bb.1650:                             ;   in Loop: Header=BB6_129 Depth=2
	v_cmp_ne_u16_sdwa s[88:89], v2, s55 src0_sel:BYTE_0 src1_sel:DWORD
	v_bfrev_b32_e32 v3, 1
	s_and_saveexec_b64 s[78:79], s[88:89]
	s_cbranch_execz .LBB6_1656
; %bb.1651:                             ;   in Loop: Header=BB6_129 Depth=2
	v_and_b32_e32 v3, 0x7c0000, v20
	v_bfe_u32 v23, v20, 16, 2
	v_cmp_ne_u32_e32 vcc, s66, v3
                                        ; implicit-def: $vgpr3
	s_and_saveexec_b64 s[88:89], vcc
	s_xor_b64 s[88:89], exec, s[88:89]
	s_cbranch_execz .LBB6_1653
; %bb.1652:                             ;   in Loop: Header=BB6_129 Depth=2
	v_ffbh_u32_e32 v3, v23
	v_min_u32_e32 v32, 32, v3
	v_subrev_u32_e32 v3, 29, v32
	v_lshlrev_b64 v[2:3], v3, v[2:3]
	v_bfe_u32 v27, v20, 18, 5
	v_and_b32_e32 v2, 3, v2
	v_cmp_eq_u32_e32 vcc, 0, v27
	v_sub_u32_e32 v3, 30, v32
	v_cndmask_b32_e32 v2, v23, v2, vcc
	v_lshlrev_b32_e32 v23, 8, v20
	v_cndmask_b32_e32 v3, v27, v3, vcc
	v_and_b32_e32 v23, 0x80000000, v23
	v_lshl_add_u32 v3, v3, 23, v23
	v_lshl_or_b32 v2, v2, 21, v3
	v_add_u32_e32 v3, 0x38000000, v2
                                        ; implicit-def: $vgpr23
                                        ; implicit-def: $vgpr2
.LBB6_1653:                             ;   in Loop: Header=BB6_129 Depth=2
	s_andn2_saveexec_b64 s[88:89], s[88:89]
; %bb.1654:                             ;   in Loop: Header=BB6_129 Depth=2
	v_mov_b32_e32 v3, -1
	v_cmp_gt_i16_sdwa vcc, sext(v2), v3 src0_sel:BYTE_0 src1_sel:DWORD
	v_mov_b32_e32 v2, 0xff800000
	v_mov_b32_e32 v3, 0x7f800000
	v_cndmask_b32_e32 v2, v2, v3, vcc
	v_cmp_eq_u32_e32 vcc, 0, v23
	v_mov_b32_e32 v3, 0x7f800001
	v_cndmask_b32_e32 v3, v3, v2, vcc
; %bb.1655:                             ;   in Loop: Header=BB6_129 Depth=2
	s_or_b64 exec, exec, s[88:89]
.LBB6_1656:                             ;   in Loop: Header=BB6_129 Depth=2
	s_or_b64 exec, exec, s[78:79]
.LBB6_1657:                             ;   in Loop: Header=BB6_129 Depth=2
	s_or_b64 exec, exec, s[20:21]
	v_mul_f32_e32 v2, v4, v3
	v_and_b32_e32 v3, 0x7f800000, v2
	v_mov_b32_e32 v4, v28
	v_cmp_ne_u64_e32 vcc, s[60:61], v[3:4]
	v_and_b32_e32 v27, 0x7fffff, v2
                                        ; implicit-def: $vgpr23
	s_and_saveexec_b64 s[20:21], vcc
	s_xor_b64 s[78:79], exec, s[20:21]
	s_cbranch_execz .LBB6_1671
; %bb.1658:                             ;   in Loop: Header=BB6_129 Depth=2
	v_and_b32_e32 v3, 0x7fffffff, v2
	v_mov_b32_e32 v4, v28
	v_cmp_gt_u64_e32 vcc, s[62:63], v[3:4]
	v_and_b32_sdwa v36, v2, s55 dst_sel:DWORD dst_unused:UNUSED_PAD src0_sel:BYTE_3 src1_sel:DWORD
                                        ; implicit-def: $vgpr23
	s_and_saveexec_b64 s[20:21], vcc
	s_xor_b64 s[88:89], exec, s[20:21]
	s_cbranch_execz .LBB6_1668
; %bb.1659:                             ;   in Loop: Header=BB6_129 Depth=2
	v_mov_b32_e32 v23, 0
	v_cmp_ne_u32_e32 vcc, 0, v2
	s_and_saveexec_b64 s[90:91], vcc
	s_cbranch_execz .LBB6_1667
; %bb.1660:                             ;   in Loop: Header=BB6_129 Depth=2
	v_bfe_u32 v23, v2, 23, 8
	v_cmp_gt_u32_e64 s[20:21], s64, v23
	v_sub_u32_e32 v2, 0x71, v23
	v_cmp_eq_u32_e32 vcc, 0, v23
	v_cndmask_b32_e64 v2, 0, v2, s[20:21]
	v_mov_b32_e32 v4, 0x70
	v_cndmask_b32_e32 v37, v2, v4, vcc
	v_add_u32_e32 v4, 21, v37
	v_or_b32_e32 v3, 0x800000, v27
	v_lshlrev_b64 v[38:39], v4, -1
	v_cndmask_b32_e32 v2, v3, v27, vcc
	v_mov_b32_e32 v3, v28
	v_add_u32_e32 v4, 20, v37
	v_bfi_b32 v38, v38, 0, v2
	v_lshlrev_b64 v[48:49], v4, 1
	v_lshrrev_b64 v[2:3], v37, v[2:3]
	v_bfi_b32 v39, v39, 0, 0
	v_cmp_eq_u64_e64 s[20:21], v[38:39], v[48:49]
	v_mov_b32_e32 v4, v3
	v_mov_b32_e32 v3, v2
	s_and_saveexec_b64 s[92:93], s[20:21]
; %bb.1661:                             ;   in Loop: Header=BB6_129 Depth=2
	v_bfe_u32 v3, v2, 21, 1
	v_add_co_u32_e64 v3, s[20:21], v2, v3
	v_add_co_u32_e64 v3, s[20:21], -1, v3
; %bb.1662:                             ;   in Loop: Header=BB6_129 Depth=2
	s_or_b64 exec, exec, s[92:93]
	v_add_u32_e32 v4, 0xffffff81, v23
	v_mov_b32_e32 v23, 0xffffff82
	v_cndmask_b32_e32 v4, v4, v23, vcc
	v_lshrrev_b32_e32 v23, 23, v2
	v_add3_u32 v37, v37, v4, v23
	v_add_u32_e32 v23, 14, v37
	v_and_b32_e32 v3, 0x1fffff, v3
	v_add_u32_e32 v27, v3, v2
	v_cmp_ne_u32_e32 vcc, 0, v23
                                        ; implicit-def: $vgpr2_vgpr3
                                        ; implicit-def: $vgpr4
	s_and_saveexec_b64 s[20:21], vcc
	s_xor_b64 s[20:21], exec, s[20:21]
; %bb.1663:                             ;   in Loop: Header=BB6_129 Depth=2
	v_cmp_lt_u64_e32 vcc, s[72:73], v[27:28]
	v_add_u32_e32 v2, 15, v37
	v_cndmask_b32_e32 v4, v23, v2, vcc
	v_cndmask_b32_e64 v2, 0, 1, vcc
	v_lshrrev_b64 v[2:3], v2, v[27:28]
; %bb.1664:                             ;   in Loop: Header=BB6_129 Depth=2
	s_andn2_saveexec_b64 s[20:21], s[20:21]
; %bb.1665:                             ;   in Loop: Header=BB6_129 Depth=2
	v_mov_b32_e32 v2, v27
	v_mov_b32_e32 v3, v28
	v_bfe_u32 v4, v27, 23, 1
; %bb.1666:                             ;   in Loop: Header=BB6_129 Depth=2
	s_or_b64 exec, exec, s[20:21]
	v_lshrrev_b64 v[2:3], 21, v[2:3]
	v_cmp_gt_i32_e32 vcc, 32, v4
	v_cndmask_b32_e32 v3, 0, v3, vcc
	v_cndmask_b32_e32 v2, 3, v2, vcc
	v_cmp_eq_u64_e64 s[20:21], 0, v[2:3]
	v_min_i32_e32 v3, 31, v4
	v_lshlrev_b32_e32 v3, 2, v3
	v_cmp_eq_u32_e32 vcc, 0, v4
	v_and_b32_e32 v3, 0xfc, v3
	v_and_or_b32 v2, v2, 3, v3
	s_and_b64 s[20:21], vcc, s[20:21]
	v_cndmask_b32_e64 v2, v2, 0, s[20:21]
	v_or_b32_e32 v23, v2, v36
.LBB6_1667:                             ;   in Loop: Header=BB6_129 Depth=2
	s_or_b64 exec, exec, s[90:91]
                                        ; implicit-def: $vgpr36
.LBB6_1668:                             ;   in Loop: Header=BB6_129 Depth=2
	s_andn2_saveexec_b64 s[20:21], s[88:89]
; %bb.1669:                             ;   in Loop: Header=BB6_129 Depth=2
	v_or_b32_e32 v23, 0x7b, v36
; %bb.1670:                             ;   in Loop: Header=BB6_129 Depth=2
	s_or_b64 exec, exec, s[20:21]
                                        ; implicit-def: $vgpr2
.LBB6_1671:                             ;   in Loop: Header=BB6_129 Depth=2
	s_andn2_saveexec_b64 s[20:21], s[78:79]
	s_cbranch_execz .LBB6_1677
; %bb.1672:                             ;   in Loop: Header=BB6_129 Depth=2
	v_cmp_ne_u64_e32 vcc, 0, v[27:28]
                                        ; implicit-def: $vgpr23
	s_and_saveexec_b64 s[78:79], vcc
	s_xor_b64 s[78:79], exec, s[78:79]
; %bb.1673:                             ;   in Loop: Header=BB6_129 Depth=2
	v_or_b32_sdwa v23, v2, s65 dst_sel:DWORD dst_unused:UNUSED_PAD src0_sel:BYTE_3 src1_sel:DWORD
                                        ; implicit-def: $vgpr2
; %bb.1674:                             ;   in Loop: Header=BB6_129 Depth=2
	s_andn2_saveexec_b64 s[78:79], s[78:79]
; %bb.1675:                             ;   in Loop: Header=BB6_129 Depth=2
	v_cmp_lt_i32_e32 vcc, -1, v2
	v_bfrev_b32_e32 v2, 0.5
	v_mov_b32_e32 v3, 0x7c
	v_cndmask_b32_e32 v23, v2, v3, vcc
; %bb.1676:                             ;   in Loop: Header=BB6_129 Depth=2
	s_or_b64 exec, exec, s[78:79]
.LBB6_1677:                             ;   in Loop: Header=BB6_129 Depth=2
	s_or_b64 exec, exec, s[20:21]
	v_cmp_lt_u32_e32 vcc, s59, v24
	v_mov_b32_e32 v3, 0
	v_mov_b32_e32 v4, 0
	s_and_saveexec_b64 s[20:21], vcc
	s_cbranch_execz .LBB6_1685
; %bb.1678:                             ;   in Loop: Header=BB6_129 Depth=2
	v_lshrrev_b32_e32 v2, 24, v24
	v_cmp_ne_u32_e32 vcc, s55, v2
	v_bfrev_b32_e32 v4, 1
	s_and_saveexec_b64 s[78:79], vcc
	s_cbranch_execz .LBB6_1684
; %bb.1679:                             ;   in Loop: Header=BB6_129 Depth=2
	v_and_b32_e32 v4, 0x7c000000, v24
	v_bfe_u32 v27, v24, 24, 2
	v_cmp_ne_u32_e32 vcc, s67, v4
                                        ; implicit-def: $vgpr4
	s_and_saveexec_b64 s[88:89], vcc
	s_xor_b64 s[88:89], exec, s[88:89]
	s_cbranch_execz .LBB6_1681
; %bb.1680:                             ;   in Loop: Header=BB6_129 Depth=2
	v_ffbh_u32_e32 v32, v27
	v_min_u32_e32 v32, 32, v32
	v_subrev_u32_e32 v33, 29, v32
	v_lshlrev_b64 v[36:37], v33, v[2:3]
	v_bfe_u32 v4, v24, 26, 5
	v_sub_u32_e32 v2, 30, v32
	v_and_b32_e32 v32, 3, v36
	v_cmp_eq_u32_e32 vcc, 0, v4
	v_cndmask_b32_e32 v2, v4, v2, vcc
	v_cndmask_b32_e32 v4, v27, v32, vcc
	v_and_b32_e32 v27, 0x80000000, v24
	v_lshl_add_u32 v2, v2, 23, v27
	v_lshl_or_b32 v2, v4, 21, v2
	v_add_u32_e32 v4, 0x38000000, v2
                                        ; implicit-def: $vgpr27
.LBB6_1681:                             ;   in Loop: Header=BB6_129 Depth=2
	s_andn2_saveexec_b64 s[88:89], s[88:89]
; %bb.1682:                             ;   in Loop: Header=BB6_129 Depth=2
	v_cmp_lt_i32_e32 vcc, -1, v24
	v_mov_b32_e32 v2, 0xff800000
	v_mov_b32_e32 v4, 0x7f800000
	v_cndmask_b32_e32 v2, v2, v4, vcc
	v_cmp_eq_u32_e32 vcc, 0, v27
	v_mov_b32_e32 v4, 0x7f800001
	v_cndmask_b32_e32 v4, v4, v2, vcc
; %bb.1683:                             ;   in Loop: Header=BB6_129 Depth=2
	s_or_b64 exec, exec, s[88:89]
.LBB6_1684:                             ;   in Loop: Header=BB6_129 Depth=2
	s_or_b64 exec, exec, s[78:79]
.LBB6_1685:                             ;   in Loop: Header=BB6_129 Depth=2
	s_or_b64 exec, exec, s[20:21]
	v_cmp_lt_u32_e32 vcc, s59, v20
	s_and_saveexec_b64 s[20:21], vcc
	s_cbranch_execz .LBB6_1693
; %bb.1686:                             ;   in Loop: Header=BB6_129 Depth=2
	v_lshrrev_b32_e32 v2, 24, v20
	v_cmp_ne_u32_e32 vcc, s55, v2
	v_bfrev_b32_e32 v3, 1
	s_and_saveexec_b64 s[78:79], vcc
	s_cbranch_execz .LBB6_1692
; %bb.1687:                             ;   in Loop: Header=BB6_129 Depth=2
	v_and_b32_e32 v3, 0x7c000000, v20
	v_bfe_u32 v27, v20, 24, 2
	v_cmp_ne_u32_e32 vcc, s67, v3
                                        ; implicit-def: $vgpr3
	s_and_saveexec_b64 s[88:89], vcc
	s_xor_b64 s[88:89], exec, s[88:89]
	s_cbranch_execz .LBB6_1689
; %bb.1688:                             ;   in Loop: Header=BB6_129 Depth=2
	v_ffbh_u32_e32 v3, v27
	v_min_u32_e32 v33, 32, v3
	v_subrev_u32_e32 v3, 29, v33
	v_lshlrev_b64 v[2:3], v3, v[2:3]
	v_bfe_u32 v32, v20, 26, 5
	v_sub_u32_e32 v3, 30, v33
	v_and_b32_e32 v2, 3, v2
	v_cmp_eq_u32_e32 vcc, 0, v32
	v_cndmask_b32_e32 v3, v32, v3, vcc
	v_cndmask_b32_e32 v2, v27, v2, vcc
	v_and_b32_e32 v27, 0x80000000, v20
	v_lshl_add_u32 v3, v3, 23, v27
	v_lshl_or_b32 v2, v2, 21, v3
	v_add_u32_e32 v3, 0x38000000, v2
                                        ; implicit-def: $vgpr27
.LBB6_1689:                             ;   in Loop: Header=BB6_129 Depth=2
	s_andn2_saveexec_b64 s[88:89], s[88:89]
; %bb.1690:                             ;   in Loop: Header=BB6_129 Depth=2
	v_cmp_lt_i32_e32 vcc, -1, v20
	v_mov_b32_e32 v2, 0xff800000
	v_mov_b32_e32 v3, 0x7f800000
	v_cndmask_b32_e32 v2, v2, v3, vcc
	v_cmp_eq_u32_e32 vcc, 0, v27
	v_mov_b32_e32 v3, 0x7f800001
	v_cndmask_b32_e32 v3, v3, v2, vcc
; %bb.1691:                             ;   in Loop: Header=BB6_129 Depth=2
	s_or_b64 exec, exec, s[88:89]
.LBB6_1692:                             ;   in Loop: Header=BB6_129 Depth=2
	s_or_b64 exec, exec, s[78:79]
.LBB6_1693:                             ;   in Loop: Header=BB6_129 Depth=2
	s_or_b64 exec, exec, s[20:21]
	v_mul_f32_e32 v2, v4, v3
	v_and_b32_e32 v3, 0x7f800000, v2
	v_mov_b32_e32 v4, v28
	v_cmp_ne_u64_e32 vcc, s[60:61], v[3:4]
	v_and_b32_e32 v27, 0x7fffff, v2
                                        ; implicit-def: $vgpr54
	s_and_saveexec_b64 s[20:21], vcc
	s_xor_b64 s[78:79], exec, s[20:21]
	s_cbranch_execz .LBB6_1707
; %bb.1694:                             ;   in Loop: Header=BB6_129 Depth=2
	v_and_b32_e32 v3, 0x7fffffff, v2
	v_mov_b32_e32 v4, v28
	v_cmp_gt_u64_e32 vcc, s[62:63], v[3:4]
	v_and_b32_sdwa v36, v2, s55 dst_sel:DWORD dst_unused:UNUSED_PAD src0_sel:BYTE_3 src1_sel:DWORD
                                        ; implicit-def: $vgpr54
	s_and_saveexec_b64 s[20:21], vcc
	s_xor_b64 s[88:89], exec, s[20:21]
	s_cbranch_execz .LBB6_1704
; %bb.1695:                             ;   in Loop: Header=BB6_129 Depth=2
	v_mov_b32_e32 v54, 0
	v_cmp_ne_u32_e32 vcc, 0, v2
	s_and_saveexec_b64 s[90:91], vcc
	s_cbranch_execz .LBB6_1703
; %bb.1696:                             ;   in Loop: Header=BB6_129 Depth=2
	v_bfe_u32 v37, v2, 23, 8
	v_cmp_gt_u32_e64 s[20:21], s64, v37
	v_sub_u32_e32 v2, 0x71, v37
	v_cmp_eq_u32_e32 vcc, 0, v37
	v_cndmask_b32_e64 v2, 0, v2, s[20:21]
	v_mov_b32_e32 v4, 0x70
	v_cndmask_b32_e32 v38, v2, v4, vcc
	v_add_u32_e32 v4, 21, v38
	v_or_b32_e32 v3, 0x800000, v27
	v_lshlrev_b64 v[48:49], v4, -1
	v_cndmask_b32_e32 v2, v3, v27, vcc
	v_mov_b32_e32 v3, v28
	v_add_u32_e32 v4, 20, v38
	v_bfi_b32 v48, v48, 0, v2
	v_lshlrev_b64 v[54:55], v4, 1
	v_lshrrev_b64 v[2:3], v38, v[2:3]
	v_bfi_b32 v49, v49, 0, 0
	v_cmp_eq_u64_e64 s[20:21], v[48:49], v[54:55]
	v_mov_b32_e32 v4, v3
	v_mov_b32_e32 v3, v2
	s_and_saveexec_b64 s[92:93], s[20:21]
; %bb.1697:                             ;   in Loop: Header=BB6_129 Depth=2
	v_bfe_u32 v3, v2, 21, 1
	v_add_co_u32_e64 v3, s[20:21], v2, v3
	v_add_co_u32_e64 v3, s[20:21], -1, v3
; %bb.1698:                             ;   in Loop: Header=BB6_129 Depth=2
	s_or_b64 exec, exec, s[92:93]
	v_add_u32_e32 v4, 0xffffff81, v37
	v_mov_b32_e32 v27, 0xffffff82
	v_cndmask_b32_e32 v4, v4, v27, vcc
	v_lshrrev_b32_e32 v27, 23, v2
	v_add3_u32 v38, v38, v4, v27
	v_add_u32_e32 v37, 14, v38
	v_and_b32_e32 v3, 0x1fffff, v3
	v_add_u32_e32 v27, v3, v2
	v_cmp_ne_u32_e32 vcc, 0, v37
                                        ; implicit-def: $vgpr2_vgpr3
                                        ; implicit-def: $vgpr4
	s_and_saveexec_b64 s[20:21], vcc
	s_xor_b64 s[20:21], exec, s[20:21]
; %bb.1699:                             ;   in Loop: Header=BB6_129 Depth=2
	v_cmp_lt_u64_e32 vcc, s[72:73], v[27:28]
	v_add_u32_e32 v2, 15, v38
	v_cndmask_b32_e32 v4, v37, v2, vcc
	v_cndmask_b32_e64 v2, 0, 1, vcc
	v_lshrrev_b64 v[2:3], v2, v[27:28]
; %bb.1700:                             ;   in Loop: Header=BB6_129 Depth=2
	s_andn2_saveexec_b64 s[20:21], s[20:21]
; %bb.1701:                             ;   in Loop: Header=BB6_129 Depth=2
	v_mov_b32_e32 v2, v27
	v_mov_b32_e32 v3, v28
	v_bfe_u32 v4, v27, 23, 1
; %bb.1702:                             ;   in Loop: Header=BB6_129 Depth=2
	s_or_b64 exec, exec, s[20:21]
	v_lshrrev_b64 v[2:3], 21, v[2:3]
	v_cmp_gt_i32_e32 vcc, 32, v4
	v_cndmask_b32_e32 v3, 0, v3, vcc
	v_cndmask_b32_e32 v2, 3, v2, vcc
	v_cmp_eq_u64_e64 s[20:21], 0, v[2:3]
	v_min_i32_e32 v3, 31, v4
	v_lshlrev_b32_e32 v3, 2, v3
	v_cmp_eq_u32_e32 vcc, 0, v4
	v_and_b32_e32 v3, 0xfc, v3
	v_and_or_b32 v2, v2, 3, v3
	s_and_b64 s[20:21], vcc, s[20:21]
	v_cndmask_b32_e64 v2, v2, 0, s[20:21]
	v_or_b32_e32 v54, v2, v36
.LBB6_1703:                             ;   in Loop: Header=BB6_129 Depth=2
	s_or_b64 exec, exec, s[90:91]
                                        ; implicit-def: $vgpr36
.LBB6_1704:                             ;   in Loop: Header=BB6_129 Depth=2
	s_andn2_saveexec_b64 s[20:21], s[88:89]
; %bb.1705:                             ;   in Loop: Header=BB6_129 Depth=2
	v_or_b32_e32 v54, 0x7b, v36
; %bb.1706:                             ;   in Loop: Header=BB6_129 Depth=2
	s_or_b64 exec, exec, s[20:21]
                                        ; implicit-def: $vgpr2
.LBB6_1707:                             ;   in Loop: Header=BB6_129 Depth=2
	s_andn2_saveexec_b64 s[20:21], s[78:79]
	s_cbranch_execz .LBB6_1713
; %bb.1708:                             ;   in Loop: Header=BB6_129 Depth=2
	v_cmp_ne_u64_e32 vcc, 0, v[27:28]
                                        ; implicit-def: $vgpr54
	s_and_saveexec_b64 s[78:79], vcc
	s_xor_b64 s[78:79], exec, s[78:79]
; %bb.1709:                             ;   in Loop: Header=BB6_129 Depth=2
	v_or_b32_sdwa v54, v2, s65 dst_sel:DWORD dst_unused:UNUSED_PAD src0_sel:BYTE_3 src1_sel:DWORD
                                        ; implicit-def: $vgpr2
; %bb.1710:                             ;   in Loop: Header=BB6_129 Depth=2
	s_andn2_saveexec_b64 s[78:79], s[78:79]
; %bb.1711:                             ;   in Loop: Header=BB6_129 Depth=2
	v_cmp_lt_i32_e32 vcc, -1, v2
	v_bfrev_b32_e32 v2, 0.5
	v_mov_b32_e32 v3, 0x7c
	v_cndmask_b32_e32 v54, v2, v3, vcc
; %bb.1712:                             ;   in Loop: Header=BB6_129 Depth=2
	s_or_b64 exec, exec, s[78:79]
.LBB6_1713:                             ;   in Loop: Header=BB6_129 Depth=2
	s_or_b64 exec, exec, s[20:21]
	v_mov_b32_e32 v27, v25
	v_cmp_ne_u16_sdwa s[78:79], v25, v28 src0_sel:BYTE_0 src1_sel:DWORD
	v_mov_b32_e32 v3, 0
	v_mov_b32_e32 v2, 0
	s_and_saveexec_b64 s[20:21], s[78:79]
	s_cbranch_execz .LBB6_1721
; %bb.1714:                             ;   in Loop: Header=BB6_129 Depth=2
	v_cmp_ne_u16_sdwa s[88:89], v25, s55 src0_sel:BYTE_0 src1_sel:DWORD
	v_bfrev_b32_e32 v2, 1
	s_and_saveexec_b64 s[78:79], s[88:89]
	s_cbranch_execz .LBB6_1720
; %bb.1715:                             ;   in Loop: Header=BB6_129 Depth=2
	v_and_b32_e32 v2, 0x7c, v25
	v_and_b32_e32 v4, 3, v25
	v_cmp_ne_u32_e32 vcc, s53, v2
                                        ; implicit-def: $vgpr2
	s_and_saveexec_b64 s[88:89], vcc
	s_xor_b64 s[88:89], exec, s[88:89]
	s_cbranch_execz .LBB6_1717
; %bb.1716:                             ;   in Loop: Header=BB6_129 Depth=2
	v_ffbh_u32_e32 v32, v4
	v_min_u32_e32 v32, 32, v32
	v_bfe_u32 v2, v25, 2, 5
	v_subrev_u32_e32 v33, 29, v32
	v_lshlrev_b64 v[36:37], v33, v[27:28]
	v_sub_u32_e32 v32, 30, v32
	v_cmp_eq_u32_e32 vcc, 0, v2
	v_cndmask_b32_e32 v2, v2, v32, vcc
	v_lshlrev_b32_e32 v32, 24, v25
	v_and_b32_e32 v33, 3, v36
	v_and_b32_e32 v32, 0x80000000, v32
	v_cndmask_b32_e32 v4, v4, v33, vcc
	v_lshl_add_u32 v2, v2, 23, v32
	v_lshl_or_b32 v2, v4, 21, v2
	v_add_u32_e32 v2, 0x38000000, v2
                                        ; implicit-def: $vgpr4
.LBB6_1717:                             ;   in Loop: Header=BB6_129 Depth=2
	s_andn2_saveexec_b64 s[88:89], s[88:89]
; %bb.1718:                             ;   in Loop: Header=BB6_129 Depth=2
	v_mov_b32_e32 v2, -1
	v_cmp_gt_i16_sdwa vcc, sext(v25), v2 src0_sel:BYTE_0 src1_sel:DWORD
	v_mov_b32_e32 v2, 0xff800000
	v_mov_b32_e32 v32, 0x7f800000
	v_cndmask_b32_e32 v2, v2, v32, vcc
	v_cmp_eq_u32_e32 vcc, 0, v4
	v_mov_b32_e32 v4, 0x7f800001
	v_cndmask_b32_e32 v2, v4, v2, vcc
; %bb.1719:                             ;   in Loop: Header=BB6_129 Depth=2
	s_or_b64 exec, exec, s[88:89]
.LBB6_1720:                             ;   in Loop: Header=BB6_129 Depth=2
	s_or_b64 exec, exec, s[78:79]
.LBB6_1721:                             ;   in Loop: Header=BB6_129 Depth=2
	s_or_b64 exec, exec, s[20:21]
	v_cmp_ne_u16_sdwa s[78:79], v21, v28 src0_sel:BYTE_0 src1_sel:DWORD
	s_and_saveexec_b64 s[20:21], s[78:79]
	s_cbranch_execz .LBB6_1729
; %bb.1722:                             ;   in Loop: Header=BB6_129 Depth=2
	v_cmp_ne_u16_sdwa s[88:89], v21, s55 src0_sel:BYTE_0 src1_sel:DWORD
	v_bfrev_b32_e32 v3, 1
	s_and_saveexec_b64 s[78:79], s[88:89]
	s_cbranch_execz .LBB6_1728
; %bb.1723:                             ;   in Loop: Header=BB6_129 Depth=2
	v_and_b32_e32 v3, 0x7c, v21
	v_and_b32_e32 v4, 3, v21
	v_cmp_ne_u32_e32 vcc, s53, v3
                                        ; implicit-def: $vgpr3
	s_and_saveexec_b64 s[88:89], vcc
	s_xor_b64 s[88:89], exec, s[88:89]
	s_cbranch_execz .LBB6_1725
; %bb.1724:                             ;   in Loop: Header=BB6_129 Depth=2
	v_ffbh_u32_e32 v32, v4
	v_min_u32_e32 v32, 32, v32
	v_mov_b32_e32 v36, v21
	v_mov_b32_e32 v37, v28
	v_bfe_u32 v3, v21, 2, 5
	v_subrev_u32_e32 v33, 29, v32
	v_lshlrev_b64 v[36:37], v33, v[36:37]
	v_sub_u32_e32 v32, 30, v32
	v_cmp_eq_u32_e32 vcc, 0, v3
	v_cndmask_b32_e32 v3, v3, v32, vcc
	v_lshlrev_b32_e32 v32, 24, v21
	v_and_b32_e32 v33, 3, v36
	v_and_b32_e32 v32, 0x80000000, v32
	v_cndmask_b32_e32 v4, v4, v33, vcc
	v_lshl_add_u32 v3, v3, 23, v32
	v_lshl_or_b32 v3, v4, 21, v3
	v_add_u32_e32 v3, 0x38000000, v3
                                        ; implicit-def: $vgpr4
.LBB6_1725:                             ;   in Loop: Header=BB6_129 Depth=2
	s_andn2_saveexec_b64 s[88:89], s[88:89]
; %bb.1726:                             ;   in Loop: Header=BB6_129 Depth=2
	v_mov_b32_e32 v3, -1
	v_cmp_gt_i16_sdwa vcc, sext(v21), v3 src0_sel:BYTE_0 src1_sel:DWORD
	v_mov_b32_e32 v3, 0xff800000
	v_mov_b32_e32 v32, 0x7f800000
	v_cndmask_b32_e32 v3, v3, v32, vcc
	v_cmp_eq_u32_e32 vcc, 0, v4
	v_mov_b32_e32 v4, 0x7f800001
	v_cndmask_b32_e32 v3, v4, v3, vcc
; %bb.1727:                             ;   in Loop: Header=BB6_129 Depth=2
	s_or_b64 exec, exec, s[88:89]
.LBB6_1728:                             ;   in Loop: Header=BB6_129 Depth=2
	s_or_b64 exec, exec, s[78:79]
.LBB6_1729:                             ;   in Loop: Header=BB6_129 Depth=2
	s_or_b64 exec, exec, s[20:21]
	v_mul_f32_e32 v4, v2, v3
	v_and_b32_e32 v36, 0x7f800000, v4
	v_mov_b32_e32 v37, v28
	v_cmp_ne_u64_e32 vcc, s[60:61], v[36:37]
	v_and_b32_e32 v2, 0x7fffff, v4
	v_mov_b32_e32 v3, v28
                                        ; implicit-def: $vgpr55
	s_and_saveexec_b64 s[20:21], vcc
	s_xor_b64 s[78:79], exec, s[20:21]
	s_cbranch_execz .LBB6_1743
; %bb.1730:                             ;   in Loop: Header=BB6_129 Depth=2
	v_and_b32_e32 v36, 0x7fffffff, v4
	v_mov_b32_e32 v37, v28
	v_cmp_gt_u64_e32 vcc, s[62:63], v[36:37]
	v_and_b32_sdwa v36, v4, s55 dst_sel:DWORD dst_unused:UNUSED_PAD src0_sel:BYTE_3 src1_sel:DWORD
                                        ; implicit-def: $vgpr55
	s_and_saveexec_b64 s[20:21], vcc
	s_xor_b64 s[88:89], exec, s[20:21]
	s_cbranch_execz .LBB6_1740
; %bb.1731:                             ;   in Loop: Header=BB6_129 Depth=2
	v_mov_b32_e32 v55, 0
	v_cmp_ne_u32_e32 vcc, 0, v4
	s_and_saveexec_b64 s[90:91], vcc
	s_cbranch_execz .LBB6_1739
; %bb.1732:                             ;   in Loop: Header=BB6_129 Depth=2
	v_bfe_u32 v37, v4, 23, 8
	v_cmp_gt_u32_e64 s[20:21], s64, v37
	v_sub_u32_e32 v4, 0x71, v37
	v_cmp_eq_u32_e32 vcc, 0, v37
	v_cndmask_b32_e64 v4, 0, v4, s[20:21]
	v_mov_b32_e32 v33, 0x70
	v_cndmask_b32_e32 v38, v4, v33, vcc
	v_add_u32_e32 v4, 21, v38
	v_or_b32_e32 v32, 0x800000, v2
	v_lshlrev_b64 v[48:49], v4, -1
	v_cndmask_b32_e32 v2, v32, v2, vcc
	v_add_u32_e32 v4, 20, v38
	v_bfi_b32 v48, v48, 0, v2
	v_lshlrev_b64 v[39:40], v4, 1
	v_lshrrev_b64 v[2:3], v38, v[2:3]
	v_bfi_b32 v49, v49, 0, 0
	v_cmp_eq_u64_e64 s[20:21], v[48:49], v[39:40]
	v_mov_b32_e32 v4, v3
	v_mov_b32_e32 v3, v2
	s_and_saveexec_b64 s[92:93], s[20:21]
; %bb.1733:                             ;   in Loop: Header=BB6_129 Depth=2
	v_bfe_u32 v3, v2, 21, 1
	v_add_co_u32_e64 v3, s[20:21], v2, v3
	v_add_co_u32_e64 v3, s[20:21], -1, v3
; %bb.1734:                             ;   in Loop: Header=BB6_129 Depth=2
	s_or_b64 exec, exec, s[92:93]
	v_add_u32_e32 v4, 0xffffff81, v37
	v_mov_b32_e32 v32, 0xffffff82
	v_cndmask_b32_e32 v4, v4, v32, vcc
	v_lshrrev_b32_e32 v32, 23, v2
	v_add3_u32 v38, v38, v4, v32
	v_add_u32_e32 v37, 14, v38
	v_and_b32_e32 v3, 0x1fffff, v3
	v_add_u32_e32 v2, v3, v2
	v_mov_b32_e32 v3, v28
	v_cmp_ne_u32_e32 vcc, 0, v37
                                        ; implicit-def: $vgpr4
	s_and_saveexec_b64 s[20:21], vcc
	s_xor_b64 s[20:21], exec, s[20:21]
; %bb.1735:                             ;   in Loop: Header=BB6_129 Depth=2
	v_cmp_lt_u64_e32 vcc, s[72:73], v[2:3]
	v_add_u32_e32 v4, 15, v38
	v_cndmask_b32_e64 v32, 0, 1, vcc
	v_lshrrev_b64 v[2:3], v32, v[2:3]
	v_cndmask_b32_e32 v4, v37, v4, vcc
; %bb.1736:                             ;   in Loop: Header=BB6_129 Depth=2
	s_andn2_saveexec_b64 s[20:21], s[20:21]
; %bb.1737:                             ;   in Loop: Header=BB6_129 Depth=2
	v_bfe_u32 v4, v2, 23, 1
; %bb.1738:                             ;   in Loop: Header=BB6_129 Depth=2
	s_or_b64 exec, exec, s[20:21]
	v_lshrrev_b64 v[2:3], 21, v[2:3]
	v_cmp_gt_i32_e32 vcc, 32, v4
	v_cndmask_b32_e32 v3, 0, v3, vcc
	v_cndmask_b32_e32 v2, 3, v2, vcc
	v_cmp_eq_u64_e64 s[20:21], 0, v[2:3]
	v_min_i32_e32 v3, 31, v4
	v_lshlrev_b32_e32 v3, 2, v3
	v_cmp_eq_u32_e32 vcc, 0, v4
	v_and_b32_e32 v3, 0xfc, v3
	v_and_or_b32 v2, v2, 3, v3
	s_and_b64 s[20:21], vcc, s[20:21]
	v_cndmask_b32_e64 v2, v2, 0, s[20:21]
	v_or_b32_e32 v55, v2, v36
.LBB6_1739:                             ;   in Loop: Header=BB6_129 Depth=2
	s_or_b64 exec, exec, s[90:91]
                                        ; implicit-def: $vgpr36
.LBB6_1740:                             ;   in Loop: Header=BB6_129 Depth=2
	s_andn2_saveexec_b64 s[20:21], s[88:89]
; %bb.1741:                             ;   in Loop: Header=BB6_129 Depth=2
	v_or_b32_e32 v55, 0x7b, v36
; %bb.1742:                             ;   in Loop: Header=BB6_129 Depth=2
	s_or_b64 exec, exec, s[20:21]
                                        ; implicit-def: $vgpr4
                                        ; implicit-def: $vgpr2_vgpr3
.LBB6_1743:                             ;   in Loop: Header=BB6_129 Depth=2
	s_andn2_saveexec_b64 s[20:21], s[78:79]
	s_cbranch_execz .LBB6_1749
; %bb.1744:                             ;   in Loop: Header=BB6_129 Depth=2
	v_cmp_ne_u64_e32 vcc, 0, v[2:3]
                                        ; implicit-def: $vgpr55
	s_and_saveexec_b64 s[78:79], vcc
	s_xor_b64 s[78:79], exec, s[78:79]
; %bb.1745:                             ;   in Loop: Header=BB6_129 Depth=2
	v_or_b32_sdwa v55, v4, s65 dst_sel:DWORD dst_unused:UNUSED_PAD src0_sel:BYTE_3 src1_sel:DWORD
                                        ; implicit-def: $vgpr4
; %bb.1746:                             ;   in Loop: Header=BB6_129 Depth=2
	s_andn2_saveexec_b64 s[78:79], s[78:79]
; %bb.1747:                             ;   in Loop: Header=BB6_129 Depth=2
	v_cmp_lt_i32_e32 vcc, -1, v4
	v_bfrev_b32_e32 v2, 0.5
	v_mov_b32_e32 v3, 0x7c
	v_cndmask_b32_e32 v55, v2, v3, vcc
; %bb.1748:                             ;   in Loop: Header=BB6_129 Depth=2
	s_or_b64 exec, exec, s[78:79]
.LBB6_1749:                             ;   in Loop: Header=BB6_129 Depth=2
	s_or_b64 exec, exec, s[20:21]
	v_lshrrev_b16_e32 v2, 8, v27
	v_cmp_ne_u16_e32 vcc, 0, v2
	v_mov_b32_e32 v4, 0
	v_mov_b32_e32 v36, 0
	s_and_saveexec_b64 s[20:21], vcc
	s_cbranch_execz .LBB6_1757
; %bb.1750:                             ;   in Loop: Header=BB6_129 Depth=2
	v_cmp_ne_u16_e32 vcc, s55, v2
	v_bfrev_b32_e32 v36, 1
	s_and_saveexec_b64 s[78:79], vcc
	s_cbranch_execz .LBB6_1756
; %bb.1751:                             ;   in Loop: Header=BB6_129 Depth=2
	v_and_b32_e32 v3, 0x7c, v2
	v_and_b32_e32 v37, 3, v2
	v_cmp_ne_u32_e32 vcc, s53, v3
                                        ; implicit-def: $vgpr36
	s_and_saveexec_b64 s[88:89], vcc
	s_xor_b64 s[88:89], exec, s[88:89]
	s_cbranch_execz .LBB6_1753
; %bb.1752:                             ;   in Loop: Header=BB6_129 Depth=2
	v_ffbh_u32_e32 v33, v37
	v_min_u32_e32 v33, 32, v33
	v_mov_b32_e32 v3, v28
	v_subrev_u32_e32 v36, 29, v33
	v_bfe_u32 v32, v2, 2, 5
	v_lshlrev_b64 v[2:3], v36, v[2:3]
	v_sub_u32_e32 v3, 30, v33
	v_cmp_eq_u32_e32 vcc, 0, v32
	v_lshlrev_b32_e32 v27, 16, v27
	v_and_b32_e32 v2, 3, v2
	v_cndmask_b32_e32 v3, v32, v3, vcc
	v_and_b32_e32 v27, 0x80000000, v27
	v_cndmask_b32_e32 v2, v37, v2, vcc
	v_lshl_add_u32 v3, v3, 23, v27
	v_lshl_or_b32 v2, v2, 21, v3
	v_add_u32_e32 v36, 0x38000000, v2
                                        ; implicit-def: $vgpr37
.LBB6_1753:                             ;   in Loop: Header=BB6_129 Depth=2
	s_andn2_saveexec_b64 s[88:89], s[88:89]
; %bb.1754:                             ;   in Loop: Header=BB6_129 Depth=2
	v_cmp_lt_i16_e32 vcc, -1, v27
	v_mov_b32_e32 v2, 0xff800000
	v_mov_b32_e32 v3, 0x7f800000
	v_cndmask_b32_e32 v2, v2, v3, vcc
	v_cmp_eq_u32_e32 vcc, 0, v37
	v_mov_b32_e32 v3, 0x7f800001
	v_cndmask_b32_e32 v36, v3, v2, vcc
; %bb.1755:                             ;   in Loop: Header=BB6_129 Depth=2
	s_or_b64 exec, exec, s[88:89]
.LBB6_1756:                             ;   in Loop: Header=BB6_129 Depth=2
	s_or_b64 exec, exec, s[78:79]
.LBB6_1757:                             ;   in Loop: Header=BB6_129 Depth=2
	s_or_b64 exec, exec, s[20:21]
	v_lshrrev_b16_e32 v2, 8, v21
	v_cmp_ne_u16_e32 vcc, 0, v2
	s_and_saveexec_b64 s[20:21], vcc
	s_cbranch_execz .LBB6_1765
; %bb.1758:                             ;   in Loop: Header=BB6_129 Depth=2
	v_cmp_ne_u16_e32 vcc, s55, v2
	v_bfrev_b32_e32 v4, 1
	s_and_saveexec_b64 s[78:79], vcc
	s_cbranch_execz .LBB6_1764
; %bb.1759:                             ;   in Loop: Header=BB6_129 Depth=2
	v_and_b32_e32 v3, 0x7c, v2
	v_and_b32_e32 v27, 3, v2
	v_cmp_ne_u32_e32 vcc, s53, v3
                                        ; implicit-def: $vgpr4
	s_and_saveexec_b64 s[88:89], vcc
	s_xor_b64 s[88:89], exec, s[88:89]
	s_cbranch_execz .LBB6_1761
; %bb.1760:                             ;   in Loop: Header=BB6_129 Depth=2
	v_ffbh_u32_e32 v32, v27
	v_min_u32_e32 v32, 32, v32
	v_mov_b32_e32 v3, v28
	v_subrev_u32_e32 v33, 29, v32
	v_bfe_u32 v4, v2, 2, 5
	v_lshlrev_b64 v[2:3], v33, v[2:3]
	v_sub_u32_e32 v3, 30, v32
	v_cmp_eq_u32_e32 vcc, 0, v4
	v_cndmask_b32_e32 v3, v4, v3, vcc
	v_lshlrev_b32_e32 v4, 16, v21
	v_and_b32_e32 v2, 3, v2
	v_and_b32_e32 v4, 0x80000000, v4
	v_cndmask_b32_e32 v2, v27, v2, vcc
	v_lshl_add_u32 v3, v3, 23, v4
	v_lshl_or_b32 v2, v2, 21, v3
	v_add_u32_e32 v4, 0x38000000, v2
                                        ; implicit-def: $vgpr27
.LBB6_1761:                             ;   in Loop: Header=BB6_129 Depth=2
	s_andn2_saveexec_b64 s[88:89], s[88:89]
; %bb.1762:                             ;   in Loop: Header=BB6_129 Depth=2
	v_cmp_lt_i16_e32 vcc, -1, v21
	v_mov_b32_e32 v2, 0xff800000
	v_mov_b32_e32 v3, 0x7f800000
	v_cndmask_b32_e32 v2, v2, v3, vcc
	v_cmp_eq_u32_e32 vcc, 0, v27
	v_mov_b32_e32 v3, 0x7f800001
	v_cndmask_b32_e32 v4, v3, v2, vcc
; %bb.1763:                             ;   in Loop: Header=BB6_129 Depth=2
	s_or_b64 exec, exec, s[88:89]
.LBB6_1764:                             ;   in Loop: Header=BB6_129 Depth=2
	s_or_b64 exec, exec, s[78:79]
.LBB6_1765:                             ;   in Loop: Header=BB6_129 Depth=2
	s_or_b64 exec, exec, s[20:21]
	v_mul_f32_e32 v2, v36, v4
	v_and_b32_e32 v3, 0x7f800000, v2
	v_mov_b32_e32 v4, v28
	v_cmp_ne_u64_e32 vcc, s[60:61], v[3:4]
	v_and_b32_e32 v27, 0x7fffff, v2
                                        ; implicit-def: $vgpr40
	s_and_saveexec_b64 s[20:21], vcc
	s_xor_b64 s[78:79], exec, s[20:21]
	s_cbranch_execz .LBB6_1779
; %bb.1766:                             ;   in Loop: Header=BB6_129 Depth=2
	v_and_b32_e32 v3, 0x7fffffff, v2
	v_mov_b32_e32 v4, v28
	v_cmp_gt_u64_e32 vcc, s[62:63], v[3:4]
	v_and_b32_sdwa v36, v2, s55 dst_sel:DWORD dst_unused:UNUSED_PAD src0_sel:BYTE_3 src1_sel:DWORD
                                        ; implicit-def: $vgpr40
	s_and_saveexec_b64 s[20:21], vcc
	s_xor_b64 s[88:89], exec, s[20:21]
	s_cbranch_execz .LBB6_1776
; %bb.1767:                             ;   in Loop: Header=BB6_129 Depth=2
	v_mov_b32_e32 v40, 0
	v_cmp_ne_u32_e32 vcc, 0, v2
	s_and_saveexec_b64 s[90:91], vcc
	s_cbranch_execz .LBB6_1775
; %bb.1768:                             ;   in Loop: Header=BB6_129 Depth=2
	v_bfe_u32 v37, v2, 23, 8
	v_cmp_gt_u32_e64 s[20:21], s64, v37
	v_sub_u32_e32 v2, 0x71, v37
	v_cmp_eq_u32_e32 vcc, 0, v37
	v_cndmask_b32_e64 v2, 0, v2, s[20:21]
	v_mov_b32_e32 v4, 0x70
	v_cndmask_b32_e32 v38, v2, v4, vcc
	v_add_u32_e32 v4, 21, v38
	v_or_b32_e32 v3, 0x800000, v27
	v_lshlrev_b64 v[48:49], v4, -1
	v_cndmask_b32_e32 v2, v3, v27, vcc
	v_mov_b32_e32 v3, v28
	v_add_u32_e32 v4, 20, v38
	v_bfi_b32 v48, v48, 0, v2
	v_lshlrev_b64 v[39:40], v4, 1
	v_lshrrev_b64 v[2:3], v38, v[2:3]
	v_bfi_b32 v49, v49, 0, 0
	v_cmp_eq_u64_e64 s[20:21], v[48:49], v[39:40]
	v_mov_b32_e32 v4, v3
	v_mov_b32_e32 v3, v2
	s_and_saveexec_b64 s[92:93], s[20:21]
; %bb.1769:                             ;   in Loop: Header=BB6_129 Depth=2
	v_bfe_u32 v3, v2, 21, 1
	v_add_co_u32_e64 v3, s[20:21], v2, v3
	v_add_co_u32_e64 v3, s[20:21], -1, v3
; %bb.1770:                             ;   in Loop: Header=BB6_129 Depth=2
	s_or_b64 exec, exec, s[92:93]
	v_add_u32_e32 v4, 0xffffff81, v37
	v_mov_b32_e32 v27, 0xffffff82
	v_cndmask_b32_e32 v4, v4, v27, vcc
	v_lshrrev_b32_e32 v27, 23, v2
	v_add3_u32 v38, v38, v4, v27
	v_add_u32_e32 v37, 14, v38
	v_and_b32_e32 v3, 0x1fffff, v3
	v_add_u32_e32 v27, v3, v2
	v_cmp_ne_u32_e32 vcc, 0, v37
                                        ; implicit-def: $vgpr2_vgpr3
                                        ; implicit-def: $vgpr4
	s_and_saveexec_b64 s[20:21], vcc
	s_xor_b64 s[20:21], exec, s[20:21]
; %bb.1771:                             ;   in Loop: Header=BB6_129 Depth=2
	v_cmp_lt_u64_e32 vcc, s[72:73], v[27:28]
	v_add_u32_e32 v2, 15, v38
	v_cndmask_b32_e32 v4, v37, v2, vcc
	v_cndmask_b32_e64 v2, 0, 1, vcc
	v_lshrrev_b64 v[2:3], v2, v[27:28]
; %bb.1772:                             ;   in Loop: Header=BB6_129 Depth=2
	s_andn2_saveexec_b64 s[20:21], s[20:21]
; %bb.1773:                             ;   in Loop: Header=BB6_129 Depth=2
	v_mov_b32_e32 v2, v27
	v_mov_b32_e32 v3, v28
	v_bfe_u32 v4, v27, 23, 1
; %bb.1774:                             ;   in Loop: Header=BB6_129 Depth=2
	s_or_b64 exec, exec, s[20:21]
	v_lshrrev_b64 v[2:3], 21, v[2:3]
	v_cmp_gt_i32_e32 vcc, 32, v4
	v_cndmask_b32_e32 v3, 0, v3, vcc
	v_cndmask_b32_e32 v2, 3, v2, vcc
	v_cmp_eq_u64_e64 s[20:21], 0, v[2:3]
	v_min_i32_e32 v3, 31, v4
	v_lshlrev_b32_e32 v3, 2, v3
	v_cmp_eq_u32_e32 vcc, 0, v4
	v_and_b32_e32 v3, 0xfc, v3
	v_and_or_b32 v2, v2, 3, v3
	s_and_b64 s[20:21], vcc, s[20:21]
	v_cndmask_b32_e64 v2, v2, 0, s[20:21]
	v_or_b32_e32 v40, v2, v36
.LBB6_1775:                             ;   in Loop: Header=BB6_129 Depth=2
	s_or_b64 exec, exec, s[90:91]
                                        ; implicit-def: $vgpr36
.LBB6_1776:                             ;   in Loop: Header=BB6_129 Depth=2
	s_andn2_saveexec_b64 s[20:21], s[88:89]
; %bb.1777:                             ;   in Loop: Header=BB6_129 Depth=2
	v_or_b32_e32 v40, 0x7b, v36
; %bb.1778:                             ;   in Loop: Header=BB6_129 Depth=2
	s_or_b64 exec, exec, s[20:21]
                                        ; implicit-def: $vgpr2
.LBB6_1779:                             ;   in Loop: Header=BB6_129 Depth=2
	s_andn2_saveexec_b64 s[20:21], s[78:79]
	s_cbranch_execz .LBB6_1785
; %bb.1780:                             ;   in Loop: Header=BB6_129 Depth=2
	v_cmp_ne_u64_e32 vcc, 0, v[27:28]
                                        ; implicit-def: $vgpr40
	s_and_saveexec_b64 s[78:79], vcc
	s_xor_b64 s[78:79], exec, s[78:79]
; %bb.1781:                             ;   in Loop: Header=BB6_129 Depth=2
	v_or_b32_sdwa v40, v2, s65 dst_sel:DWORD dst_unused:UNUSED_PAD src0_sel:BYTE_3 src1_sel:DWORD
                                        ; implicit-def: $vgpr2
; %bb.1782:                             ;   in Loop: Header=BB6_129 Depth=2
	s_andn2_saveexec_b64 s[78:79], s[78:79]
; %bb.1783:                             ;   in Loop: Header=BB6_129 Depth=2
	v_cmp_lt_i32_e32 vcc, -1, v2
	v_bfrev_b32_e32 v2, 0.5
	v_mov_b32_e32 v3, 0x7c
	v_cndmask_b32_e32 v40, v2, v3, vcc
; %bb.1784:                             ;   in Loop: Header=BB6_129 Depth=2
	s_or_b64 exec, exec, s[78:79]
.LBB6_1785:                             ;   in Loop: Header=BB6_129 Depth=2
	s_or_b64 exec, exec, s[20:21]
	v_lshrrev_b32_e32 v2, 16, v25
	v_cmp_ne_u16_sdwa s[78:79], v2, v28 src0_sel:BYTE_0 src1_sel:DWORD
	v_mov_b32_e32 v3, 0
	v_mov_b32_e32 v4, 0
	s_and_saveexec_b64 s[20:21], s[78:79]
	s_cbranch_execz .LBB6_1793
; %bb.1786:                             ;   in Loop: Header=BB6_129 Depth=2
	v_cmp_ne_u16_sdwa s[88:89], v2, s55 src0_sel:BYTE_0 src1_sel:DWORD
	v_bfrev_b32_e32 v4, 1
	s_and_saveexec_b64 s[78:79], s[88:89]
	s_cbranch_execz .LBB6_1792
; %bb.1787:                             ;   in Loop: Header=BB6_129 Depth=2
	v_and_b32_e32 v4, 0x7c0000, v25
	v_bfe_u32 v27, v25, 16, 2
	v_cmp_ne_u32_e32 vcc, s66, v4
                                        ; implicit-def: $vgpr4
	s_and_saveexec_b64 s[88:89], vcc
	s_xor_b64 s[88:89], exec, s[88:89]
	s_cbranch_execz .LBB6_1789
; %bb.1788:                             ;   in Loop: Header=BB6_129 Depth=2
	v_ffbh_u32_e32 v32, v27
	v_min_u32_e32 v32, 32, v32
	v_subrev_u32_e32 v33, 29, v32
	v_lshlrev_b64 v[36:37], v33, v[2:3]
	v_bfe_u32 v4, v25, 18, 5
	v_sub_u32_e32 v2, 30, v32
	v_and_b32_e32 v32, 3, v36
	v_cmp_eq_u32_e32 vcc, 0, v4
	v_cndmask_b32_e32 v2, v4, v2, vcc
	v_cndmask_b32_e32 v4, v27, v32, vcc
	v_lshlrev_b32_e32 v27, 8, v25
	v_and_b32_e32 v27, 0x80000000, v27
	v_lshl_add_u32 v2, v2, 23, v27
	v_lshl_or_b32 v2, v4, 21, v2
	v_add_u32_e32 v4, 0x38000000, v2
                                        ; implicit-def: $vgpr27
                                        ; implicit-def: $vgpr2
.LBB6_1789:                             ;   in Loop: Header=BB6_129 Depth=2
	s_andn2_saveexec_b64 s[88:89], s[88:89]
; %bb.1790:                             ;   in Loop: Header=BB6_129 Depth=2
	v_mov_b32_e32 v4, -1
	v_cmp_gt_i16_sdwa vcc, sext(v2), v4 src0_sel:BYTE_0 src1_sel:DWORD
	v_mov_b32_e32 v2, 0xff800000
	v_mov_b32_e32 v4, 0x7f800000
	v_cndmask_b32_e32 v2, v2, v4, vcc
	v_cmp_eq_u32_e32 vcc, 0, v27
	v_mov_b32_e32 v4, 0x7f800001
	v_cndmask_b32_e32 v4, v4, v2, vcc
; %bb.1791:                             ;   in Loop: Header=BB6_129 Depth=2
	s_or_b64 exec, exec, s[88:89]
.LBB6_1792:                             ;   in Loop: Header=BB6_129 Depth=2
	s_or_b64 exec, exec, s[78:79]
.LBB6_1793:                             ;   in Loop: Header=BB6_129 Depth=2
	s_or_b64 exec, exec, s[20:21]
	v_lshrrev_b32_e32 v2, 16, v21
	v_cmp_ne_u16_sdwa s[78:79], v2, v28 src0_sel:BYTE_0 src1_sel:DWORD
	s_and_saveexec_b64 s[20:21], s[78:79]
	s_cbranch_execz .LBB6_1801
; %bb.1794:                             ;   in Loop: Header=BB6_129 Depth=2
	v_cmp_ne_u16_sdwa s[88:89], v2, s55 src0_sel:BYTE_0 src1_sel:DWORD
	v_bfrev_b32_e32 v3, 1
	s_and_saveexec_b64 s[78:79], s[88:89]
	s_cbranch_execz .LBB6_1800
; %bb.1795:                             ;   in Loop: Header=BB6_129 Depth=2
	v_and_b32_e32 v3, 0x7c0000, v21
	v_bfe_u32 v27, v21, 16, 2
	v_cmp_ne_u32_e32 vcc, s66, v3
                                        ; implicit-def: $vgpr3
	s_and_saveexec_b64 s[88:89], vcc
	s_xor_b64 s[88:89], exec, s[88:89]
	s_cbranch_execz .LBB6_1797
; %bb.1796:                             ;   in Loop: Header=BB6_129 Depth=2
	v_ffbh_u32_e32 v3, v27
	v_min_u32_e32 v33, 32, v3
	v_subrev_u32_e32 v3, 29, v33
	v_lshlrev_b64 v[2:3], v3, v[2:3]
	v_bfe_u32 v32, v21, 18, 5
	v_and_b32_e32 v2, 3, v2
	v_cmp_eq_u32_e32 vcc, 0, v32
	v_sub_u32_e32 v3, 30, v33
	v_cndmask_b32_e32 v2, v27, v2, vcc
	v_lshlrev_b32_e32 v27, 8, v21
	v_cndmask_b32_e32 v3, v32, v3, vcc
	v_and_b32_e32 v27, 0x80000000, v27
	v_lshl_add_u32 v3, v3, 23, v27
	v_lshl_or_b32 v2, v2, 21, v3
	v_add_u32_e32 v3, 0x38000000, v2
                                        ; implicit-def: $vgpr27
                                        ; implicit-def: $vgpr2
.LBB6_1797:                             ;   in Loop: Header=BB6_129 Depth=2
	s_andn2_saveexec_b64 s[88:89], s[88:89]
; %bb.1798:                             ;   in Loop: Header=BB6_129 Depth=2
	v_mov_b32_e32 v3, -1
	v_cmp_gt_i16_sdwa vcc, sext(v2), v3 src0_sel:BYTE_0 src1_sel:DWORD
	v_mov_b32_e32 v2, 0xff800000
	v_mov_b32_e32 v3, 0x7f800000
	v_cndmask_b32_e32 v2, v2, v3, vcc
	v_cmp_eq_u32_e32 vcc, 0, v27
	v_mov_b32_e32 v3, 0x7f800001
	v_cndmask_b32_e32 v3, v3, v2, vcc
; %bb.1799:                             ;   in Loop: Header=BB6_129 Depth=2
	s_or_b64 exec, exec, s[88:89]
.LBB6_1800:                             ;   in Loop: Header=BB6_129 Depth=2
	s_or_b64 exec, exec, s[78:79]
.LBB6_1801:                             ;   in Loop: Header=BB6_129 Depth=2
	s_or_b64 exec, exec, s[20:21]
	v_mul_f32_e32 v2, v4, v3
	v_and_b32_e32 v3, 0x7f800000, v2
	v_mov_b32_e32 v4, v28
	v_cmp_ne_u64_e32 vcc, s[60:61], v[3:4]
	v_and_b32_e32 v27, 0x7fffff, v2
                                        ; implicit-def: $vgpr36
	s_and_saveexec_b64 s[20:21], vcc
	s_xor_b64 s[78:79], exec, s[20:21]
	s_cbranch_execz .LBB6_1815
; %bb.1802:                             ;   in Loop: Header=BB6_129 Depth=2
	v_and_b32_e32 v3, 0x7fffffff, v2
	v_mov_b32_e32 v4, v28
	v_cmp_gt_u64_e32 vcc, s[62:63], v[3:4]
	v_and_b32_sdwa v37, v2, s55 dst_sel:DWORD dst_unused:UNUSED_PAD src0_sel:BYTE_3 src1_sel:DWORD
                                        ; implicit-def: $vgpr36
	s_and_saveexec_b64 s[20:21], vcc
	s_xor_b64 s[88:89], exec, s[20:21]
	s_cbranch_execz .LBB6_1812
; %bb.1803:                             ;   in Loop: Header=BB6_129 Depth=2
	v_mov_b32_e32 v36, 0
	v_cmp_ne_u32_e32 vcc, 0, v2
	s_and_saveexec_b64 s[90:91], vcc
	s_cbranch_execz .LBB6_1811
; %bb.1804:                             ;   in Loop: Header=BB6_129 Depth=2
	v_bfe_u32 v36, v2, 23, 8
	v_cmp_gt_u32_e64 s[20:21], s64, v36
	v_sub_u32_e32 v2, 0x71, v36
	v_cmp_eq_u32_e32 vcc, 0, v36
	v_cndmask_b32_e64 v2, 0, v2, s[20:21]
	v_mov_b32_e32 v4, 0x70
	v_cndmask_b32_e32 v38, v2, v4, vcc
	v_add_u32_e32 v4, 21, v38
	v_or_b32_e32 v3, 0x800000, v27
	v_lshlrev_b64 v[48:49], v4, -1
	v_cndmask_b32_e32 v2, v3, v27, vcc
	v_mov_b32_e32 v3, v28
	v_add_u32_e32 v4, 20, v38
	v_bfi_b32 v48, v48, 0, v2
	v_lshlrev_b64 v[41:42], v4, 1
	v_lshrrev_b64 v[2:3], v38, v[2:3]
	v_bfi_b32 v49, v49, 0, 0
	v_cmp_eq_u64_e64 s[20:21], v[48:49], v[41:42]
	v_mov_b32_e32 v4, v3
	v_mov_b32_e32 v3, v2
	s_and_saveexec_b64 s[92:93], s[20:21]
; %bb.1805:                             ;   in Loop: Header=BB6_129 Depth=2
	v_bfe_u32 v3, v2, 21, 1
	v_add_co_u32_e64 v3, s[20:21], v2, v3
	v_add_co_u32_e64 v3, s[20:21], -1, v3
; %bb.1806:                             ;   in Loop: Header=BB6_129 Depth=2
	s_or_b64 exec, exec, s[92:93]
	v_add_u32_e32 v4, 0xffffff81, v36
	v_mov_b32_e32 v27, 0xffffff82
	v_cndmask_b32_e32 v4, v4, v27, vcc
	v_lshrrev_b32_e32 v27, 23, v2
	v_add3_u32 v38, v38, v4, v27
	v_add_u32_e32 v36, 14, v38
	v_and_b32_e32 v3, 0x1fffff, v3
	v_add_u32_e32 v27, v3, v2
	v_cmp_ne_u32_e32 vcc, 0, v36
                                        ; implicit-def: $vgpr2_vgpr3
                                        ; implicit-def: $vgpr4
	s_and_saveexec_b64 s[20:21], vcc
	s_xor_b64 s[20:21], exec, s[20:21]
; %bb.1807:                             ;   in Loop: Header=BB6_129 Depth=2
	v_cmp_lt_u64_e32 vcc, s[72:73], v[27:28]
	v_add_u32_e32 v2, 15, v38
	v_cndmask_b32_e32 v4, v36, v2, vcc
	v_cndmask_b32_e64 v2, 0, 1, vcc
	v_lshrrev_b64 v[2:3], v2, v[27:28]
; %bb.1808:                             ;   in Loop: Header=BB6_129 Depth=2
	s_andn2_saveexec_b64 s[20:21], s[20:21]
; %bb.1809:                             ;   in Loop: Header=BB6_129 Depth=2
	v_mov_b32_e32 v2, v27
	v_mov_b32_e32 v3, v28
	v_bfe_u32 v4, v27, 23, 1
; %bb.1810:                             ;   in Loop: Header=BB6_129 Depth=2
	s_or_b64 exec, exec, s[20:21]
	v_lshrrev_b64 v[2:3], 21, v[2:3]
	v_cmp_gt_i32_e32 vcc, 32, v4
	v_cndmask_b32_e32 v3, 0, v3, vcc
	v_cndmask_b32_e32 v2, 3, v2, vcc
	v_cmp_eq_u64_e64 s[20:21], 0, v[2:3]
	v_min_i32_e32 v3, 31, v4
	v_lshlrev_b32_e32 v3, 2, v3
	v_cmp_eq_u32_e32 vcc, 0, v4
	v_and_b32_e32 v3, 0xfc, v3
	v_and_or_b32 v2, v2, 3, v3
	s_and_b64 s[20:21], vcc, s[20:21]
	v_cndmask_b32_e64 v2, v2, 0, s[20:21]
	v_or_b32_e32 v36, v2, v37
.LBB6_1811:                             ;   in Loop: Header=BB6_129 Depth=2
	s_or_b64 exec, exec, s[90:91]
                                        ; implicit-def: $vgpr37
.LBB6_1812:                             ;   in Loop: Header=BB6_129 Depth=2
	s_andn2_saveexec_b64 s[20:21], s[88:89]
; %bb.1813:                             ;   in Loop: Header=BB6_129 Depth=2
	v_or_b32_e32 v36, 0x7b, v37
; %bb.1814:                             ;   in Loop: Header=BB6_129 Depth=2
	s_or_b64 exec, exec, s[20:21]
                                        ; implicit-def: $vgpr2
.LBB6_1815:                             ;   in Loop: Header=BB6_129 Depth=2
	s_andn2_saveexec_b64 s[20:21], s[78:79]
	s_cbranch_execz .LBB6_1821
; %bb.1816:                             ;   in Loop: Header=BB6_129 Depth=2
	v_cmp_ne_u64_e32 vcc, 0, v[27:28]
                                        ; implicit-def: $vgpr36
	s_and_saveexec_b64 s[78:79], vcc
	s_xor_b64 s[78:79], exec, s[78:79]
; %bb.1817:                             ;   in Loop: Header=BB6_129 Depth=2
	v_or_b32_sdwa v36, v2, s65 dst_sel:DWORD dst_unused:UNUSED_PAD src0_sel:BYTE_3 src1_sel:DWORD
                                        ; implicit-def: $vgpr2
; %bb.1818:                             ;   in Loop: Header=BB6_129 Depth=2
	s_andn2_saveexec_b64 s[78:79], s[78:79]
; %bb.1819:                             ;   in Loop: Header=BB6_129 Depth=2
	v_cmp_lt_i32_e32 vcc, -1, v2
	v_bfrev_b32_e32 v2, 0.5
	v_mov_b32_e32 v3, 0x7c
	v_cndmask_b32_e32 v36, v2, v3, vcc
; %bb.1820:                             ;   in Loop: Header=BB6_129 Depth=2
	s_or_b64 exec, exec, s[78:79]
.LBB6_1821:                             ;   in Loop: Header=BB6_129 Depth=2
	s_or_b64 exec, exec, s[20:21]
	v_cmp_lt_u64_e32 vcc, s[58:59], v[24:25]
	v_mov_b32_e32 v3, 0
	v_mov_b32_e32 v4, 0
	s_and_saveexec_b64 s[20:21], vcc
	s_cbranch_execz .LBB6_1829
; %bb.1822:                             ;   in Loop: Header=BB6_129 Depth=2
	v_lshrrev_b32_e32 v2, 24, v25
	v_cmp_ne_u32_e32 vcc, s55, v2
	v_bfrev_b32_e32 v4, 1
	s_and_saveexec_b64 s[78:79], vcc
	s_cbranch_execz .LBB6_1828
; %bb.1823:                             ;   in Loop: Header=BB6_129 Depth=2
	v_and_b32_e32 v4, 0x7c000000, v25
	v_bfe_u32 v27, v25, 24, 2
	v_cmp_ne_u32_e32 vcc, s67, v4
                                        ; implicit-def: $vgpr4
	s_and_saveexec_b64 s[88:89], vcc
	s_xor_b64 s[88:89], exec, s[88:89]
	s_cbranch_execz .LBB6_1825
; %bb.1824:                             ;   in Loop: Header=BB6_129 Depth=2
	v_ffbh_u32_e32 v24, v27
	v_min_u32_e32 v24, 32, v24
	v_subrev_u32_e32 v32, 29, v24
	v_lshlrev_b64 v[37:38], v32, v[2:3]
	v_bfe_u32 v4, v25, 26, 5
	v_sub_u32_e32 v2, 30, v24
	v_and_b32_e32 v24, 3, v37
	v_cmp_eq_u32_e32 vcc, 0, v4
	v_cndmask_b32_e32 v2, v4, v2, vcc
	v_cndmask_b32_e32 v4, v27, v24, vcc
	v_and_b32_e32 v24, 0x80000000, v25
	v_lshl_add_u32 v2, v2, 23, v24
	v_lshl_or_b32 v2, v4, 21, v2
	v_add_u32_e32 v4, 0x38000000, v2
                                        ; implicit-def: $vgpr27
                                        ; implicit-def: $vgpr24_vgpr25
.LBB6_1825:                             ;   in Loop: Header=BB6_129 Depth=2
	s_andn2_saveexec_b64 s[88:89], s[88:89]
; %bb.1826:                             ;   in Loop: Header=BB6_129 Depth=2
	v_cmp_lt_i64_e32 vcc, -1, v[24:25]
	v_mov_b32_e32 v2, 0xff800000
	v_mov_b32_e32 v4, 0x7f800000
	v_cndmask_b32_e32 v2, v2, v4, vcc
	v_cmp_eq_u32_e32 vcc, 0, v27
	v_mov_b32_e32 v4, 0x7f800001
	v_cndmask_b32_e32 v4, v4, v2, vcc
; %bb.1827:                             ;   in Loop: Header=BB6_129 Depth=2
	s_or_b64 exec, exec, s[88:89]
.LBB6_1828:                             ;   in Loop: Header=BB6_129 Depth=2
	s_or_b64 exec, exec, s[78:79]
.LBB6_1829:                             ;   in Loop: Header=BB6_129 Depth=2
	s_or_b64 exec, exec, s[20:21]
	v_cmp_lt_u64_e32 vcc, s[58:59], v[20:21]
	s_and_saveexec_b64 s[20:21], vcc
	s_cbranch_execz .LBB6_1837
; %bb.1830:                             ;   in Loop: Header=BB6_129 Depth=2
	v_lshrrev_b32_e32 v2, 24, v21
	v_cmp_ne_u32_e32 vcc, s55, v2
	v_bfrev_b32_e32 v3, 1
	s_and_saveexec_b64 s[78:79], vcc
	s_cbranch_execz .LBB6_1836
; %bb.1831:                             ;   in Loop: Header=BB6_129 Depth=2
	v_and_b32_e32 v3, 0x7c000000, v21
	v_bfe_u32 v24, v21, 24, 2
	v_cmp_ne_u32_e32 vcc, s67, v3
                                        ; implicit-def: $vgpr3
	s_and_saveexec_b64 s[88:89], vcc
	s_xor_b64 s[88:89], exec, s[88:89]
	s_cbranch_execz .LBB6_1833
; %bb.1832:                             ;   in Loop: Header=BB6_129 Depth=2
	v_ffbh_u32_e32 v3, v24
	v_min_u32_e32 v25, 32, v3
	v_subrev_u32_e32 v3, 29, v25
	v_bfe_u32 v20, v21, 26, 5
	v_lshlrev_b64 v[2:3], v3, v[2:3]
	v_sub_u32_e32 v3, 30, v25
	v_cmp_eq_u32_e32 vcc, 0, v20
	v_and_b32_e32 v2, 3, v2
	v_cndmask_b32_e32 v3, v20, v3, vcc
	v_and_b32_e32 v20, 0x80000000, v21
	v_cndmask_b32_e32 v2, v24, v2, vcc
	v_lshl_add_u32 v3, v3, 23, v20
	v_lshl_or_b32 v2, v2, 21, v3
	v_add_u32_e32 v3, 0x38000000, v2
                                        ; implicit-def: $vgpr24
                                        ; implicit-def: $vgpr20_vgpr21
.LBB6_1833:                             ;   in Loop: Header=BB6_129 Depth=2
	s_andn2_saveexec_b64 s[88:89], s[88:89]
; %bb.1834:                             ;   in Loop: Header=BB6_129 Depth=2
	v_cmp_lt_i64_e32 vcc, -1, v[20:21]
	v_mov_b32_e32 v2, 0xff800000
	v_mov_b32_e32 v3, 0x7f800000
	v_cndmask_b32_e32 v2, v2, v3, vcc
	v_cmp_eq_u32_e32 vcc, 0, v24
	v_mov_b32_e32 v3, 0x7f800001
	v_cndmask_b32_e32 v3, v3, v2, vcc
; %bb.1835:                             ;   in Loop: Header=BB6_129 Depth=2
	s_or_b64 exec, exec, s[88:89]
.LBB6_1836:                             ;   in Loop: Header=BB6_129 Depth=2
	s_or_b64 exec, exec, s[78:79]
.LBB6_1837:                             ;   in Loop: Header=BB6_129 Depth=2
	s_or_b64 exec, exec, s[20:21]
	v_mul_f32_e32 v2, v4, v3
	v_and_b32_e32 v3, 0x7f800000, v2
	v_mov_b32_e32 v4, v28
	v_cmp_ne_u64_e32 vcc, s[60:61], v[3:4]
	v_and_b32_e32 v27, 0x7fffff, v2
                                        ; implicit-def: $vgpr20
	s_and_saveexec_b64 s[20:21], vcc
	s_xor_b64 s[78:79], exec, s[20:21]
	s_cbranch_execz .LBB6_1851
; %bb.1838:                             ;   in Loop: Header=BB6_129 Depth=2
	v_and_b32_e32 v3, 0x7fffffff, v2
	v_mov_b32_e32 v4, v28
	v_cmp_gt_u64_e32 vcc, s[62:63], v[3:4]
	v_and_b32_sdwa v21, v2, s55 dst_sel:DWORD dst_unused:UNUSED_PAD src0_sel:BYTE_3 src1_sel:DWORD
                                        ; implicit-def: $vgpr20
	s_and_saveexec_b64 s[20:21], vcc
	s_xor_b64 s[88:89], exec, s[20:21]
	s_cbranch_execz .LBB6_1848
; %bb.1839:                             ;   in Loop: Header=BB6_129 Depth=2
	v_mov_b32_e32 v20, 0
	v_cmp_ne_u32_e32 vcc, 0, v2
	s_and_saveexec_b64 s[90:91], vcc
	s_cbranch_execz .LBB6_1847
; %bb.1840:                             ;   in Loop: Header=BB6_129 Depth=2
	v_bfe_u32 v20, v2, 23, 8
	v_cmp_gt_u32_e64 s[20:21], s64, v20
	v_sub_u32_e32 v2, 0x71, v20
	v_cmp_eq_u32_e32 vcc, 0, v20
	v_cndmask_b32_e64 v2, 0, v2, s[20:21]
	v_mov_b32_e32 v4, 0x70
	v_cndmask_b32_e32 v24, v2, v4, vcc
	v_add_u32_e32 v4, 21, v24
	v_or_b32_e32 v3, 0x800000, v27
	v_lshlrev_b64 v[37:38], v4, -1
	v_cndmask_b32_e32 v2, v3, v27, vcc
	v_mov_b32_e32 v3, v28
	v_add_u32_e32 v4, 20, v24
	v_bfi_b32 v37, v37, 0, v2
	v_lshlrev_b64 v[48:49], v4, 1
	v_lshrrev_b64 v[2:3], v24, v[2:3]
	v_bfi_b32 v38, v38, 0, 0
	v_cmp_eq_u64_e64 s[20:21], v[37:38], v[48:49]
	v_mov_b32_e32 v4, v3
	v_mov_b32_e32 v3, v2
	s_and_saveexec_b64 s[92:93], s[20:21]
; %bb.1841:                             ;   in Loop: Header=BB6_129 Depth=2
	v_bfe_u32 v3, v2, 21, 1
	v_add_co_u32_e64 v3, s[20:21], v2, v3
	v_add_co_u32_e64 v3, s[20:21], -1, v3
; %bb.1842:                             ;   in Loop: Header=BB6_129 Depth=2
	s_or_b64 exec, exec, s[92:93]
	v_add_u32_e32 v4, 0xffffff81, v20
	v_mov_b32_e32 v20, 0xffffff82
	v_cndmask_b32_e32 v4, v4, v20, vcc
	v_lshrrev_b32_e32 v20, 23, v2
	v_add3_u32 v24, v24, v4, v20
	v_add_u32_e32 v20, 14, v24
	v_and_b32_e32 v3, 0x1fffff, v3
	v_add_u32_e32 v27, v3, v2
	v_cmp_ne_u32_e32 vcc, 0, v20
                                        ; implicit-def: $vgpr2_vgpr3
                                        ; implicit-def: $vgpr4
	s_and_saveexec_b64 s[20:21], vcc
	s_xor_b64 s[20:21], exec, s[20:21]
; %bb.1843:                             ;   in Loop: Header=BB6_129 Depth=2
	v_cmp_lt_u64_e32 vcc, s[72:73], v[27:28]
	v_add_u32_e32 v2, 15, v24
	v_cndmask_b32_e32 v4, v20, v2, vcc
	v_cndmask_b32_e64 v2, 0, 1, vcc
	v_lshrrev_b64 v[2:3], v2, v[27:28]
; %bb.1844:                             ;   in Loop: Header=BB6_129 Depth=2
	s_andn2_saveexec_b64 s[20:21], s[20:21]
; %bb.1845:                             ;   in Loop: Header=BB6_129 Depth=2
	v_mov_b32_e32 v2, v27
	v_mov_b32_e32 v3, v28
	v_bfe_u32 v4, v27, 23, 1
; %bb.1846:                             ;   in Loop: Header=BB6_129 Depth=2
	s_or_b64 exec, exec, s[20:21]
	v_lshrrev_b64 v[2:3], 21, v[2:3]
	v_cmp_gt_i32_e32 vcc, 32, v4
	v_cndmask_b32_e32 v3, 0, v3, vcc
	v_cndmask_b32_e32 v2, 3, v2, vcc
	v_cmp_eq_u64_e64 s[20:21], 0, v[2:3]
	v_min_i32_e32 v3, 31, v4
	v_lshlrev_b32_e32 v3, 2, v3
	v_cmp_eq_u32_e32 vcc, 0, v4
	v_and_b32_e32 v3, 0xfc, v3
	v_and_or_b32 v2, v2, 3, v3
	s_and_b64 s[20:21], vcc, s[20:21]
	v_cndmask_b32_e64 v2, v2, 0, s[20:21]
	v_or_b32_e32 v20, v2, v21
.LBB6_1847:                             ;   in Loop: Header=BB6_129 Depth=2
	s_or_b64 exec, exec, s[90:91]
                                        ; implicit-def: $vgpr21
.LBB6_1848:                             ;   in Loop: Header=BB6_129 Depth=2
	s_andn2_saveexec_b64 s[20:21], s[88:89]
; %bb.1849:                             ;   in Loop: Header=BB6_129 Depth=2
	v_or_b32_e32 v20, 0x7b, v21
; %bb.1850:                             ;   in Loop: Header=BB6_129 Depth=2
	s_or_b64 exec, exec, s[20:21]
                                        ; implicit-def: $vgpr2
.LBB6_1851:                             ;   in Loop: Header=BB6_129 Depth=2
	s_andn2_saveexec_b64 s[20:21], s[78:79]
	s_cbranch_execz .LBB6_1857
; %bb.1852:                             ;   in Loop: Header=BB6_129 Depth=2
	v_cmp_ne_u64_e32 vcc, 0, v[27:28]
                                        ; implicit-def: $vgpr20
	s_and_saveexec_b64 s[78:79], vcc
	s_xor_b64 s[78:79], exec, s[78:79]
; %bb.1853:                             ;   in Loop: Header=BB6_129 Depth=2
	v_or_b32_sdwa v20, v2, s65 dst_sel:DWORD dst_unused:UNUSED_PAD src0_sel:BYTE_3 src1_sel:DWORD
                                        ; implicit-def: $vgpr2
; %bb.1854:                             ;   in Loop: Header=BB6_129 Depth=2
	s_andn2_saveexec_b64 s[78:79], s[78:79]
; %bb.1855:                             ;   in Loop: Header=BB6_129 Depth=2
	v_cmp_lt_i32_e32 vcc, -1, v2
	v_bfrev_b32_e32 v2, 0.5
	v_mov_b32_e32 v3, 0x7c
	v_cndmask_b32_e32 v20, v2, v3, vcc
; %bb.1856:                             ;   in Loop: Header=BB6_129 Depth=2
	s_or_b64 exec, exec, s[78:79]
.LBB6_1857:                             ;   in Loop: Header=BB6_129 Depth=2
	s_or_b64 exec, exec, s[20:21]
	v_cmp_ne_u16_sdwa s[78:79], v14, v28 src0_sel:BYTE_0 src1_sel:DWORD
	v_mov_b32_e32 v2, 0
	v_mov_b32_e32 v3, 0
	s_and_saveexec_b64 s[20:21], s[78:79]
	s_cbranch_execz .LBB6_1865
; %bb.1858:                             ;   in Loop: Header=BB6_129 Depth=2
	v_cmp_ne_u16_sdwa s[88:89], sext(v14), s52 src0_sel:BYTE_0 src1_sel:DWORD
	v_bfrev_b32_e32 v3, 1
	s_and_saveexec_b64 s[78:79], s[88:89]
	s_cbranch_execz .LBB6_1864
; %bb.1859:                             ;   in Loop: Header=BB6_129 Depth=2
	v_and_b32_e32 v3, 0x7c, v14
	v_and_b32_e32 v4, 3, v14
	v_cmp_ne_u32_e32 vcc, s53, v3
                                        ; implicit-def: $vgpr3
	s_and_saveexec_b64 s[88:89], vcc
	s_xor_b64 s[88:89], exec, s[88:89]
	s_cbranch_execz .LBB6_1861
; %bb.1860:                             ;   in Loop: Header=BB6_129 Depth=2
	v_ffbh_u32_e32 v21, v4
	v_min_u32_e32 v21, 32, v21
	v_bfe_u32 v3, v14, 2, 5
	v_subrev_u32_e32 v24, 29, v21
	v_lshlrev_b64 v[24:25], v24, v[14:15]
	v_sub_u32_e32 v21, 30, v21
	v_cmp_eq_u32_e32 vcc, 0, v3
	v_cndmask_b32_e32 v3, v3, v21, vcc
	v_lshlrev_b32_e32 v21, 24, v14
	v_and_b32_e32 v24, 3, v24
	v_and_b32_e32 v21, 0x80000000, v21
	v_cndmask_b32_e32 v4, v4, v24, vcc
	v_lshl_add_u32 v3, v3, 23, v21
	v_lshl_or_b32 v3, v4, 21, v3
	v_add_u32_e32 v3, 0x38000000, v3
                                        ; implicit-def: $vgpr4
.LBB6_1861:                             ;   in Loop: Header=BB6_129 Depth=2
	s_andn2_saveexec_b64 s[88:89], s[88:89]
; %bb.1862:                             ;   in Loop: Header=BB6_129 Depth=2
	v_mov_b32_e32 v3, -1
	v_cmp_gt_i16_sdwa vcc, sext(v14), v3 src0_sel:BYTE_0 src1_sel:DWORD
	v_mov_b32_e32 v3, 0xff800000
	v_mov_b32_e32 v21, 0x7f800000
	v_cndmask_b32_e32 v3, v3, v21, vcc
	v_cmp_eq_u32_e32 vcc, 0, v4
	v_mov_b32_e32 v4, 0x7f800001
	v_cndmask_b32_e32 v3, v4, v3, vcc
; %bb.1863:                             ;   in Loop: Header=BB6_129 Depth=2
	s_or_b64 exec, exec, s[88:89]
.LBB6_1864:                             ;   in Loop: Header=BB6_129 Depth=2
	s_or_b64 exec, exec, s[78:79]
.LBB6_1865:                             ;   in Loop: Header=BB6_129 Depth=2
	s_or_b64 exec, exec, s[20:21]
	s_waitcnt vmcnt(0)
	v_cmp_ne_u16_sdwa s[78:79], v10, v28 src0_sel:BYTE_0 src1_sel:DWORD
	s_and_saveexec_b64 s[20:21], s[78:79]
	s_cbranch_execz .LBB6_1873
; %bb.1866:                             ;   in Loop: Header=BB6_129 Depth=2
	v_cmp_ne_u16_sdwa s[88:89], sext(v10), s52 src0_sel:BYTE_0 src1_sel:DWORD
	v_bfrev_b32_e32 v2, 1
	s_and_saveexec_b64 s[78:79], s[88:89]
	s_cbranch_execz .LBB6_1872
; %bb.1867:                             ;   in Loop: Header=BB6_129 Depth=2
	v_and_b32_e32 v2, 0x7c, v10
	v_and_b32_e32 v4, 3, v10
	v_cmp_ne_u32_e32 vcc, s53, v2
                                        ; implicit-def: $vgpr2
	s_and_saveexec_b64 s[88:89], vcc
	s_xor_b64 s[88:89], exec, s[88:89]
	s_cbranch_execz .LBB6_1869
; %bb.1868:                             ;   in Loop: Header=BB6_129 Depth=2
	v_ffbh_u32_e32 v21, v4
	v_min_u32_e32 v21, 32, v21
	v_bfe_u32 v2, v10, 2, 5
	v_subrev_u32_e32 v24, 29, v21
	v_lshlrev_b64 v[24:25], v24, v[10:11]
	v_sub_u32_e32 v21, 30, v21
	v_cmp_eq_u32_e32 vcc, 0, v2
	v_cndmask_b32_e32 v2, v2, v21, vcc
	v_lshlrev_b32_e32 v21, 24, v10
	v_and_b32_e32 v24, 3, v24
	v_and_b32_e32 v21, 0x80000000, v21
	v_cndmask_b32_e32 v4, v4, v24, vcc
	v_lshl_add_u32 v2, v2, 23, v21
	v_lshl_or_b32 v2, v4, 21, v2
	v_add_u32_e32 v2, 0x38000000, v2
                                        ; implicit-def: $vgpr4
.LBB6_1869:                             ;   in Loop: Header=BB6_129 Depth=2
	s_andn2_saveexec_b64 s[88:89], s[88:89]
; %bb.1870:                             ;   in Loop: Header=BB6_129 Depth=2
	v_mov_b32_e32 v2, -1
	v_cmp_gt_i16_sdwa vcc, sext(v10), v2 src0_sel:BYTE_0 src1_sel:DWORD
	v_mov_b32_e32 v2, 0xff800000
	v_mov_b32_e32 v21, 0x7f800000
	v_cndmask_b32_e32 v2, v2, v21, vcc
	v_cmp_eq_u32_e32 vcc, 0, v4
	v_mov_b32_e32 v4, 0x7f800001
	v_cndmask_b32_e32 v2, v4, v2, vcc
; %bb.1871:                             ;   in Loop: Header=BB6_129 Depth=2
	s_or_b64 exec, exec, s[88:89]
.LBB6_1872:                             ;   in Loop: Header=BB6_129 Depth=2
	s_or_b64 exec, exec, s[78:79]
.LBB6_1873:                             ;   in Loop: Header=BB6_129 Depth=2
	s_or_b64 exec, exec, s[20:21]
	v_mul_f32_e32 v2, v3, v2
	v_and_b32_e32 v3, 0x7f800000, v2
	v_mov_b32_e32 v4, v28
	v_cmp_ne_u64_e32 vcc, s[60:61], v[3:4]
	v_and_b32_e32 v27, 0x7fffff, v2
                                        ; implicit-def: $vgpr21
	s_and_saveexec_b64 s[20:21], vcc
	s_xor_b64 s[78:79], exec, s[20:21]
	s_cbranch_execz .LBB6_1887
; %bb.1874:                             ;   in Loop: Header=BB6_129 Depth=2
	v_and_b32_e32 v3, 0x7fffffff, v2
	v_mov_b32_e32 v4, v28
	v_cmp_gt_u64_e32 vcc, s[62:63], v[3:4]
	v_and_b32_sdwa v24, v2, s55 dst_sel:DWORD dst_unused:UNUSED_PAD src0_sel:BYTE_3 src1_sel:DWORD
                                        ; implicit-def: $vgpr21
	s_and_saveexec_b64 s[20:21], vcc
	s_xor_b64 s[88:89], exec, s[20:21]
	s_cbranch_execz .LBB6_1884
; %bb.1875:                             ;   in Loop: Header=BB6_129 Depth=2
	v_mov_b32_e32 v21, 0
	v_cmp_ne_u32_e32 vcc, 0, v2
	s_and_saveexec_b64 s[90:91], vcc
	s_cbranch_execz .LBB6_1883
; %bb.1876:                             ;   in Loop: Header=BB6_129 Depth=2
	v_bfe_u32 v21, v2, 23, 8
	v_cmp_gt_u32_e64 s[20:21], s64, v21
	v_sub_u32_e32 v2, 0x71, v21
	v_cmp_eq_u32_e32 vcc, 0, v21
	v_cndmask_b32_e64 v2, 0, v2, s[20:21]
	v_mov_b32_e32 v4, 0x70
	v_cndmask_b32_e32 v25, v2, v4, vcc
	v_add_u32_e32 v4, 21, v25
	v_or_b32_e32 v3, 0x800000, v27
	v_lshlrev_b64 v[37:38], v4, -1
	v_cndmask_b32_e32 v2, v3, v27, vcc
	v_mov_b32_e32 v3, v28
	v_add_u32_e32 v4, 20, v25
	v_bfi_b32 v37, v37, 0, v2
	v_lshlrev_b64 v[48:49], v4, 1
	v_lshrrev_b64 v[2:3], v25, v[2:3]
	v_bfi_b32 v38, v38, 0, 0
	v_cmp_eq_u64_e64 s[20:21], v[37:38], v[48:49]
	v_mov_b32_e32 v4, v3
	v_mov_b32_e32 v3, v2
	s_and_saveexec_b64 s[92:93], s[20:21]
; %bb.1877:                             ;   in Loop: Header=BB6_129 Depth=2
	v_bfe_u32 v3, v2, 21, 1
	v_add_co_u32_e64 v3, s[20:21], v2, v3
	v_add_co_u32_e64 v3, s[20:21], -1, v3
; %bb.1878:                             ;   in Loop: Header=BB6_129 Depth=2
	s_or_b64 exec, exec, s[92:93]
	v_add_u32_e32 v4, 0xffffff81, v21
	v_mov_b32_e32 v21, 0xffffff82
	v_cndmask_b32_e32 v4, v4, v21, vcc
	v_lshrrev_b32_e32 v21, 23, v2
	v_add3_u32 v25, v25, v4, v21
	v_add_u32_e32 v21, 14, v25
	v_and_b32_e32 v3, 0x1fffff, v3
	v_add_u32_e32 v27, v3, v2
	v_cmp_ne_u32_e32 vcc, 0, v21
                                        ; implicit-def: $vgpr2_vgpr3
                                        ; implicit-def: $vgpr4
	s_and_saveexec_b64 s[20:21], vcc
	s_xor_b64 s[20:21], exec, s[20:21]
; %bb.1879:                             ;   in Loop: Header=BB6_129 Depth=2
	v_cmp_lt_u64_e32 vcc, s[72:73], v[27:28]
	v_add_u32_e32 v2, 15, v25
	v_cndmask_b32_e32 v4, v21, v2, vcc
	v_cndmask_b32_e64 v2, 0, 1, vcc
	v_lshrrev_b64 v[2:3], v2, v[27:28]
; %bb.1880:                             ;   in Loop: Header=BB6_129 Depth=2
	s_andn2_saveexec_b64 s[20:21], s[20:21]
; %bb.1881:                             ;   in Loop: Header=BB6_129 Depth=2
	v_mov_b32_e32 v2, v27
	v_mov_b32_e32 v3, v28
	v_bfe_u32 v4, v27, 23, 1
; %bb.1882:                             ;   in Loop: Header=BB6_129 Depth=2
	s_or_b64 exec, exec, s[20:21]
	v_lshrrev_b64 v[2:3], 21, v[2:3]
	v_cmp_gt_i32_e32 vcc, 32, v4
	v_cndmask_b32_e32 v3, 0, v3, vcc
	v_cndmask_b32_e32 v2, 3, v2, vcc
	v_cmp_eq_u64_e64 s[20:21], 0, v[2:3]
	v_min_i32_e32 v3, 31, v4
	v_lshlrev_b32_e32 v3, 2, v3
	v_cmp_eq_u32_e32 vcc, 0, v4
	v_and_b32_e32 v3, 0xfc, v3
	v_and_or_b32 v2, v2, 3, v3
	s_and_b64 s[20:21], vcc, s[20:21]
	v_cndmask_b32_e64 v2, v2, 0, s[20:21]
	v_or_b32_e32 v21, v2, v24
.LBB6_1883:                             ;   in Loop: Header=BB6_129 Depth=2
	s_or_b64 exec, exec, s[90:91]
                                        ; implicit-def: $vgpr24
.LBB6_1884:                             ;   in Loop: Header=BB6_129 Depth=2
	s_andn2_saveexec_b64 s[20:21], s[88:89]
; %bb.1885:                             ;   in Loop: Header=BB6_129 Depth=2
	v_or_b32_e32 v21, 0x7b, v24
; %bb.1886:                             ;   in Loop: Header=BB6_129 Depth=2
	s_or_b64 exec, exec, s[20:21]
                                        ; implicit-def: $vgpr2
.LBB6_1887:                             ;   in Loop: Header=BB6_129 Depth=2
	s_andn2_saveexec_b64 s[20:21], s[78:79]
	s_cbranch_execz .LBB6_1893
; %bb.1888:                             ;   in Loop: Header=BB6_129 Depth=2
	v_cmp_ne_u64_e32 vcc, 0, v[27:28]
                                        ; implicit-def: $vgpr21
	s_and_saveexec_b64 s[78:79], vcc
	s_xor_b64 s[78:79], exec, s[78:79]
; %bb.1889:                             ;   in Loop: Header=BB6_129 Depth=2
	v_or_b32_sdwa v21, v2, s65 dst_sel:DWORD dst_unused:UNUSED_PAD src0_sel:BYTE_3 src1_sel:DWORD
                                        ; implicit-def: $vgpr2
; %bb.1890:                             ;   in Loop: Header=BB6_129 Depth=2
	s_andn2_saveexec_b64 s[78:79], s[78:79]
; %bb.1891:                             ;   in Loop: Header=BB6_129 Depth=2
	v_cmp_lt_i32_e32 vcc, -1, v2
	v_bfrev_b32_e32 v2, 0.5
	v_mov_b32_e32 v3, 0x7c
	v_cndmask_b32_e32 v21, v2, v3, vcc
; %bb.1892:                             ;   in Loop: Header=BB6_129 Depth=2
	s_or_b64 exec, exec, s[78:79]
.LBB6_1893:                             ;   in Loop: Header=BB6_129 Depth=2
	s_or_b64 exec, exec, s[20:21]
	v_lshrrev_b16_e32 v2, 8, v14
	v_cmp_ne_u16_e32 vcc, 0, v2
	v_mov_b32_e32 v4, 0
	v_mov_b32_e32 v24, 0
	s_and_saveexec_b64 s[20:21], vcc
	s_cbranch_execz .LBB6_1901
; %bb.1894:                             ;   in Loop: Header=BB6_129 Depth=2
	v_cmp_ne_u16_e32 vcc, s55, v2
	v_bfrev_b32_e32 v24, 1
	s_and_saveexec_b64 s[78:79], vcc
	s_cbranch_execz .LBB6_1900
; %bb.1895:                             ;   in Loop: Header=BB6_129 Depth=2
	v_and_b32_e32 v3, 0x7c, v2
	v_and_b32_e32 v25, 3, v2
	v_cmp_ne_u32_e32 vcc, s53, v3
                                        ; implicit-def: $vgpr24
	s_and_saveexec_b64 s[88:89], vcc
	s_xor_b64 s[88:89], exec, s[88:89]
	s_cbranch_execz .LBB6_1897
; %bb.1896:                             ;   in Loop: Header=BB6_129 Depth=2
	v_ffbh_u32_e32 v27, v25
	v_min_u32_e32 v27, 32, v27
	v_mov_b32_e32 v3, v28
	v_subrev_u32_e32 v32, 29, v27
	v_bfe_u32 v24, v2, 2, 5
	v_lshlrev_b64 v[2:3], v32, v[2:3]
	v_sub_u32_e32 v3, 30, v27
	v_cmp_eq_u32_e32 vcc, 0, v24
	v_cndmask_b32_e32 v3, v24, v3, vcc
	v_lshlrev_b32_e32 v24, 16, v14
	v_and_b32_e32 v2, 3, v2
	v_and_b32_e32 v24, 0x80000000, v24
	v_cndmask_b32_e32 v2, v25, v2, vcc
	v_lshl_add_u32 v3, v3, 23, v24
	v_lshl_or_b32 v2, v2, 21, v3
	v_add_u32_e32 v24, 0x38000000, v2
                                        ; implicit-def: $vgpr25
.LBB6_1897:                             ;   in Loop: Header=BB6_129 Depth=2
	s_andn2_saveexec_b64 s[88:89], s[88:89]
; %bb.1898:                             ;   in Loop: Header=BB6_129 Depth=2
	v_cmp_lt_i16_e32 vcc, -1, v14
	v_mov_b32_e32 v2, 0xff800000
	v_mov_b32_e32 v3, 0x7f800000
	v_cndmask_b32_e32 v2, v2, v3, vcc
	v_cmp_eq_u32_e32 vcc, 0, v25
	v_mov_b32_e32 v3, 0x7f800001
	v_cndmask_b32_e32 v24, v3, v2, vcc
; %bb.1899:                             ;   in Loop: Header=BB6_129 Depth=2
	s_or_b64 exec, exec, s[88:89]
.LBB6_1900:                             ;   in Loop: Header=BB6_129 Depth=2
	s_or_b64 exec, exec, s[78:79]
.LBB6_1901:                             ;   in Loop: Header=BB6_129 Depth=2
	s_or_b64 exec, exec, s[20:21]
	v_lshrrev_b16_e32 v2, 8, v10
	v_cmp_ne_u16_e32 vcc, 0, v2
	s_and_saveexec_b64 s[20:21], vcc
	s_cbranch_execz .LBB6_1909
; %bb.1902:                             ;   in Loop: Header=BB6_129 Depth=2
	v_cmp_ne_u16_e32 vcc, s55, v2
	v_bfrev_b32_e32 v4, 1
	s_and_saveexec_b64 s[78:79], vcc
	s_cbranch_execz .LBB6_1908
; %bb.1903:                             ;   in Loop: Header=BB6_129 Depth=2
	v_and_b32_e32 v3, 0x7c, v2
	v_and_b32_e32 v25, 3, v2
	v_cmp_ne_u32_e32 vcc, s53, v3
                                        ; implicit-def: $vgpr4
	s_and_saveexec_b64 s[88:89], vcc
	s_xor_b64 s[88:89], exec, s[88:89]
	s_cbranch_execz .LBB6_1905
; %bb.1904:                             ;   in Loop: Header=BB6_129 Depth=2
	v_ffbh_u32_e32 v27, v25
	v_min_u32_e32 v27, 32, v27
	v_mov_b32_e32 v3, v28
	v_subrev_u32_e32 v32, 29, v27
	v_bfe_u32 v4, v2, 2, 5
	v_lshlrev_b64 v[2:3], v32, v[2:3]
	v_sub_u32_e32 v3, 30, v27
	v_cmp_eq_u32_e32 vcc, 0, v4
	v_cndmask_b32_e32 v3, v4, v3, vcc
	v_lshlrev_b32_e32 v4, 16, v10
	v_and_b32_e32 v2, 3, v2
	v_and_b32_e32 v4, 0x80000000, v4
	v_cndmask_b32_e32 v2, v25, v2, vcc
	v_lshl_add_u32 v3, v3, 23, v4
	v_lshl_or_b32 v2, v2, 21, v3
	v_add_u32_e32 v4, 0x38000000, v2
                                        ; implicit-def: $vgpr25
.LBB6_1905:                             ;   in Loop: Header=BB6_129 Depth=2
	s_andn2_saveexec_b64 s[88:89], s[88:89]
; %bb.1906:                             ;   in Loop: Header=BB6_129 Depth=2
	v_cmp_lt_i16_e32 vcc, -1, v10
	v_mov_b32_e32 v2, 0xff800000
	v_mov_b32_e32 v3, 0x7f800000
	v_cndmask_b32_e32 v2, v2, v3, vcc
	v_cmp_eq_u32_e32 vcc, 0, v25
	v_mov_b32_e32 v3, 0x7f800001
	v_cndmask_b32_e32 v4, v3, v2, vcc
; %bb.1907:                             ;   in Loop: Header=BB6_129 Depth=2
	s_or_b64 exec, exec, s[88:89]
.LBB6_1908:                             ;   in Loop: Header=BB6_129 Depth=2
	s_or_b64 exec, exec, s[78:79]
.LBB6_1909:                             ;   in Loop: Header=BB6_129 Depth=2
	s_or_b64 exec, exec, s[20:21]
	v_mul_f32_e32 v2, v24, v4
	v_and_b32_e32 v3, 0x7f800000, v2
	v_mov_b32_e32 v4, v28
	v_cmp_ne_u64_e32 vcc, s[60:61], v[3:4]
	v_and_b32_e32 v27, 0x7fffff, v2
                                        ; implicit-def: $vgpr24
	s_and_saveexec_b64 s[20:21], vcc
	s_xor_b64 s[78:79], exec, s[20:21]
	s_cbranch_execz .LBB6_1923
; %bb.1910:                             ;   in Loop: Header=BB6_129 Depth=2
	v_and_b32_e32 v3, 0x7fffffff, v2
	v_mov_b32_e32 v4, v28
	v_cmp_gt_u64_e32 vcc, s[62:63], v[3:4]
	v_and_b32_sdwa v25, v2, s55 dst_sel:DWORD dst_unused:UNUSED_PAD src0_sel:BYTE_3 src1_sel:DWORD
                                        ; implicit-def: $vgpr24
	s_and_saveexec_b64 s[20:21], vcc
	s_xor_b64 s[88:89], exec, s[20:21]
	s_cbranch_execz .LBB6_1920
; %bb.1911:                             ;   in Loop: Header=BB6_129 Depth=2
	v_mov_b32_e32 v24, 0
	v_cmp_ne_u32_e32 vcc, 0, v2
	s_and_saveexec_b64 s[90:91], vcc
	s_cbranch_execz .LBB6_1919
; %bb.1912:                             ;   in Loop: Header=BB6_129 Depth=2
	v_bfe_u32 v24, v2, 23, 8
	v_cmp_gt_u32_e64 s[20:21], s64, v24
	v_sub_u32_e32 v2, 0x71, v24
	v_cmp_eq_u32_e32 vcc, 0, v24
	v_cndmask_b32_e64 v2, 0, v2, s[20:21]
	v_mov_b32_e32 v4, 0x70
	v_cndmask_b32_e32 v37, v2, v4, vcc
	v_add_u32_e32 v4, 21, v37
	v_or_b32_e32 v3, 0x800000, v27
	v_lshlrev_b64 v[38:39], v4, -1
	v_cndmask_b32_e32 v2, v3, v27, vcc
	v_mov_b32_e32 v3, v28
	v_add_u32_e32 v4, 20, v37
	v_bfi_b32 v38, v38, 0, v2
	v_lshlrev_b64 v[48:49], v4, 1
	v_lshrrev_b64 v[2:3], v37, v[2:3]
	v_bfi_b32 v39, v39, 0, 0
	v_cmp_eq_u64_e64 s[20:21], v[38:39], v[48:49]
	v_mov_b32_e32 v4, v3
	v_mov_b32_e32 v3, v2
	s_and_saveexec_b64 s[92:93], s[20:21]
; %bb.1913:                             ;   in Loop: Header=BB6_129 Depth=2
	v_bfe_u32 v3, v2, 21, 1
	v_add_co_u32_e64 v3, s[20:21], v2, v3
	v_add_co_u32_e64 v3, s[20:21], -1, v3
; %bb.1914:                             ;   in Loop: Header=BB6_129 Depth=2
	s_or_b64 exec, exec, s[92:93]
	v_add_u32_e32 v4, 0xffffff81, v24
	v_mov_b32_e32 v24, 0xffffff82
	v_cndmask_b32_e32 v4, v4, v24, vcc
	v_lshrrev_b32_e32 v24, 23, v2
	v_add3_u32 v37, v37, v4, v24
	v_add_u32_e32 v24, 14, v37
	v_and_b32_e32 v3, 0x1fffff, v3
	v_add_u32_e32 v27, v3, v2
	v_cmp_ne_u32_e32 vcc, 0, v24
                                        ; implicit-def: $vgpr2_vgpr3
                                        ; implicit-def: $vgpr4
	s_and_saveexec_b64 s[20:21], vcc
	s_xor_b64 s[20:21], exec, s[20:21]
; %bb.1915:                             ;   in Loop: Header=BB6_129 Depth=2
	v_cmp_lt_u64_e32 vcc, s[72:73], v[27:28]
	v_add_u32_e32 v2, 15, v37
	v_cndmask_b32_e32 v4, v24, v2, vcc
	v_cndmask_b32_e64 v2, 0, 1, vcc
	v_lshrrev_b64 v[2:3], v2, v[27:28]
; %bb.1916:                             ;   in Loop: Header=BB6_129 Depth=2
	s_andn2_saveexec_b64 s[20:21], s[20:21]
; %bb.1917:                             ;   in Loop: Header=BB6_129 Depth=2
	v_mov_b32_e32 v2, v27
	v_mov_b32_e32 v3, v28
	v_bfe_u32 v4, v27, 23, 1
; %bb.1918:                             ;   in Loop: Header=BB6_129 Depth=2
	s_or_b64 exec, exec, s[20:21]
	v_lshrrev_b64 v[2:3], 21, v[2:3]
	v_cmp_gt_i32_e32 vcc, 32, v4
	v_cndmask_b32_e32 v3, 0, v3, vcc
	v_cndmask_b32_e32 v2, 3, v2, vcc
	v_cmp_eq_u64_e64 s[20:21], 0, v[2:3]
	v_min_i32_e32 v3, 31, v4
	v_lshlrev_b32_e32 v3, 2, v3
	v_cmp_eq_u32_e32 vcc, 0, v4
	v_and_b32_e32 v3, 0xfc, v3
	v_and_or_b32 v2, v2, 3, v3
	s_and_b64 s[20:21], vcc, s[20:21]
	v_cndmask_b32_e64 v2, v2, 0, s[20:21]
	v_or_b32_e32 v24, v2, v25
.LBB6_1919:                             ;   in Loop: Header=BB6_129 Depth=2
	s_or_b64 exec, exec, s[90:91]
                                        ; implicit-def: $vgpr25
.LBB6_1920:                             ;   in Loop: Header=BB6_129 Depth=2
	s_andn2_saveexec_b64 s[20:21], s[88:89]
; %bb.1921:                             ;   in Loop: Header=BB6_129 Depth=2
	v_or_b32_e32 v24, 0x7b, v25
; %bb.1922:                             ;   in Loop: Header=BB6_129 Depth=2
	s_or_b64 exec, exec, s[20:21]
                                        ; implicit-def: $vgpr2
.LBB6_1923:                             ;   in Loop: Header=BB6_129 Depth=2
	s_andn2_saveexec_b64 s[20:21], s[78:79]
	s_cbranch_execz .LBB6_1929
; %bb.1924:                             ;   in Loop: Header=BB6_129 Depth=2
	v_cmp_ne_u64_e32 vcc, 0, v[27:28]
                                        ; implicit-def: $vgpr24
	s_and_saveexec_b64 s[78:79], vcc
	s_xor_b64 s[78:79], exec, s[78:79]
; %bb.1925:                             ;   in Loop: Header=BB6_129 Depth=2
	v_or_b32_sdwa v24, v2, s65 dst_sel:DWORD dst_unused:UNUSED_PAD src0_sel:BYTE_3 src1_sel:DWORD
                                        ; implicit-def: $vgpr2
; %bb.1926:                             ;   in Loop: Header=BB6_129 Depth=2
	s_andn2_saveexec_b64 s[78:79], s[78:79]
; %bb.1927:                             ;   in Loop: Header=BB6_129 Depth=2
	v_cmp_lt_i32_e32 vcc, -1, v2
	v_bfrev_b32_e32 v2, 0.5
	v_mov_b32_e32 v3, 0x7c
	v_cndmask_b32_e32 v24, v2, v3, vcc
; %bb.1928:                             ;   in Loop: Header=BB6_129 Depth=2
	s_or_b64 exec, exec, s[78:79]
.LBB6_1929:                             ;   in Loop: Header=BB6_129 Depth=2
	s_or_b64 exec, exec, s[20:21]
	v_lshrrev_b32_e32 v2, 16, v14
	v_cmp_ne_u16_sdwa s[78:79], v2, v28 src0_sel:BYTE_0 src1_sel:DWORD
	v_mov_b32_e32 v3, 0
	v_mov_b32_e32 v4, 0
	s_and_saveexec_b64 s[20:21], s[78:79]
	s_cbranch_execz .LBB6_1937
; %bb.1930:                             ;   in Loop: Header=BB6_129 Depth=2
	v_cmp_ne_u16_sdwa s[88:89], v2, s55 src0_sel:BYTE_0 src1_sel:DWORD
	v_bfrev_b32_e32 v4, 1
	s_and_saveexec_b64 s[78:79], s[88:89]
	s_cbranch_execz .LBB6_1936
; %bb.1931:                             ;   in Loop: Header=BB6_129 Depth=2
	v_and_b32_e32 v4, 0x7c0000, v14
	v_bfe_u32 v25, v14, 16, 2
	v_cmp_ne_u32_e32 vcc, s66, v4
                                        ; implicit-def: $vgpr4
	s_and_saveexec_b64 s[88:89], vcc
	s_xor_b64 s[88:89], exec, s[88:89]
	s_cbranch_execz .LBB6_1933
; %bb.1932:                             ;   in Loop: Header=BB6_129 Depth=2
	v_ffbh_u32_e32 v27, v25
	v_min_u32_e32 v27, 32, v27
	v_subrev_u32_e32 v32, 29, v27
	v_lshlrev_b64 v[37:38], v32, v[2:3]
	v_bfe_u32 v4, v14, 18, 5
	v_sub_u32_e32 v2, 30, v27
	v_and_b32_e32 v27, 3, v37
	v_cmp_eq_u32_e32 vcc, 0, v4
	v_cndmask_b32_e32 v2, v4, v2, vcc
	v_cndmask_b32_e32 v4, v25, v27, vcc
	v_lshlrev_b32_e32 v25, 8, v14
	v_and_b32_e32 v25, 0x80000000, v25
	v_lshl_add_u32 v2, v2, 23, v25
	v_lshl_or_b32 v2, v4, 21, v2
	v_add_u32_e32 v4, 0x38000000, v2
                                        ; implicit-def: $vgpr25
                                        ; implicit-def: $vgpr2
.LBB6_1933:                             ;   in Loop: Header=BB6_129 Depth=2
	s_andn2_saveexec_b64 s[88:89], s[88:89]
; %bb.1934:                             ;   in Loop: Header=BB6_129 Depth=2
	v_mov_b32_e32 v4, -1
	v_cmp_gt_i16_sdwa vcc, sext(v2), v4 src0_sel:BYTE_0 src1_sel:DWORD
	v_mov_b32_e32 v2, 0xff800000
	v_mov_b32_e32 v4, 0x7f800000
	v_cndmask_b32_e32 v2, v2, v4, vcc
	v_cmp_eq_u32_e32 vcc, 0, v25
	v_mov_b32_e32 v4, 0x7f800001
	v_cndmask_b32_e32 v4, v4, v2, vcc
; %bb.1935:                             ;   in Loop: Header=BB6_129 Depth=2
	s_or_b64 exec, exec, s[88:89]
.LBB6_1936:                             ;   in Loop: Header=BB6_129 Depth=2
	s_or_b64 exec, exec, s[78:79]
.LBB6_1937:                             ;   in Loop: Header=BB6_129 Depth=2
	s_or_b64 exec, exec, s[20:21]
	v_lshrrev_b32_e32 v2, 16, v10
	v_cmp_ne_u16_sdwa s[78:79], v2, v28 src0_sel:BYTE_0 src1_sel:DWORD
	s_and_saveexec_b64 s[20:21], s[78:79]
	s_cbranch_execz .LBB6_1945
; %bb.1938:                             ;   in Loop: Header=BB6_129 Depth=2
	v_cmp_ne_u16_sdwa s[88:89], v2, s55 src0_sel:BYTE_0 src1_sel:DWORD
	v_bfrev_b32_e32 v3, 1
	s_and_saveexec_b64 s[78:79], s[88:89]
	s_cbranch_execz .LBB6_1944
; %bb.1939:                             ;   in Loop: Header=BB6_129 Depth=2
	v_and_b32_e32 v3, 0x7c0000, v10
	v_bfe_u32 v25, v10, 16, 2
	v_cmp_ne_u32_e32 vcc, s66, v3
                                        ; implicit-def: $vgpr3
	s_and_saveexec_b64 s[88:89], vcc
	s_xor_b64 s[88:89], exec, s[88:89]
	s_cbranch_execz .LBB6_1941
; %bb.1940:                             ;   in Loop: Header=BB6_129 Depth=2
	v_ffbh_u32_e32 v3, v25
	v_min_u32_e32 v32, 32, v3
	v_subrev_u32_e32 v3, 29, v32
	v_lshlrev_b64 v[2:3], v3, v[2:3]
	v_bfe_u32 v27, v10, 18, 5
	v_and_b32_e32 v2, 3, v2
	v_cmp_eq_u32_e32 vcc, 0, v27
	v_sub_u32_e32 v3, 30, v32
	v_cndmask_b32_e32 v2, v25, v2, vcc
	v_lshlrev_b32_e32 v25, 8, v10
	v_cndmask_b32_e32 v3, v27, v3, vcc
	v_and_b32_e32 v25, 0x80000000, v25
	v_lshl_add_u32 v3, v3, 23, v25
	v_lshl_or_b32 v2, v2, 21, v3
	v_add_u32_e32 v3, 0x38000000, v2
                                        ; implicit-def: $vgpr25
                                        ; implicit-def: $vgpr2
.LBB6_1941:                             ;   in Loop: Header=BB6_129 Depth=2
	s_andn2_saveexec_b64 s[88:89], s[88:89]
; %bb.1942:                             ;   in Loop: Header=BB6_129 Depth=2
	v_mov_b32_e32 v3, -1
	v_cmp_gt_i16_sdwa vcc, sext(v2), v3 src0_sel:BYTE_0 src1_sel:DWORD
	v_mov_b32_e32 v2, 0xff800000
	v_mov_b32_e32 v3, 0x7f800000
	v_cndmask_b32_e32 v2, v2, v3, vcc
	v_cmp_eq_u32_e32 vcc, 0, v25
	v_mov_b32_e32 v3, 0x7f800001
	v_cndmask_b32_e32 v3, v3, v2, vcc
; %bb.1943:                             ;   in Loop: Header=BB6_129 Depth=2
	s_or_b64 exec, exec, s[88:89]
.LBB6_1944:                             ;   in Loop: Header=BB6_129 Depth=2
	s_or_b64 exec, exec, s[78:79]
.LBB6_1945:                             ;   in Loop: Header=BB6_129 Depth=2
	s_or_b64 exec, exec, s[20:21]
	v_mul_f32_e32 v2, v4, v3
	v_and_b32_e32 v3, 0x7f800000, v2
	v_mov_b32_e32 v4, v28
	v_cmp_ne_u64_e32 vcc, s[60:61], v[3:4]
	v_and_b32_e32 v27, 0x7fffff, v2
                                        ; implicit-def: $vgpr25
	s_and_saveexec_b64 s[20:21], vcc
	s_xor_b64 s[78:79], exec, s[20:21]
	s_cbranch_execz .LBB6_1959
; %bb.1946:                             ;   in Loop: Header=BB6_129 Depth=2
	v_and_b32_e32 v3, 0x7fffffff, v2
	v_mov_b32_e32 v4, v28
	v_cmp_gt_u64_e32 vcc, s[62:63], v[3:4]
	v_and_b32_sdwa v37, v2, s55 dst_sel:DWORD dst_unused:UNUSED_PAD src0_sel:BYTE_3 src1_sel:DWORD
                                        ; implicit-def: $vgpr25
	s_and_saveexec_b64 s[20:21], vcc
	s_xor_b64 s[88:89], exec, s[20:21]
	s_cbranch_execz .LBB6_1956
; %bb.1947:                             ;   in Loop: Header=BB6_129 Depth=2
	v_mov_b32_e32 v25, 0
	v_cmp_ne_u32_e32 vcc, 0, v2
	s_and_saveexec_b64 s[90:91], vcc
	s_cbranch_execz .LBB6_1955
; %bb.1948:                             ;   in Loop: Header=BB6_129 Depth=2
	v_bfe_u32 v25, v2, 23, 8
	v_cmp_gt_u32_e64 s[20:21], s64, v25
	v_sub_u32_e32 v2, 0x71, v25
	v_cmp_eq_u32_e32 vcc, 0, v25
	v_cndmask_b32_e64 v2, 0, v2, s[20:21]
	v_mov_b32_e32 v4, 0x70
	v_cndmask_b32_e32 v38, v2, v4, vcc
	v_add_u32_e32 v4, 21, v38
	v_or_b32_e32 v3, 0x800000, v27
	v_lshlrev_b64 v[48:49], v4, -1
	v_cndmask_b32_e32 v2, v3, v27, vcc
	v_mov_b32_e32 v3, v28
	v_add_u32_e32 v4, 20, v38
	v_bfi_b32 v48, v48, 0, v2
	v_lshlrev_b64 v[41:42], v4, 1
	v_lshrrev_b64 v[2:3], v38, v[2:3]
	v_bfi_b32 v49, v49, 0, 0
	v_cmp_eq_u64_e64 s[20:21], v[48:49], v[41:42]
	v_mov_b32_e32 v4, v3
	v_mov_b32_e32 v3, v2
	s_and_saveexec_b64 s[92:93], s[20:21]
; %bb.1949:                             ;   in Loop: Header=BB6_129 Depth=2
	v_bfe_u32 v3, v2, 21, 1
	v_add_co_u32_e64 v3, s[20:21], v2, v3
	v_add_co_u32_e64 v3, s[20:21], -1, v3
; %bb.1950:                             ;   in Loop: Header=BB6_129 Depth=2
	s_or_b64 exec, exec, s[92:93]
	v_add_u32_e32 v4, 0xffffff81, v25
	v_mov_b32_e32 v25, 0xffffff82
	v_cndmask_b32_e32 v4, v4, v25, vcc
	v_lshrrev_b32_e32 v25, 23, v2
	v_add3_u32 v38, v38, v4, v25
	v_add_u32_e32 v25, 14, v38
	v_and_b32_e32 v3, 0x1fffff, v3
	v_add_u32_e32 v27, v3, v2
	v_cmp_ne_u32_e32 vcc, 0, v25
                                        ; implicit-def: $vgpr2_vgpr3
                                        ; implicit-def: $vgpr4
	s_and_saveexec_b64 s[20:21], vcc
	s_xor_b64 s[20:21], exec, s[20:21]
; %bb.1951:                             ;   in Loop: Header=BB6_129 Depth=2
	v_cmp_lt_u64_e32 vcc, s[72:73], v[27:28]
	v_add_u32_e32 v2, 15, v38
	v_cndmask_b32_e32 v4, v25, v2, vcc
	v_cndmask_b32_e64 v2, 0, 1, vcc
	v_lshrrev_b64 v[2:3], v2, v[27:28]
; %bb.1952:                             ;   in Loop: Header=BB6_129 Depth=2
	s_andn2_saveexec_b64 s[20:21], s[20:21]
; %bb.1953:                             ;   in Loop: Header=BB6_129 Depth=2
	v_mov_b32_e32 v2, v27
	v_mov_b32_e32 v3, v28
	v_bfe_u32 v4, v27, 23, 1
; %bb.1954:                             ;   in Loop: Header=BB6_129 Depth=2
	s_or_b64 exec, exec, s[20:21]
	v_lshrrev_b64 v[2:3], 21, v[2:3]
	v_cmp_gt_i32_e32 vcc, 32, v4
	v_cndmask_b32_e32 v3, 0, v3, vcc
	v_cndmask_b32_e32 v2, 3, v2, vcc
	v_cmp_eq_u64_e64 s[20:21], 0, v[2:3]
	v_min_i32_e32 v3, 31, v4
	v_lshlrev_b32_e32 v3, 2, v3
	v_cmp_eq_u32_e32 vcc, 0, v4
	v_and_b32_e32 v3, 0xfc, v3
	v_and_or_b32 v2, v2, 3, v3
	s_and_b64 s[20:21], vcc, s[20:21]
	v_cndmask_b32_e64 v2, v2, 0, s[20:21]
	v_or_b32_e32 v25, v2, v37
.LBB6_1955:                             ;   in Loop: Header=BB6_129 Depth=2
	s_or_b64 exec, exec, s[90:91]
                                        ; implicit-def: $vgpr37
.LBB6_1956:                             ;   in Loop: Header=BB6_129 Depth=2
	s_andn2_saveexec_b64 s[20:21], s[88:89]
; %bb.1957:                             ;   in Loop: Header=BB6_129 Depth=2
	v_or_b32_e32 v25, 0x7b, v37
; %bb.1958:                             ;   in Loop: Header=BB6_129 Depth=2
	s_or_b64 exec, exec, s[20:21]
                                        ; implicit-def: $vgpr2
.LBB6_1959:                             ;   in Loop: Header=BB6_129 Depth=2
	s_andn2_saveexec_b64 s[20:21], s[78:79]
	s_cbranch_execz .LBB6_1965
; %bb.1960:                             ;   in Loop: Header=BB6_129 Depth=2
	v_cmp_ne_u64_e32 vcc, 0, v[27:28]
                                        ; implicit-def: $vgpr25
	s_and_saveexec_b64 s[78:79], vcc
	s_xor_b64 s[78:79], exec, s[78:79]
; %bb.1961:                             ;   in Loop: Header=BB6_129 Depth=2
	v_or_b32_sdwa v25, v2, s65 dst_sel:DWORD dst_unused:UNUSED_PAD src0_sel:BYTE_3 src1_sel:DWORD
                                        ; implicit-def: $vgpr2
; %bb.1962:                             ;   in Loop: Header=BB6_129 Depth=2
	s_andn2_saveexec_b64 s[78:79], s[78:79]
; %bb.1963:                             ;   in Loop: Header=BB6_129 Depth=2
	v_cmp_lt_i32_e32 vcc, -1, v2
	v_bfrev_b32_e32 v2, 0.5
	v_mov_b32_e32 v3, 0x7c
	v_cndmask_b32_e32 v25, v2, v3, vcc
; %bb.1964:                             ;   in Loop: Header=BB6_129 Depth=2
	s_or_b64 exec, exec, s[78:79]
.LBB6_1965:                             ;   in Loop: Header=BB6_129 Depth=2
	s_or_b64 exec, exec, s[20:21]
	v_cmp_lt_u32_e32 vcc, s59, v14
	v_mov_b32_e32 v3, 0
	v_mov_b32_e32 v4, 0
	s_and_saveexec_b64 s[20:21], vcc
	s_cbranch_execz .LBB6_1973
; %bb.1966:                             ;   in Loop: Header=BB6_129 Depth=2
	v_lshrrev_b32_e32 v2, 24, v14
	v_cmp_ne_u32_e32 vcc, s55, v2
	v_bfrev_b32_e32 v4, 1
	s_and_saveexec_b64 s[78:79], vcc
	s_cbranch_execz .LBB6_1972
; %bb.1967:                             ;   in Loop: Header=BB6_129 Depth=2
	v_and_b32_e32 v4, 0x7c000000, v14
	v_bfe_u32 v27, v14, 24, 2
	v_cmp_ne_u32_e32 vcc, s67, v4
                                        ; implicit-def: $vgpr4
	s_and_saveexec_b64 s[88:89], vcc
	s_xor_b64 s[88:89], exec, s[88:89]
	s_cbranch_execz .LBB6_1969
; %bb.1968:                             ;   in Loop: Header=BB6_129 Depth=2
	v_ffbh_u32_e32 v32, v27
	v_min_u32_e32 v32, 32, v32
	v_subrev_u32_e32 v33, 29, v32
	v_lshlrev_b64 v[37:38], v33, v[2:3]
	v_bfe_u32 v4, v14, 26, 5
	v_sub_u32_e32 v2, 30, v32
	v_and_b32_e32 v32, 3, v37
	v_cmp_eq_u32_e32 vcc, 0, v4
	v_cndmask_b32_e32 v2, v4, v2, vcc
	v_cndmask_b32_e32 v4, v27, v32, vcc
	v_and_b32_e32 v27, 0x80000000, v14
	v_lshl_add_u32 v2, v2, 23, v27
	v_lshl_or_b32 v2, v4, 21, v2
	v_add_u32_e32 v4, 0x38000000, v2
                                        ; implicit-def: $vgpr27
.LBB6_1969:                             ;   in Loop: Header=BB6_129 Depth=2
	s_andn2_saveexec_b64 s[88:89], s[88:89]
; %bb.1970:                             ;   in Loop: Header=BB6_129 Depth=2
	v_cmp_lt_i32_e32 vcc, -1, v14
	v_mov_b32_e32 v2, 0xff800000
	v_mov_b32_e32 v4, 0x7f800000
	v_cndmask_b32_e32 v2, v2, v4, vcc
	v_cmp_eq_u32_e32 vcc, 0, v27
	v_mov_b32_e32 v4, 0x7f800001
	v_cndmask_b32_e32 v4, v4, v2, vcc
; %bb.1971:                             ;   in Loop: Header=BB6_129 Depth=2
	s_or_b64 exec, exec, s[88:89]
.LBB6_1972:                             ;   in Loop: Header=BB6_129 Depth=2
	s_or_b64 exec, exec, s[78:79]
.LBB6_1973:                             ;   in Loop: Header=BB6_129 Depth=2
	s_or_b64 exec, exec, s[20:21]
	v_cmp_lt_u32_e32 vcc, s59, v10
	s_and_saveexec_b64 s[20:21], vcc
	s_cbranch_execz .LBB6_1981
; %bb.1974:                             ;   in Loop: Header=BB6_129 Depth=2
	v_lshrrev_b32_e32 v2, 24, v10
	v_cmp_ne_u32_e32 vcc, s55, v2
	v_bfrev_b32_e32 v3, 1
	s_and_saveexec_b64 s[78:79], vcc
	s_cbranch_execz .LBB6_1980
; %bb.1975:                             ;   in Loop: Header=BB6_129 Depth=2
	v_and_b32_e32 v3, 0x7c000000, v10
	v_bfe_u32 v27, v10, 24, 2
	v_cmp_ne_u32_e32 vcc, s67, v3
                                        ; implicit-def: $vgpr3
	s_and_saveexec_b64 s[88:89], vcc
	s_xor_b64 s[88:89], exec, s[88:89]
	s_cbranch_execz .LBB6_1977
; %bb.1976:                             ;   in Loop: Header=BB6_129 Depth=2
	v_ffbh_u32_e32 v3, v27
	v_min_u32_e32 v33, 32, v3
	v_subrev_u32_e32 v3, 29, v33
	v_lshlrev_b64 v[2:3], v3, v[2:3]
	v_bfe_u32 v32, v10, 26, 5
	v_sub_u32_e32 v3, 30, v33
	v_and_b32_e32 v2, 3, v2
	v_cmp_eq_u32_e32 vcc, 0, v32
	v_cndmask_b32_e32 v3, v32, v3, vcc
	v_cndmask_b32_e32 v2, v27, v2, vcc
	v_and_b32_e32 v27, 0x80000000, v10
	v_lshl_add_u32 v3, v3, 23, v27
	v_lshl_or_b32 v2, v2, 21, v3
	v_add_u32_e32 v3, 0x38000000, v2
                                        ; implicit-def: $vgpr27
.LBB6_1977:                             ;   in Loop: Header=BB6_129 Depth=2
	s_andn2_saveexec_b64 s[88:89], s[88:89]
; %bb.1978:                             ;   in Loop: Header=BB6_129 Depth=2
	v_cmp_lt_i32_e32 vcc, -1, v10
	v_mov_b32_e32 v2, 0xff800000
	v_mov_b32_e32 v3, 0x7f800000
	v_cndmask_b32_e32 v2, v2, v3, vcc
	v_cmp_eq_u32_e32 vcc, 0, v27
	v_mov_b32_e32 v3, 0x7f800001
	v_cndmask_b32_e32 v3, v3, v2, vcc
; %bb.1979:                             ;   in Loop: Header=BB6_129 Depth=2
	s_or_b64 exec, exec, s[88:89]
.LBB6_1980:                             ;   in Loop: Header=BB6_129 Depth=2
	s_or_b64 exec, exec, s[78:79]
.LBB6_1981:                             ;   in Loop: Header=BB6_129 Depth=2
	s_or_b64 exec, exec, s[20:21]
	v_mul_f32_e32 v2, v4, v3
	v_and_b32_e32 v3, 0x7f800000, v2
	v_mov_b32_e32 v4, v28
	v_cmp_ne_u64_e32 vcc, s[60:61], v[3:4]
	v_and_b32_e32 v27, 0x7fffff, v2
                                        ; implicit-def: $vgpr37
	s_and_saveexec_b64 s[20:21], vcc
	s_xor_b64 s[78:79], exec, s[20:21]
	s_cbranch_execz .LBB6_1995
; %bb.1982:                             ;   in Loop: Header=BB6_129 Depth=2
	v_and_b32_e32 v3, 0x7fffffff, v2
	v_mov_b32_e32 v4, v28
	v_cmp_gt_u64_e32 vcc, s[62:63], v[3:4]
	v_and_b32_sdwa v38, v2, s55 dst_sel:DWORD dst_unused:UNUSED_PAD src0_sel:BYTE_3 src1_sel:DWORD
                                        ; implicit-def: $vgpr37
	s_and_saveexec_b64 s[20:21], vcc
	s_xor_b64 s[88:89], exec, s[20:21]
	s_cbranch_execz .LBB6_1992
; %bb.1983:                             ;   in Loop: Header=BB6_129 Depth=2
	v_mov_b32_e32 v37, 0
	v_cmp_ne_u32_e32 vcc, 0, v2
	s_and_saveexec_b64 s[90:91], vcc
	s_cbranch_execz .LBB6_1991
; %bb.1984:                             ;   in Loop: Header=BB6_129 Depth=2
	v_bfe_u32 v37, v2, 23, 8
	v_cmp_gt_u32_e64 s[20:21], s64, v37
	v_sub_u32_e32 v2, 0x71, v37
	v_cmp_eq_u32_e32 vcc, 0, v37
	v_cndmask_b32_e64 v2, 0, v2, s[20:21]
	v_mov_b32_e32 v4, 0x70
	v_cndmask_b32_e32 v39, v2, v4, vcc
	v_add_u32_e32 v4, 21, v39
	v_or_b32_e32 v3, 0x800000, v27
	v_lshlrev_b64 v[48:49], v4, -1
	v_cndmask_b32_e32 v2, v3, v27, vcc
	v_mov_b32_e32 v3, v28
	v_add_u32_e32 v4, 20, v39
	v_bfi_b32 v48, v48, 0, v2
	v_lshlrev_b64 v[41:42], v4, 1
	v_lshrrev_b64 v[2:3], v39, v[2:3]
	v_bfi_b32 v49, v49, 0, 0
	v_cmp_eq_u64_e64 s[20:21], v[48:49], v[41:42]
	v_mov_b32_e32 v4, v3
	v_mov_b32_e32 v3, v2
	s_and_saveexec_b64 s[92:93], s[20:21]
; %bb.1985:                             ;   in Loop: Header=BB6_129 Depth=2
	v_bfe_u32 v3, v2, 21, 1
	v_add_co_u32_e64 v3, s[20:21], v2, v3
	v_add_co_u32_e64 v3, s[20:21], -1, v3
; %bb.1986:                             ;   in Loop: Header=BB6_129 Depth=2
	s_or_b64 exec, exec, s[92:93]
	v_add_u32_e32 v4, 0xffffff81, v37
	v_mov_b32_e32 v27, 0xffffff82
	v_cndmask_b32_e32 v4, v4, v27, vcc
	v_lshrrev_b32_e32 v27, 23, v2
	v_add3_u32 v39, v39, v4, v27
	v_add_u32_e32 v37, 14, v39
	v_and_b32_e32 v3, 0x1fffff, v3
	v_add_u32_e32 v27, v3, v2
	v_cmp_ne_u32_e32 vcc, 0, v37
                                        ; implicit-def: $vgpr2_vgpr3
                                        ; implicit-def: $vgpr4
	s_and_saveexec_b64 s[20:21], vcc
	s_xor_b64 s[20:21], exec, s[20:21]
; %bb.1987:                             ;   in Loop: Header=BB6_129 Depth=2
	v_cmp_lt_u64_e32 vcc, s[72:73], v[27:28]
	v_add_u32_e32 v2, 15, v39
	v_cndmask_b32_e32 v4, v37, v2, vcc
	v_cndmask_b32_e64 v2, 0, 1, vcc
	v_lshrrev_b64 v[2:3], v2, v[27:28]
; %bb.1988:                             ;   in Loop: Header=BB6_129 Depth=2
	s_andn2_saveexec_b64 s[20:21], s[20:21]
; %bb.1989:                             ;   in Loop: Header=BB6_129 Depth=2
	v_mov_b32_e32 v2, v27
	v_mov_b32_e32 v3, v28
	v_bfe_u32 v4, v27, 23, 1
; %bb.1990:                             ;   in Loop: Header=BB6_129 Depth=2
	s_or_b64 exec, exec, s[20:21]
	v_lshrrev_b64 v[2:3], 21, v[2:3]
	v_cmp_gt_i32_e32 vcc, 32, v4
	v_cndmask_b32_e32 v3, 0, v3, vcc
	v_cndmask_b32_e32 v2, 3, v2, vcc
	v_cmp_eq_u64_e64 s[20:21], 0, v[2:3]
	v_min_i32_e32 v3, 31, v4
	v_lshlrev_b32_e32 v3, 2, v3
	v_cmp_eq_u32_e32 vcc, 0, v4
	v_and_b32_e32 v3, 0xfc, v3
	v_and_or_b32 v2, v2, 3, v3
	s_and_b64 s[20:21], vcc, s[20:21]
	v_cndmask_b32_e64 v2, v2, 0, s[20:21]
	v_or_b32_e32 v37, v2, v38
.LBB6_1991:                             ;   in Loop: Header=BB6_129 Depth=2
	s_or_b64 exec, exec, s[90:91]
                                        ; implicit-def: $vgpr38
.LBB6_1992:                             ;   in Loop: Header=BB6_129 Depth=2
	s_andn2_saveexec_b64 s[20:21], s[88:89]
; %bb.1993:                             ;   in Loop: Header=BB6_129 Depth=2
	v_or_b32_e32 v37, 0x7b, v38
; %bb.1994:                             ;   in Loop: Header=BB6_129 Depth=2
	s_or_b64 exec, exec, s[20:21]
                                        ; implicit-def: $vgpr2
.LBB6_1995:                             ;   in Loop: Header=BB6_129 Depth=2
	s_andn2_saveexec_b64 s[20:21], s[78:79]
	s_cbranch_execz .LBB6_2001
; %bb.1996:                             ;   in Loop: Header=BB6_129 Depth=2
	v_cmp_ne_u64_e32 vcc, 0, v[27:28]
                                        ; implicit-def: $vgpr37
	s_and_saveexec_b64 s[78:79], vcc
	s_xor_b64 s[78:79], exec, s[78:79]
; %bb.1997:                             ;   in Loop: Header=BB6_129 Depth=2
	v_or_b32_sdwa v37, v2, s65 dst_sel:DWORD dst_unused:UNUSED_PAD src0_sel:BYTE_3 src1_sel:DWORD
                                        ; implicit-def: $vgpr2
; %bb.1998:                             ;   in Loop: Header=BB6_129 Depth=2
	s_andn2_saveexec_b64 s[78:79], s[78:79]
; %bb.1999:                             ;   in Loop: Header=BB6_129 Depth=2
	v_cmp_lt_i32_e32 vcc, -1, v2
	v_bfrev_b32_e32 v2, 0.5
	v_mov_b32_e32 v3, 0x7c
	v_cndmask_b32_e32 v37, v2, v3, vcc
; %bb.2000:                             ;   in Loop: Header=BB6_129 Depth=2
	s_or_b64 exec, exec, s[78:79]
.LBB6_2001:                             ;   in Loop: Header=BB6_129 Depth=2
	s_or_b64 exec, exec, s[20:21]
	v_mov_b32_e32 v27, v15
	v_cmp_ne_u16_sdwa s[78:79], v15, v28 src0_sel:BYTE_0 src1_sel:DWORD
	v_mov_b32_e32 v3, 0
	v_mov_b32_e32 v2, 0
	s_and_saveexec_b64 s[20:21], s[78:79]
	s_cbranch_execz .LBB6_2009
; %bb.2002:                             ;   in Loop: Header=BB6_129 Depth=2
	v_cmp_ne_u16_sdwa s[88:89], v15, s55 src0_sel:BYTE_0 src1_sel:DWORD
	v_bfrev_b32_e32 v2, 1
	s_and_saveexec_b64 s[78:79], s[88:89]
	s_cbranch_execz .LBB6_2008
; %bb.2003:                             ;   in Loop: Header=BB6_129 Depth=2
	v_and_b32_e32 v2, 0x7c, v15
	v_and_b32_e32 v4, 3, v15
	v_cmp_ne_u32_e32 vcc, s53, v2
                                        ; implicit-def: $vgpr2
	s_and_saveexec_b64 s[88:89], vcc
	s_xor_b64 s[88:89], exec, s[88:89]
	s_cbranch_execz .LBB6_2005
; %bb.2004:                             ;   in Loop: Header=BB6_129 Depth=2
	v_ffbh_u32_e32 v32, v4
	v_min_u32_e32 v32, 32, v32
	v_bfe_u32 v2, v15, 2, 5
	v_subrev_u32_e32 v33, 29, v32
	v_lshlrev_b64 v[38:39], v33, v[27:28]
	v_sub_u32_e32 v32, 30, v32
	v_cmp_eq_u32_e32 vcc, 0, v2
	v_cndmask_b32_e32 v2, v2, v32, vcc
	v_lshlrev_b32_e32 v32, 24, v15
	v_and_b32_e32 v33, 3, v38
	v_and_b32_e32 v32, 0x80000000, v32
	v_cndmask_b32_e32 v4, v4, v33, vcc
	v_lshl_add_u32 v2, v2, 23, v32
	v_lshl_or_b32 v2, v4, 21, v2
	v_add_u32_e32 v2, 0x38000000, v2
                                        ; implicit-def: $vgpr4
.LBB6_2005:                             ;   in Loop: Header=BB6_129 Depth=2
	s_andn2_saveexec_b64 s[88:89], s[88:89]
; %bb.2006:                             ;   in Loop: Header=BB6_129 Depth=2
	v_mov_b32_e32 v2, -1
	v_cmp_gt_i16_sdwa vcc, sext(v15), v2 src0_sel:BYTE_0 src1_sel:DWORD
	v_mov_b32_e32 v2, 0xff800000
	v_mov_b32_e32 v32, 0x7f800000
	v_cndmask_b32_e32 v2, v2, v32, vcc
	v_cmp_eq_u32_e32 vcc, 0, v4
	v_mov_b32_e32 v4, 0x7f800001
	v_cndmask_b32_e32 v2, v4, v2, vcc
; %bb.2007:                             ;   in Loop: Header=BB6_129 Depth=2
	s_or_b64 exec, exec, s[88:89]
.LBB6_2008:                             ;   in Loop: Header=BB6_129 Depth=2
	s_or_b64 exec, exec, s[78:79]
.LBB6_2009:                             ;   in Loop: Header=BB6_129 Depth=2
	s_or_b64 exec, exec, s[20:21]
	v_cmp_ne_u16_sdwa s[78:79], v11, v28 src0_sel:BYTE_0 src1_sel:DWORD
	s_and_saveexec_b64 s[20:21], s[78:79]
	s_cbranch_execz .LBB6_2017
; %bb.2010:                             ;   in Loop: Header=BB6_129 Depth=2
	v_cmp_ne_u16_sdwa s[88:89], v11, s55 src0_sel:BYTE_0 src1_sel:DWORD
	v_bfrev_b32_e32 v3, 1
	s_and_saveexec_b64 s[78:79], s[88:89]
	s_cbranch_execz .LBB6_2016
; %bb.2011:                             ;   in Loop: Header=BB6_129 Depth=2
	v_and_b32_e32 v3, 0x7c, v11
	v_and_b32_e32 v4, 3, v11
	v_cmp_ne_u32_e32 vcc, s53, v3
                                        ; implicit-def: $vgpr3
	s_and_saveexec_b64 s[88:89], vcc
	s_xor_b64 s[88:89], exec, s[88:89]
	s_cbranch_execz .LBB6_2013
; %bb.2012:                             ;   in Loop: Header=BB6_129 Depth=2
	v_ffbh_u32_e32 v32, v4
	v_min_u32_e32 v32, 32, v32
	v_mov_b32_e32 v38, v11
	v_mov_b32_e32 v39, v28
	v_bfe_u32 v3, v11, 2, 5
	v_subrev_u32_e32 v33, 29, v32
	v_lshlrev_b64 v[38:39], v33, v[38:39]
	v_sub_u32_e32 v32, 30, v32
	v_cmp_eq_u32_e32 vcc, 0, v3
	v_cndmask_b32_e32 v3, v3, v32, vcc
	v_lshlrev_b32_e32 v32, 24, v11
	v_and_b32_e32 v33, 3, v38
	v_and_b32_e32 v32, 0x80000000, v32
	v_cndmask_b32_e32 v4, v4, v33, vcc
	v_lshl_add_u32 v3, v3, 23, v32
	v_lshl_or_b32 v3, v4, 21, v3
	v_add_u32_e32 v3, 0x38000000, v3
                                        ; implicit-def: $vgpr4
.LBB6_2013:                             ;   in Loop: Header=BB6_129 Depth=2
	s_andn2_saveexec_b64 s[88:89], s[88:89]
; %bb.2014:                             ;   in Loop: Header=BB6_129 Depth=2
	v_mov_b32_e32 v3, -1
	v_cmp_gt_i16_sdwa vcc, sext(v11), v3 src0_sel:BYTE_0 src1_sel:DWORD
	v_mov_b32_e32 v3, 0xff800000
	v_mov_b32_e32 v32, 0x7f800000
	v_cndmask_b32_e32 v3, v3, v32, vcc
	v_cmp_eq_u32_e32 vcc, 0, v4
	v_mov_b32_e32 v4, 0x7f800001
	v_cndmask_b32_e32 v3, v4, v3, vcc
; %bb.2015:                             ;   in Loop: Header=BB6_129 Depth=2
	s_or_b64 exec, exec, s[88:89]
.LBB6_2016:                             ;   in Loop: Header=BB6_129 Depth=2
	s_or_b64 exec, exec, s[78:79]
.LBB6_2017:                             ;   in Loop: Header=BB6_129 Depth=2
	s_or_b64 exec, exec, s[20:21]
	v_mul_f32_e32 v4, v2, v3
	v_and_b32_e32 v38, 0x7f800000, v4
	v_mov_b32_e32 v39, v28
	v_cmp_ne_u64_e32 vcc, s[60:61], v[38:39]
	v_and_b32_e32 v2, 0x7fffff, v4
	v_mov_b32_e32 v3, v28
                                        ; implicit-def: $vgpr48
	s_and_saveexec_b64 s[20:21], vcc
	s_xor_b64 s[78:79], exec, s[20:21]
	s_cbranch_execz .LBB6_2031
; %bb.2018:                             ;   in Loop: Header=BB6_129 Depth=2
	v_and_b32_e32 v38, 0x7fffffff, v4
	v_mov_b32_e32 v39, v28
	v_cmp_gt_u64_e32 vcc, s[62:63], v[38:39]
	v_and_b32_sdwa v38, v4, s55 dst_sel:DWORD dst_unused:UNUSED_PAD src0_sel:BYTE_3 src1_sel:DWORD
                                        ; implicit-def: $vgpr48
	s_and_saveexec_b64 s[20:21], vcc
	s_xor_b64 s[88:89], exec, s[20:21]
	s_cbranch_execz .LBB6_2028
; %bb.2019:                             ;   in Loop: Header=BB6_129 Depth=2
	v_mov_b32_e32 v48, 0
	v_cmp_ne_u32_e32 vcc, 0, v4
	s_and_saveexec_b64 s[90:91], vcc
	s_cbranch_execz .LBB6_2027
; %bb.2020:                             ;   in Loop: Header=BB6_129 Depth=2
	v_bfe_u32 v39, v4, 23, 8
	v_cmp_gt_u32_e64 s[20:21], s64, v39
	v_sub_u32_e32 v4, 0x71, v39
	v_cmp_eq_u32_e32 vcc, 0, v39
	v_cndmask_b32_e64 v4, 0, v4, s[20:21]
	v_mov_b32_e32 v33, 0x70
	v_cndmask_b32_e32 v48, v4, v33, vcc
	v_add_u32_e32 v4, 21, v48
	v_or_b32_e32 v32, 0x800000, v2
	v_lshlrev_b64 v[49:50], v4, -1
	v_cndmask_b32_e32 v2, v32, v2, vcc
	v_add_u32_e32 v4, 20, v48
	v_bfi_b32 v49, v49, 0, v2
	v_lshlrev_b64 v[41:42], v4, 1
	v_lshrrev_b64 v[2:3], v48, v[2:3]
	v_bfi_b32 v50, v50, 0, 0
	v_cmp_eq_u64_e64 s[20:21], v[49:50], v[41:42]
	v_mov_b32_e32 v4, v3
	v_mov_b32_e32 v3, v2
	s_and_saveexec_b64 s[92:93], s[20:21]
; %bb.2021:                             ;   in Loop: Header=BB6_129 Depth=2
	v_bfe_u32 v3, v2, 21, 1
	v_add_co_u32_e64 v3, s[20:21], v2, v3
	v_add_co_u32_e64 v3, s[20:21], -1, v3
; %bb.2022:                             ;   in Loop: Header=BB6_129 Depth=2
	s_or_b64 exec, exec, s[92:93]
	v_add_u32_e32 v4, 0xffffff81, v39
	v_mov_b32_e32 v32, 0xffffff82
	v_cndmask_b32_e32 v4, v4, v32, vcc
	v_lshrrev_b32_e32 v32, 23, v2
	v_add3_u32 v48, v48, v4, v32
	v_add_u32_e32 v39, 14, v48
	v_and_b32_e32 v3, 0x1fffff, v3
	v_add_u32_e32 v2, v3, v2
	v_mov_b32_e32 v3, v28
	v_cmp_ne_u32_e32 vcc, 0, v39
                                        ; implicit-def: $vgpr4
	s_and_saveexec_b64 s[20:21], vcc
	s_xor_b64 s[20:21], exec, s[20:21]
; %bb.2023:                             ;   in Loop: Header=BB6_129 Depth=2
	v_cmp_lt_u64_e32 vcc, s[72:73], v[2:3]
	v_add_u32_e32 v4, 15, v48
	v_cndmask_b32_e64 v32, 0, 1, vcc
	v_lshrrev_b64 v[2:3], v32, v[2:3]
	v_cndmask_b32_e32 v4, v39, v4, vcc
; %bb.2024:                             ;   in Loop: Header=BB6_129 Depth=2
	s_andn2_saveexec_b64 s[20:21], s[20:21]
; %bb.2025:                             ;   in Loop: Header=BB6_129 Depth=2
	v_bfe_u32 v4, v2, 23, 1
; %bb.2026:                             ;   in Loop: Header=BB6_129 Depth=2
	s_or_b64 exec, exec, s[20:21]
	v_lshrrev_b64 v[2:3], 21, v[2:3]
	v_cmp_gt_i32_e32 vcc, 32, v4
	v_cndmask_b32_e32 v3, 0, v3, vcc
	v_cndmask_b32_e32 v2, 3, v2, vcc
	v_cmp_eq_u64_e64 s[20:21], 0, v[2:3]
	v_min_i32_e32 v3, 31, v4
	v_lshlrev_b32_e32 v3, 2, v3
	v_cmp_eq_u32_e32 vcc, 0, v4
	v_and_b32_e32 v3, 0xfc, v3
	v_and_or_b32 v2, v2, 3, v3
	s_and_b64 s[20:21], vcc, s[20:21]
	v_cndmask_b32_e64 v2, v2, 0, s[20:21]
	v_or_b32_e32 v48, v2, v38
.LBB6_2027:                             ;   in Loop: Header=BB6_129 Depth=2
	s_or_b64 exec, exec, s[90:91]
                                        ; implicit-def: $vgpr38
.LBB6_2028:                             ;   in Loop: Header=BB6_129 Depth=2
	s_andn2_saveexec_b64 s[20:21], s[88:89]
; %bb.2029:                             ;   in Loop: Header=BB6_129 Depth=2
	v_or_b32_e32 v48, 0x7b, v38
; %bb.2030:                             ;   in Loop: Header=BB6_129 Depth=2
	s_or_b64 exec, exec, s[20:21]
                                        ; implicit-def: $vgpr4
                                        ; implicit-def: $vgpr2_vgpr3
.LBB6_2031:                             ;   in Loop: Header=BB6_129 Depth=2
	s_andn2_saveexec_b64 s[20:21], s[78:79]
	s_cbranch_execz .LBB6_2037
; %bb.2032:                             ;   in Loop: Header=BB6_129 Depth=2
	v_cmp_ne_u64_e32 vcc, 0, v[2:3]
                                        ; implicit-def: $vgpr48
	s_and_saveexec_b64 s[78:79], vcc
	s_xor_b64 s[78:79], exec, s[78:79]
; %bb.2033:                             ;   in Loop: Header=BB6_129 Depth=2
	v_or_b32_sdwa v48, v4, s65 dst_sel:DWORD dst_unused:UNUSED_PAD src0_sel:BYTE_3 src1_sel:DWORD
                                        ; implicit-def: $vgpr4
; %bb.2034:                             ;   in Loop: Header=BB6_129 Depth=2
	s_andn2_saveexec_b64 s[78:79], s[78:79]
; %bb.2035:                             ;   in Loop: Header=BB6_129 Depth=2
	v_cmp_lt_i32_e32 vcc, -1, v4
	v_bfrev_b32_e32 v2, 0.5
	v_mov_b32_e32 v3, 0x7c
	v_cndmask_b32_e32 v48, v2, v3, vcc
; %bb.2036:                             ;   in Loop: Header=BB6_129 Depth=2
	s_or_b64 exec, exec, s[78:79]
.LBB6_2037:                             ;   in Loop: Header=BB6_129 Depth=2
	s_or_b64 exec, exec, s[20:21]
	v_lshrrev_b16_e32 v2, 8, v27
	v_cmp_ne_u16_e32 vcc, 0, v2
	v_mov_b32_e32 v4, 0
	v_mov_b32_e32 v38, 0
	s_and_saveexec_b64 s[20:21], vcc
	s_cbranch_execz .LBB6_2045
; %bb.2038:                             ;   in Loop: Header=BB6_129 Depth=2
	v_cmp_ne_u16_e32 vcc, s55, v2
	v_bfrev_b32_e32 v38, 1
	s_and_saveexec_b64 s[78:79], vcc
	s_cbranch_execz .LBB6_2044
; %bb.2039:                             ;   in Loop: Header=BB6_129 Depth=2
	v_and_b32_e32 v3, 0x7c, v2
	v_and_b32_e32 v39, 3, v2
	v_cmp_ne_u32_e32 vcc, s53, v3
                                        ; implicit-def: $vgpr38
	s_and_saveexec_b64 s[88:89], vcc
	s_xor_b64 s[88:89], exec, s[88:89]
	s_cbranch_execz .LBB6_2041
; %bb.2040:                             ;   in Loop: Header=BB6_129 Depth=2
	v_ffbh_u32_e32 v33, v39
	v_min_u32_e32 v33, 32, v33
	v_mov_b32_e32 v3, v28
	v_subrev_u32_e32 v38, 29, v33
	v_bfe_u32 v32, v2, 2, 5
	v_lshlrev_b64 v[2:3], v38, v[2:3]
	v_sub_u32_e32 v3, 30, v33
	v_cmp_eq_u32_e32 vcc, 0, v32
	v_lshlrev_b32_e32 v27, 16, v27
	v_and_b32_e32 v2, 3, v2
	v_cndmask_b32_e32 v3, v32, v3, vcc
	v_and_b32_e32 v27, 0x80000000, v27
	v_cndmask_b32_e32 v2, v39, v2, vcc
	v_lshl_add_u32 v3, v3, 23, v27
	v_lshl_or_b32 v2, v2, 21, v3
	v_add_u32_e32 v38, 0x38000000, v2
                                        ; implicit-def: $vgpr39
.LBB6_2041:                             ;   in Loop: Header=BB6_129 Depth=2
	s_andn2_saveexec_b64 s[88:89], s[88:89]
; %bb.2042:                             ;   in Loop: Header=BB6_129 Depth=2
	v_cmp_lt_i16_e32 vcc, -1, v27
	v_mov_b32_e32 v2, 0xff800000
	v_mov_b32_e32 v3, 0x7f800000
	v_cndmask_b32_e32 v2, v2, v3, vcc
	v_cmp_eq_u32_e32 vcc, 0, v39
	v_mov_b32_e32 v3, 0x7f800001
	v_cndmask_b32_e32 v38, v3, v2, vcc
; %bb.2043:                             ;   in Loop: Header=BB6_129 Depth=2
	s_or_b64 exec, exec, s[88:89]
.LBB6_2044:                             ;   in Loop: Header=BB6_129 Depth=2
	s_or_b64 exec, exec, s[78:79]
.LBB6_2045:                             ;   in Loop: Header=BB6_129 Depth=2
	s_or_b64 exec, exec, s[20:21]
	v_lshrrev_b16_e32 v2, 8, v11
	v_cmp_ne_u16_e32 vcc, 0, v2
	s_and_saveexec_b64 s[20:21], vcc
	s_cbranch_execz .LBB6_2053
; %bb.2046:                             ;   in Loop: Header=BB6_129 Depth=2
	v_cmp_ne_u16_e32 vcc, s55, v2
	v_bfrev_b32_e32 v4, 1
	s_and_saveexec_b64 s[78:79], vcc
	s_cbranch_execz .LBB6_2052
; %bb.2047:                             ;   in Loop: Header=BB6_129 Depth=2
	v_and_b32_e32 v3, 0x7c, v2
	v_and_b32_e32 v27, 3, v2
	v_cmp_ne_u32_e32 vcc, s53, v3
                                        ; implicit-def: $vgpr4
	s_and_saveexec_b64 s[88:89], vcc
	s_xor_b64 s[88:89], exec, s[88:89]
	s_cbranch_execz .LBB6_2049
; %bb.2048:                             ;   in Loop: Header=BB6_129 Depth=2
	v_ffbh_u32_e32 v32, v27
	v_min_u32_e32 v32, 32, v32
	v_mov_b32_e32 v3, v28
	v_subrev_u32_e32 v33, 29, v32
	v_bfe_u32 v4, v2, 2, 5
	v_lshlrev_b64 v[2:3], v33, v[2:3]
	v_sub_u32_e32 v3, 30, v32
	v_cmp_eq_u32_e32 vcc, 0, v4
	v_cndmask_b32_e32 v3, v4, v3, vcc
	v_lshlrev_b32_e32 v4, 16, v11
	v_and_b32_e32 v2, 3, v2
	v_and_b32_e32 v4, 0x80000000, v4
	v_cndmask_b32_e32 v2, v27, v2, vcc
	v_lshl_add_u32 v3, v3, 23, v4
	v_lshl_or_b32 v2, v2, 21, v3
	v_add_u32_e32 v4, 0x38000000, v2
                                        ; implicit-def: $vgpr27
.LBB6_2049:                             ;   in Loop: Header=BB6_129 Depth=2
	s_andn2_saveexec_b64 s[88:89], s[88:89]
; %bb.2050:                             ;   in Loop: Header=BB6_129 Depth=2
	v_cmp_lt_i16_e32 vcc, -1, v11
	v_mov_b32_e32 v2, 0xff800000
	v_mov_b32_e32 v3, 0x7f800000
	v_cndmask_b32_e32 v2, v2, v3, vcc
	v_cmp_eq_u32_e32 vcc, 0, v27
	v_mov_b32_e32 v3, 0x7f800001
	v_cndmask_b32_e32 v4, v3, v2, vcc
; %bb.2051:                             ;   in Loop: Header=BB6_129 Depth=2
	s_or_b64 exec, exec, s[88:89]
.LBB6_2052:                             ;   in Loop: Header=BB6_129 Depth=2
	s_or_b64 exec, exec, s[78:79]
.LBB6_2053:                             ;   in Loop: Header=BB6_129 Depth=2
	s_or_b64 exec, exec, s[20:21]
	v_mul_f32_e32 v2, v38, v4
	v_and_b32_e32 v3, 0x7f800000, v2
	v_mov_b32_e32 v4, v28
	v_cmp_ne_u64_e32 vcc, s[60:61], v[3:4]
	v_and_b32_e32 v27, 0x7fffff, v2
                                        ; implicit-def: $vgpr49
	s_and_saveexec_b64 s[20:21], vcc
	s_xor_b64 s[78:79], exec, s[20:21]
	s_cbranch_execz .LBB6_2067
; %bb.2054:                             ;   in Loop: Header=BB6_129 Depth=2
	v_and_b32_e32 v3, 0x7fffffff, v2
	v_mov_b32_e32 v4, v28
	v_cmp_gt_u64_e32 vcc, s[62:63], v[3:4]
	v_and_b32_sdwa v38, v2, s55 dst_sel:DWORD dst_unused:UNUSED_PAD src0_sel:BYTE_3 src1_sel:DWORD
                                        ; implicit-def: $vgpr49
	s_and_saveexec_b64 s[20:21], vcc
	s_xor_b64 s[88:89], exec, s[20:21]
	s_cbranch_execz .LBB6_2064
; %bb.2055:                             ;   in Loop: Header=BB6_129 Depth=2
	v_mov_b32_e32 v49, 0
	v_cmp_ne_u32_e32 vcc, 0, v2
	s_and_saveexec_b64 s[90:91], vcc
	s_cbranch_execz .LBB6_2063
; %bb.2056:                             ;   in Loop: Header=BB6_129 Depth=2
	v_bfe_u32 v39, v2, 23, 8
	v_cmp_gt_u32_e64 s[20:21], s64, v39
	v_sub_u32_e32 v2, 0x71, v39
	v_cmp_eq_u32_e32 vcc, 0, v39
	v_cndmask_b32_e64 v2, 0, v2, s[20:21]
	v_mov_b32_e32 v4, 0x70
	v_cndmask_b32_e32 v49, v2, v4, vcc
	v_add_u32_e32 v4, 21, v49
	v_or_b32_e32 v3, 0x800000, v27
	v_lshlrev_b64 v[41:42], v4, -1
	v_cndmask_b32_e32 v2, v3, v27, vcc
	v_mov_b32_e32 v3, v28
	v_add_u32_e32 v4, 20, v49
	v_bfi_b32 v41, v41, 0, v2
	v_lshlrev_b64 v[43:44], v4, 1
	v_lshrrev_b64 v[2:3], v49, v[2:3]
	v_bfi_b32 v42, v42, 0, 0
	v_cmp_eq_u64_e64 s[20:21], v[41:42], v[43:44]
	v_mov_b32_e32 v4, v3
	v_mov_b32_e32 v3, v2
	s_and_saveexec_b64 s[92:93], s[20:21]
; %bb.2057:                             ;   in Loop: Header=BB6_129 Depth=2
	v_bfe_u32 v3, v2, 21, 1
	v_add_co_u32_e64 v3, s[20:21], v2, v3
	v_add_co_u32_e64 v3, s[20:21], -1, v3
; %bb.2058:                             ;   in Loop: Header=BB6_129 Depth=2
	s_or_b64 exec, exec, s[92:93]
	v_add_u32_e32 v4, 0xffffff81, v39
	v_mov_b32_e32 v27, 0xffffff82
	v_cndmask_b32_e32 v4, v4, v27, vcc
	v_lshrrev_b32_e32 v27, 23, v2
	v_add3_u32 v49, v49, v4, v27
	v_add_u32_e32 v39, 14, v49
	v_and_b32_e32 v3, 0x1fffff, v3
	v_add_u32_e32 v27, v3, v2
	v_cmp_ne_u32_e32 vcc, 0, v39
                                        ; implicit-def: $vgpr2_vgpr3
                                        ; implicit-def: $vgpr4
	s_and_saveexec_b64 s[20:21], vcc
	s_xor_b64 s[20:21], exec, s[20:21]
; %bb.2059:                             ;   in Loop: Header=BB6_129 Depth=2
	v_cmp_lt_u64_e32 vcc, s[72:73], v[27:28]
	v_add_u32_e32 v2, 15, v49
	v_cndmask_b32_e32 v4, v39, v2, vcc
	v_cndmask_b32_e64 v2, 0, 1, vcc
	v_lshrrev_b64 v[2:3], v2, v[27:28]
; %bb.2060:                             ;   in Loop: Header=BB6_129 Depth=2
	s_andn2_saveexec_b64 s[20:21], s[20:21]
; %bb.2061:                             ;   in Loop: Header=BB6_129 Depth=2
	v_mov_b32_e32 v2, v27
	v_mov_b32_e32 v3, v28
	v_bfe_u32 v4, v27, 23, 1
; %bb.2062:                             ;   in Loop: Header=BB6_129 Depth=2
	s_or_b64 exec, exec, s[20:21]
	v_lshrrev_b64 v[2:3], 21, v[2:3]
	v_cmp_gt_i32_e32 vcc, 32, v4
	v_cndmask_b32_e32 v3, 0, v3, vcc
	v_cndmask_b32_e32 v2, 3, v2, vcc
	v_cmp_eq_u64_e64 s[20:21], 0, v[2:3]
	v_min_i32_e32 v3, 31, v4
	v_lshlrev_b32_e32 v3, 2, v3
	v_cmp_eq_u32_e32 vcc, 0, v4
	v_and_b32_e32 v3, 0xfc, v3
	v_and_or_b32 v2, v2, 3, v3
	s_and_b64 s[20:21], vcc, s[20:21]
	v_cndmask_b32_e64 v2, v2, 0, s[20:21]
	v_or_b32_e32 v49, v2, v38
.LBB6_2063:                             ;   in Loop: Header=BB6_129 Depth=2
	s_or_b64 exec, exec, s[90:91]
                                        ; implicit-def: $vgpr38
.LBB6_2064:                             ;   in Loop: Header=BB6_129 Depth=2
	s_andn2_saveexec_b64 s[20:21], s[88:89]
; %bb.2065:                             ;   in Loop: Header=BB6_129 Depth=2
	v_or_b32_e32 v49, 0x7b, v38
; %bb.2066:                             ;   in Loop: Header=BB6_129 Depth=2
	s_or_b64 exec, exec, s[20:21]
                                        ; implicit-def: $vgpr2
.LBB6_2067:                             ;   in Loop: Header=BB6_129 Depth=2
	s_andn2_saveexec_b64 s[20:21], s[78:79]
	s_cbranch_execz .LBB6_2073
; %bb.2068:                             ;   in Loop: Header=BB6_129 Depth=2
	v_cmp_ne_u64_e32 vcc, 0, v[27:28]
                                        ; implicit-def: $vgpr49
	s_and_saveexec_b64 s[78:79], vcc
	s_xor_b64 s[78:79], exec, s[78:79]
; %bb.2069:                             ;   in Loop: Header=BB6_129 Depth=2
	v_or_b32_sdwa v49, v2, s65 dst_sel:DWORD dst_unused:UNUSED_PAD src0_sel:BYTE_3 src1_sel:DWORD
                                        ; implicit-def: $vgpr2
; %bb.2070:                             ;   in Loop: Header=BB6_129 Depth=2
	s_andn2_saveexec_b64 s[78:79], s[78:79]
; %bb.2071:                             ;   in Loop: Header=BB6_129 Depth=2
	v_cmp_lt_i32_e32 vcc, -1, v2
	v_bfrev_b32_e32 v2, 0.5
	v_mov_b32_e32 v3, 0x7c
	v_cndmask_b32_e32 v49, v2, v3, vcc
; %bb.2072:                             ;   in Loop: Header=BB6_129 Depth=2
	s_or_b64 exec, exec, s[78:79]
.LBB6_2073:                             ;   in Loop: Header=BB6_129 Depth=2
	s_or_b64 exec, exec, s[20:21]
	v_lshrrev_b32_e32 v2, 16, v15
	v_cmp_ne_u16_sdwa s[78:79], v2, v28 src0_sel:BYTE_0 src1_sel:DWORD
	v_mov_b32_e32 v3, 0
	v_mov_b32_e32 v4, 0
	s_and_saveexec_b64 s[20:21], s[78:79]
	s_cbranch_execz .LBB6_2081
; %bb.2074:                             ;   in Loop: Header=BB6_129 Depth=2
	v_cmp_ne_u16_sdwa s[88:89], v2, s55 src0_sel:BYTE_0 src1_sel:DWORD
	v_bfrev_b32_e32 v4, 1
	s_and_saveexec_b64 s[78:79], s[88:89]
	s_cbranch_execz .LBB6_2080
; %bb.2075:                             ;   in Loop: Header=BB6_129 Depth=2
	v_and_b32_e32 v4, 0x7c0000, v15
	v_bfe_u32 v27, v15, 16, 2
	v_cmp_ne_u32_e32 vcc, s66, v4
                                        ; implicit-def: $vgpr4
	s_and_saveexec_b64 s[88:89], vcc
	s_xor_b64 s[88:89], exec, s[88:89]
	s_cbranch_execz .LBB6_2077
; %bb.2076:                             ;   in Loop: Header=BB6_129 Depth=2
	v_ffbh_u32_e32 v32, v27
	v_min_u32_e32 v32, 32, v32
	v_subrev_u32_e32 v33, 29, v32
	v_lshlrev_b64 v[38:39], v33, v[2:3]
	v_bfe_u32 v4, v15, 18, 5
	v_sub_u32_e32 v2, 30, v32
	v_and_b32_e32 v32, 3, v38
	v_cmp_eq_u32_e32 vcc, 0, v4
	v_cndmask_b32_e32 v2, v4, v2, vcc
	v_cndmask_b32_e32 v4, v27, v32, vcc
	v_lshlrev_b32_e32 v27, 8, v15
	v_and_b32_e32 v27, 0x80000000, v27
	v_lshl_add_u32 v2, v2, 23, v27
	v_lshl_or_b32 v2, v4, 21, v2
	v_add_u32_e32 v4, 0x38000000, v2
                                        ; implicit-def: $vgpr27
                                        ; implicit-def: $vgpr2
.LBB6_2077:                             ;   in Loop: Header=BB6_129 Depth=2
	s_andn2_saveexec_b64 s[88:89], s[88:89]
; %bb.2078:                             ;   in Loop: Header=BB6_129 Depth=2
	v_mov_b32_e32 v4, -1
	v_cmp_gt_i16_sdwa vcc, sext(v2), v4 src0_sel:BYTE_0 src1_sel:DWORD
	v_mov_b32_e32 v2, 0xff800000
	v_mov_b32_e32 v4, 0x7f800000
	v_cndmask_b32_e32 v2, v2, v4, vcc
	v_cmp_eq_u32_e32 vcc, 0, v27
	v_mov_b32_e32 v4, 0x7f800001
	v_cndmask_b32_e32 v4, v4, v2, vcc
; %bb.2079:                             ;   in Loop: Header=BB6_129 Depth=2
	s_or_b64 exec, exec, s[88:89]
.LBB6_2080:                             ;   in Loop: Header=BB6_129 Depth=2
	s_or_b64 exec, exec, s[78:79]
.LBB6_2081:                             ;   in Loop: Header=BB6_129 Depth=2
	s_or_b64 exec, exec, s[20:21]
	v_lshrrev_b32_e32 v2, 16, v11
	v_cmp_ne_u16_sdwa s[78:79], v2, v28 src0_sel:BYTE_0 src1_sel:DWORD
	s_and_saveexec_b64 s[20:21], s[78:79]
	s_cbranch_execz .LBB6_2089
; %bb.2082:                             ;   in Loop: Header=BB6_129 Depth=2
	v_cmp_ne_u16_sdwa s[88:89], v2, s55 src0_sel:BYTE_0 src1_sel:DWORD
	v_bfrev_b32_e32 v3, 1
	s_and_saveexec_b64 s[78:79], s[88:89]
	s_cbranch_execz .LBB6_2088
; %bb.2083:                             ;   in Loop: Header=BB6_129 Depth=2
	v_and_b32_e32 v3, 0x7c0000, v11
	v_bfe_u32 v27, v11, 16, 2
	v_cmp_ne_u32_e32 vcc, s66, v3
                                        ; implicit-def: $vgpr3
	s_and_saveexec_b64 s[88:89], vcc
	s_xor_b64 s[88:89], exec, s[88:89]
	s_cbranch_execz .LBB6_2085
; %bb.2084:                             ;   in Loop: Header=BB6_129 Depth=2
	v_ffbh_u32_e32 v3, v27
	v_min_u32_e32 v33, 32, v3
	v_subrev_u32_e32 v3, 29, v33
	v_lshlrev_b64 v[2:3], v3, v[2:3]
	v_bfe_u32 v32, v11, 18, 5
	v_and_b32_e32 v2, 3, v2
	v_cmp_eq_u32_e32 vcc, 0, v32
	v_sub_u32_e32 v3, 30, v33
	v_cndmask_b32_e32 v2, v27, v2, vcc
	v_lshlrev_b32_e32 v27, 8, v11
	v_cndmask_b32_e32 v3, v32, v3, vcc
	v_and_b32_e32 v27, 0x80000000, v27
	v_lshl_add_u32 v3, v3, 23, v27
	v_lshl_or_b32 v2, v2, 21, v3
	v_add_u32_e32 v3, 0x38000000, v2
                                        ; implicit-def: $vgpr27
                                        ; implicit-def: $vgpr2
.LBB6_2085:                             ;   in Loop: Header=BB6_129 Depth=2
	s_andn2_saveexec_b64 s[88:89], s[88:89]
; %bb.2086:                             ;   in Loop: Header=BB6_129 Depth=2
	v_mov_b32_e32 v3, -1
	v_cmp_gt_i16_sdwa vcc, sext(v2), v3 src0_sel:BYTE_0 src1_sel:DWORD
	v_mov_b32_e32 v2, 0xff800000
	v_mov_b32_e32 v3, 0x7f800000
	v_cndmask_b32_e32 v2, v2, v3, vcc
	v_cmp_eq_u32_e32 vcc, 0, v27
	v_mov_b32_e32 v3, 0x7f800001
	v_cndmask_b32_e32 v3, v3, v2, vcc
; %bb.2087:                             ;   in Loop: Header=BB6_129 Depth=2
	s_or_b64 exec, exec, s[88:89]
.LBB6_2088:                             ;   in Loop: Header=BB6_129 Depth=2
	s_or_b64 exec, exec, s[78:79]
.LBB6_2089:                             ;   in Loop: Header=BB6_129 Depth=2
	s_or_b64 exec, exec, s[20:21]
	v_mul_f32_e32 v2, v4, v3
	v_and_b32_e32 v3, 0x7f800000, v2
	v_mov_b32_e32 v4, v28
	v_cmp_ne_u64_e32 vcc, s[60:61], v[3:4]
	v_and_b32_e32 v27, 0x7fffff, v2
                                        ; implicit-def: $vgpr41
	s_and_saveexec_b64 s[20:21], vcc
	s_xor_b64 s[78:79], exec, s[20:21]
	s_cbranch_execz .LBB6_2103
; %bb.2090:                             ;   in Loop: Header=BB6_129 Depth=2
	v_and_b32_e32 v3, 0x7fffffff, v2
	v_mov_b32_e32 v4, v28
	v_cmp_gt_u64_e32 vcc, s[62:63], v[3:4]
	v_and_b32_sdwa v38, v2, s55 dst_sel:DWORD dst_unused:UNUSED_PAD src0_sel:BYTE_3 src1_sel:DWORD
                                        ; implicit-def: $vgpr41
	s_and_saveexec_b64 s[20:21], vcc
	s_xor_b64 s[88:89], exec, s[20:21]
	s_cbranch_execz .LBB6_2100
; %bb.2091:                             ;   in Loop: Header=BB6_129 Depth=2
	v_mov_b32_e32 v41, 0
	v_cmp_ne_u32_e32 vcc, 0, v2
	s_and_saveexec_b64 s[90:91], vcc
	s_cbranch_execz .LBB6_2099
; %bb.2092:                             ;   in Loop: Header=BB6_129 Depth=2
	v_bfe_u32 v39, v2, 23, 8
	v_cmp_gt_u32_e64 s[20:21], s64, v39
	v_sub_u32_e32 v2, 0x71, v39
	v_cmp_eq_u32_e32 vcc, 0, v39
	v_cndmask_b32_e64 v2, 0, v2, s[20:21]
	v_mov_b32_e32 v4, 0x70
	v_cndmask_b32_e32 v41, v2, v4, vcc
	v_add_u32_e32 v4, 21, v41
	v_or_b32_e32 v3, 0x800000, v27
	v_lshlrev_b64 v[42:43], v4, -1
	v_cndmask_b32_e32 v2, v3, v27, vcc
	v_mov_b32_e32 v3, v28
	v_add_u32_e32 v4, 20, v41
	v_bfi_b32 v42, v42, 0, v2
	v_lshlrev_b64 v[50:51], v4, 1
	v_lshrrev_b64 v[2:3], v41, v[2:3]
	v_bfi_b32 v43, v43, 0, 0
	v_cmp_eq_u64_e64 s[20:21], v[42:43], v[50:51]
	v_mov_b32_e32 v4, v3
	v_mov_b32_e32 v3, v2
	s_and_saveexec_b64 s[92:93], s[20:21]
; %bb.2093:                             ;   in Loop: Header=BB6_129 Depth=2
	v_bfe_u32 v3, v2, 21, 1
	v_add_co_u32_e64 v3, s[20:21], v2, v3
	v_add_co_u32_e64 v3, s[20:21], -1, v3
; %bb.2094:                             ;   in Loop: Header=BB6_129 Depth=2
	s_or_b64 exec, exec, s[92:93]
	v_add_u32_e32 v4, 0xffffff81, v39
	v_mov_b32_e32 v27, 0xffffff82
	v_cndmask_b32_e32 v4, v4, v27, vcc
	v_lshrrev_b32_e32 v27, 23, v2
	v_add3_u32 v50, v41, v4, v27
	v_add_u32_e32 v39, 14, v50
	v_and_b32_e32 v3, 0x1fffff, v3
	v_add_u32_e32 v27, v3, v2
	v_cmp_ne_u32_e32 vcc, 0, v39
                                        ; implicit-def: $vgpr2_vgpr3
                                        ; implicit-def: $vgpr4
	s_and_saveexec_b64 s[20:21], vcc
	s_xor_b64 s[20:21], exec, s[20:21]
; %bb.2095:                             ;   in Loop: Header=BB6_129 Depth=2
	v_cmp_lt_u64_e32 vcc, s[72:73], v[27:28]
	v_add_u32_e32 v2, 15, v50
	v_cndmask_b32_e32 v4, v39, v2, vcc
	v_cndmask_b32_e64 v2, 0, 1, vcc
	v_lshrrev_b64 v[2:3], v2, v[27:28]
; %bb.2096:                             ;   in Loop: Header=BB6_129 Depth=2
	s_andn2_saveexec_b64 s[20:21], s[20:21]
; %bb.2097:                             ;   in Loop: Header=BB6_129 Depth=2
	v_mov_b32_e32 v2, v27
	v_mov_b32_e32 v3, v28
	v_bfe_u32 v4, v27, 23, 1
; %bb.2098:                             ;   in Loop: Header=BB6_129 Depth=2
	s_or_b64 exec, exec, s[20:21]
	v_lshrrev_b64 v[2:3], 21, v[2:3]
	v_cmp_gt_i32_e32 vcc, 32, v4
	v_cndmask_b32_e32 v3, 0, v3, vcc
	v_cndmask_b32_e32 v2, 3, v2, vcc
	v_cmp_eq_u64_e64 s[20:21], 0, v[2:3]
	v_min_i32_e32 v3, 31, v4
	v_lshlrev_b32_e32 v3, 2, v3
	v_cmp_eq_u32_e32 vcc, 0, v4
	v_and_b32_e32 v3, 0xfc, v3
	v_and_or_b32 v2, v2, 3, v3
	s_and_b64 s[20:21], vcc, s[20:21]
	v_cndmask_b32_e64 v2, v2, 0, s[20:21]
	v_or_b32_e32 v41, v2, v38
.LBB6_2099:                             ;   in Loop: Header=BB6_129 Depth=2
	s_or_b64 exec, exec, s[90:91]
                                        ; implicit-def: $vgpr38
.LBB6_2100:                             ;   in Loop: Header=BB6_129 Depth=2
	s_andn2_saveexec_b64 s[20:21], s[88:89]
; %bb.2101:                             ;   in Loop: Header=BB6_129 Depth=2
	v_or_b32_e32 v41, 0x7b, v38
; %bb.2102:                             ;   in Loop: Header=BB6_129 Depth=2
	s_or_b64 exec, exec, s[20:21]
                                        ; implicit-def: $vgpr2
.LBB6_2103:                             ;   in Loop: Header=BB6_129 Depth=2
	s_andn2_saveexec_b64 s[20:21], s[78:79]
	s_cbranch_execz .LBB6_2109
; %bb.2104:                             ;   in Loop: Header=BB6_129 Depth=2
	v_cmp_ne_u64_e32 vcc, 0, v[27:28]
                                        ; implicit-def: $vgpr41
	s_and_saveexec_b64 s[78:79], vcc
	s_xor_b64 s[78:79], exec, s[78:79]
; %bb.2105:                             ;   in Loop: Header=BB6_129 Depth=2
	v_or_b32_sdwa v41, v2, s65 dst_sel:DWORD dst_unused:UNUSED_PAD src0_sel:BYTE_3 src1_sel:DWORD
                                        ; implicit-def: $vgpr2
; %bb.2106:                             ;   in Loop: Header=BB6_129 Depth=2
	s_andn2_saveexec_b64 s[78:79], s[78:79]
; %bb.2107:                             ;   in Loop: Header=BB6_129 Depth=2
	v_cmp_lt_i32_e32 vcc, -1, v2
	v_bfrev_b32_e32 v2, 0.5
	v_mov_b32_e32 v3, 0x7c
	v_cndmask_b32_e32 v41, v2, v3, vcc
; %bb.2108:                             ;   in Loop: Header=BB6_129 Depth=2
	s_or_b64 exec, exec, s[78:79]
.LBB6_2109:                             ;   in Loop: Header=BB6_129 Depth=2
	s_or_b64 exec, exec, s[20:21]
	v_cmp_lt_u64_e32 vcc, s[58:59], v[14:15]
	v_mov_b32_e32 v3, 0
	v_mov_b32_e32 v4, 0
	s_and_saveexec_b64 s[20:21], vcc
	s_cbranch_execz .LBB6_2117
; %bb.2110:                             ;   in Loop: Header=BB6_129 Depth=2
	v_lshrrev_b32_e32 v2, 24, v15
	v_cmp_ne_u32_e32 vcc, s55, v2
	v_bfrev_b32_e32 v4, 1
	s_and_saveexec_b64 s[78:79], vcc
	s_cbranch_execz .LBB6_2116
; %bb.2111:                             ;   in Loop: Header=BB6_129 Depth=2
	v_and_b32_e32 v4, 0x7c000000, v15
	v_bfe_u32 v27, v15, 24, 2
	v_cmp_ne_u32_e32 vcc, s67, v4
                                        ; implicit-def: $vgpr4
	s_and_saveexec_b64 s[88:89], vcc
	s_xor_b64 s[88:89], exec, s[88:89]
	s_cbranch_execz .LBB6_2113
; %bb.2112:                             ;   in Loop: Header=BB6_129 Depth=2
	v_ffbh_u32_e32 v32, v27
	v_min_u32_e32 v32, 32, v32
	v_subrev_u32_e32 v33, 29, v32
	v_lshlrev_b64 v[38:39], v33, v[2:3]
	v_bfe_u32 v4, v15, 26, 5
	v_sub_u32_e32 v2, 30, v32
	v_and_b32_e32 v32, 3, v38
	v_cmp_eq_u32_e32 vcc, 0, v4
	v_cndmask_b32_e32 v2, v4, v2, vcc
	v_cndmask_b32_e32 v4, v27, v32, vcc
	v_and_b32_e32 v27, 0x80000000, v15
	v_lshl_add_u32 v2, v2, 23, v27
	v_lshl_or_b32 v2, v4, 21, v2
	v_add_u32_e32 v4, 0x38000000, v2
                                        ; implicit-def: $vgpr27
.LBB6_2113:                             ;   in Loop: Header=BB6_129 Depth=2
	s_andn2_saveexec_b64 s[88:89], s[88:89]
; %bb.2114:                             ;   in Loop: Header=BB6_129 Depth=2
	v_cmp_lt_i64_e32 vcc, -1, v[14:15]
	v_mov_b32_e32 v2, 0xff800000
	v_mov_b32_e32 v4, 0x7f800000
	v_cndmask_b32_e32 v2, v2, v4, vcc
	v_cmp_eq_u32_e32 vcc, 0, v27
	v_mov_b32_e32 v4, 0x7f800001
	v_cndmask_b32_e32 v4, v4, v2, vcc
; %bb.2115:                             ;   in Loop: Header=BB6_129 Depth=2
	s_or_b64 exec, exec, s[88:89]
.LBB6_2116:                             ;   in Loop: Header=BB6_129 Depth=2
	s_or_b64 exec, exec, s[78:79]
.LBB6_2117:                             ;   in Loop: Header=BB6_129 Depth=2
	s_or_b64 exec, exec, s[20:21]
	v_cmp_lt_u64_e32 vcc, s[58:59], v[10:11]
	s_and_saveexec_b64 s[20:21], vcc
	s_cbranch_execz .LBB6_2125
; %bb.2118:                             ;   in Loop: Header=BB6_129 Depth=2
	v_lshrrev_b32_e32 v2, 24, v11
	v_cmp_ne_u32_e32 vcc, s55, v2
	v_bfrev_b32_e32 v3, 1
	s_and_saveexec_b64 s[78:79], vcc
	s_cbranch_execz .LBB6_2124
; %bb.2119:                             ;   in Loop: Header=BB6_129 Depth=2
	v_and_b32_e32 v3, 0x7c000000, v11
	v_bfe_u32 v14, v11, 24, 2
	v_cmp_ne_u32_e32 vcc, s67, v3
                                        ; implicit-def: $vgpr3
	s_and_saveexec_b64 s[88:89], vcc
	s_xor_b64 s[88:89], exec, s[88:89]
	s_cbranch_execz .LBB6_2121
; %bb.2120:                             ;   in Loop: Header=BB6_129 Depth=2
	v_ffbh_u32_e32 v3, v14
	v_min_u32_e32 v27, 32, v3
	v_subrev_u32_e32 v3, 29, v27
	v_lshlrev_b64 v[2:3], v3, v[2:3]
	v_bfe_u32 v15, v11, 26, 5
	v_sub_u32_e32 v3, 30, v27
	v_and_b32_e32 v2, 3, v2
	v_cmp_eq_u32_e32 vcc, 0, v15
	v_cndmask_b32_e32 v3, v15, v3, vcc
	v_cndmask_b32_e32 v2, v14, v2, vcc
	v_and_b32_e32 v14, 0x80000000, v11
	v_lshl_add_u32 v3, v3, 23, v14
	v_lshl_or_b32 v2, v2, 21, v3
	v_add_u32_e32 v3, 0x38000000, v2
                                        ; implicit-def: $vgpr14
.LBB6_2121:                             ;   in Loop: Header=BB6_129 Depth=2
	s_andn2_saveexec_b64 s[88:89], s[88:89]
; %bb.2122:                             ;   in Loop: Header=BB6_129 Depth=2
	v_cmp_lt_i64_e32 vcc, -1, v[10:11]
	v_mov_b32_e32 v2, 0xff800000
	v_mov_b32_e32 v3, 0x7f800000
	v_cndmask_b32_e32 v2, v2, v3, vcc
	v_cmp_eq_u32_e32 vcc, 0, v14
	v_mov_b32_e32 v3, 0x7f800001
	v_cndmask_b32_e32 v3, v3, v2, vcc
; %bb.2123:                             ;   in Loop: Header=BB6_129 Depth=2
	s_or_b64 exec, exec, s[88:89]
.LBB6_2124:                             ;   in Loop: Header=BB6_129 Depth=2
	s_or_b64 exec, exec, s[78:79]
.LBB6_2125:                             ;   in Loop: Header=BB6_129 Depth=2
	s_or_b64 exec, exec, s[20:21]
	v_mul_f32_e32 v2, v4, v3
	v_and_b32_e32 v3, 0x7f800000, v2
	v_mov_b32_e32 v4, v28
	v_cmp_ne_u64_e32 vcc, s[60:61], v[3:4]
	v_and_b32_e32 v27, 0x7fffff, v2
                                        ; implicit-def: $vgpr10
	s_and_saveexec_b64 s[20:21], vcc
	s_xor_b64 s[78:79], exec, s[20:21]
	s_cbranch_execz .LBB6_2139
; %bb.2126:                             ;   in Loop: Header=BB6_129 Depth=2
	v_and_b32_e32 v3, 0x7fffffff, v2
	v_mov_b32_e32 v4, v28
	v_cmp_gt_u64_e32 vcc, s[62:63], v[3:4]
	v_and_b32_sdwa v11, v2, s55 dst_sel:DWORD dst_unused:UNUSED_PAD src0_sel:BYTE_3 src1_sel:DWORD
                                        ; implicit-def: $vgpr10
	s_and_saveexec_b64 s[20:21], vcc
	s_xor_b64 s[88:89], exec, s[20:21]
	s_cbranch_execz .LBB6_2136
; %bb.2127:                             ;   in Loop: Header=BB6_129 Depth=2
	v_mov_b32_e32 v10, 0
	v_cmp_ne_u32_e32 vcc, 0, v2
	s_and_saveexec_b64 s[90:91], vcc
	s_cbranch_execz .LBB6_2135
; %bb.2128:                             ;   in Loop: Header=BB6_129 Depth=2
	v_bfe_u32 v10, v2, 23, 8
	v_cmp_gt_u32_e64 s[20:21], s64, v10
	v_sub_u32_e32 v2, 0x71, v10
	v_cmp_eq_u32_e32 vcc, 0, v10
	v_cndmask_b32_e64 v2, 0, v2, s[20:21]
	v_mov_b32_e32 v4, 0x70
	v_cndmask_b32_e32 v14, v2, v4, vcc
	v_add_u32_e32 v4, 21, v14
	v_or_b32_e32 v3, 0x800000, v27
	v_lshlrev_b64 v[38:39], v4, -1
	v_cndmask_b32_e32 v2, v3, v27, vcc
	v_mov_b32_e32 v3, v28
	v_add_u32_e32 v4, 20, v14
	v_bfi_b32 v38, v38, 0, v2
	v_lshlrev_b64 v[50:51], v4, 1
	v_lshrrev_b64 v[2:3], v14, v[2:3]
	v_bfi_b32 v39, v39, 0, 0
	v_cmp_eq_u64_e64 s[20:21], v[38:39], v[50:51]
	v_mov_b32_e32 v4, v3
	v_mov_b32_e32 v3, v2
	s_and_saveexec_b64 s[92:93], s[20:21]
; %bb.2129:                             ;   in Loop: Header=BB6_129 Depth=2
	v_bfe_u32 v3, v2, 21, 1
	v_add_co_u32_e64 v3, s[20:21], v2, v3
	v_add_co_u32_e64 v3, s[20:21], -1, v3
; %bb.2130:                             ;   in Loop: Header=BB6_129 Depth=2
	s_or_b64 exec, exec, s[92:93]
	v_add_u32_e32 v4, 0xffffff81, v10
	v_mov_b32_e32 v10, 0xffffff82
	v_cndmask_b32_e32 v4, v4, v10, vcc
	v_lshrrev_b32_e32 v10, 23, v2
	v_add3_u32 v14, v14, v4, v10
	v_add_u32_e32 v10, 14, v14
	v_and_b32_e32 v3, 0x1fffff, v3
	v_add_u32_e32 v27, v3, v2
	v_cmp_ne_u32_e32 vcc, 0, v10
                                        ; implicit-def: $vgpr2_vgpr3
                                        ; implicit-def: $vgpr4
	s_and_saveexec_b64 s[20:21], vcc
	s_xor_b64 s[20:21], exec, s[20:21]
; %bb.2131:                             ;   in Loop: Header=BB6_129 Depth=2
	v_cmp_lt_u64_e32 vcc, s[72:73], v[27:28]
	v_add_u32_e32 v2, 15, v14
	v_cndmask_b32_e32 v4, v10, v2, vcc
	v_cndmask_b32_e64 v2, 0, 1, vcc
	v_lshrrev_b64 v[2:3], v2, v[27:28]
; %bb.2132:                             ;   in Loop: Header=BB6_129 Depth=2
	s_andn2_saveexec_b64 s[20:21], s[20:21]
; %bb.2133:                             ;   in Loop: Header=BB6_129 Depth=2
	v_mov_b32_e32 v2, v27
	v_mov_b32_e32 v3, v28
	v_bfe_u32 v4, v27, 23, 1
; %bb.2134:                             ;   in Loop: Header=BB6_129 Depth=2
	s_or_b64 exec, exec, s[20:21]
	v_lshrrev_b64 v[2:3], 21, v[2:3]
	v_cmp_gt_i32_e32 vcc, 32, v4
	v_cndmask_b32_e32 v3, 0, v3, vcc
	v_cndmask_b32_e32 v2, 3, v2, vcc
	v_cmp_eq_u64_e64 s[20:21], 0, v[2:3]
	v_min_i32_e32 v3, 31, v4
	v_lshlrev_b32_e32 v3, 2, v3
	v_cmp_eq_u32_e32 vcc, 0, v4
	v_and_b32_e32 v3, 0xfc, v3
	v_and_or_b32 v2, v2, 3, v3
	s_and_b64 s[20:21], vcc, s[20:21]
	v_cndmask_b32_e64 v2, v2, 0, s[20:21]
	v_or_b32_e32 v10, v2, v11
.LBB6_2135:                             ;   in Loop: Header=BB6_129 Depth=2
	s_or_b64 exec, exec, s[90:91]
                                        ; implicit-def: $vgpr11
.LBB6_2136:                             ;   in Loop: Header=BB6_129 Depth=2
	s_andn2_saveexec_b64 s[20:21], s[88:89]
; %bb.2137:                             ;   in Loop: Header=BB6_129 Depth=2
	v_or_b32_e32 v10, 0x7b, v11
; %bb.2138:                             ;   in Loop: Header=BB6_129 Depth=2
	s_or_b64 exec, exec, s[20:21]
                                        ; implicit-def: $vgpr2
.LBB6_2139:                             ;   in Loop: Header=BB6_129 Depth=2
	s_andn2_saveexec_b64 s[20:21], s[78:79]
	s_cbranch_execz .LBB6_2145
; %bb.2140:                             ;   in Loop: Header=BB6_129 Depth=2
	v_cmp_ne_u64_e32 vcc, 0, v[27:28]
                                        ; implicit-def: $vgpr10
	s_and_saveexec_b64 s[78:79], vcc
	s_xor_b64 s[78:79], exec, s[78:79]
; %bb.2141:                             ;   in Loop: Header=BB6_129 Depth=2
	v_or_b32_sdwa v10, v2, s65 dst_sel:DWORD dst_unused:UNUSED_PAD src0_sel:BYTE_3 src1_sel:DWORD
                                        ; implicit-def: $vgpr2
; %bb.2142:                             ;   in Loop: Header=BB6_129 Depth=2
	s_andn2_saveexec_b64 s[78:79], s[78:79]
; %bb.2143:                             ;   in Loop: Header=BB6_129 Depth=2
	v_cmp_lt_i32_e32 vcc, -1, v2
	v_bfrev_b32_e32 v2, 0.5
	v_mov_b32_e32 v3, 0x7c
	v_cndmask_b32_e32 v10, v2, v3, vcc
; %bb.2144:                             ;   in Loop: Header=BB6_129 Depth=2
	s_or_b64 exec, exec, s[78:79]
.LBB6_2145:                             ;   in Loop: Header=BB6_129 Depth=2
	s_or_b64 exec, exec, s[20:21]
	v_cmp_ne_u16_sdwa s[78:79], v16, v28 src0_sel:BYTE_0 src1_sel:DWORD
	v_mov_b32_e32 v2, 0
	v_mov_b32_e32 v3, 0
	s_and_saveexec_b64 s[20:21], s[78:79]
	s_cbranch_execz .LBB6_2153
; %bb.2146:                             ;   in Loop: Header=BB6_129 Depth=2
	v_cmp_ne_u16_sdwa s[88:89], sext(v16), s52 src0_sel:BYTE_0 src1_sel:DWORD
	v_bfrev_b32_e32 v3, 1
	s_and_saveexec_b64 s[78:79], s[88:89]
	s_cbranch_execz .LBB6_2152
; %bb.2147:                             ;   in Loop: Header=BB6_129 Depth=2
	v_and_b32_e32 v3, 0x7c, v16
	v_and_b32_e32 v4, 3, v16
	v_cmp_ne_u32_e32 vcc, s53, v3
                                        ; implicit-def: $vgpr3
	s_and_saveexec_b64 s[88:89], vcc
	s_xor_b64 s[88:89], exec, s[88:89]
	s_cbranch_execz .LBB6_2149
; %bb.2148:                             ;   in Loop: Header=BB6_129 Depth=2
	v_ffbh_u32_e32 v11, v4
	v_min_u32_e32 v11, 32, v11
	v_bfe_u32 v3, v16, 2, 5
	v_subrev_u32_e32 v14, 29, v11
	v_lshlrev_b64 v[14:15], v14, v[16:17]
	v_sub_u32_e32 v11, 30, v11
	v_cmp_eq_u32_e32 vcc, 0, v3
	v_cndmask_b32_e32 v3, v3, v11, vcc
	v_lshlrev_b32_e32 v11, 24, v16
	v_and_b32_e32 v14, 3, v14
	v_and_b32_e32 v11, 0x80000000, v11
	v_cndmask_b32_e32 v4, v4, v14, vcc
	v_lshl_add_u32 v3, v3, 23, v11
	v_lshl_or_b32 v3, v4, 21, v3
	v_add_u32_e32 v3, 0x38000000, v3
                                        ; implicit-def: $vgpr4
.LBB6_2149:                             ;   in Loop: Header=BB6_129 Depth=2
	s_andn2_saveexec_b64 s[88:89], s[88:89]
; %bb.2150:                             ;   in Loop: Header=BB6_129 Depth=2
	v_mov_b32_e32 v3, -1
	v_cmp_gt_i16_sdwa vcc, sext(v16), v3 src0_sel:BYTE_0 src1_sel:DWORD
	v_mov_b32_e32 v3, 0xff800000
	v_mov_b32_e32 v11, 0x7f800000
	v_cndmask_b32_e32 v3, v3, v11, vcc
	v_cmp_eq_u32_e32 vcc, 0, v4
	v_mov_b32_e32 v4, 0x7f800001
	v_cndmask_b32_e32 v3, v4, v3, vcc
; %bb.2151:                             ;   in Loop: Header=BB6_129 Depth=2
	s_or_b64 exec, exec, s[88:89]
.LBB6_2152:                             ;   in Loop: Header=BB6_129 Depth=2
	s_or_b64 exec, exec, s[78:79]
.LBB6_2153:                             ;   in Loop: Header=BB6_129 Depth=2
	s_or_b64 exec, exec, s[20:21]
	v_cmp_ne_u16_sdwa s[78:79], v12, v28 src0_sel:BYTE_0 src1_sel:DWORD
	s_and_saveexec_b64 s[20:21], s[78:79]
	s_cbranch_execz .LBB6_2161
; %bb.2154:                             ;   in Loop: Header=BB6_129 Depth=2
	v_cmp_ne_u16_sdwa s[88:89], sext(v12), s52 src0_sel:BYTE_0 src1_sel:DWORD
	v_bfrev_b32_e32 v2, 1
	s_and_saveexec_b64 s[78:79], s[88:89]
	s_cbranch_execz .LBB6_2160
; %bb.2155:                             ;   in Loop: Header=BB6_129 Depth=2
	v_and_b32_e32 v2, 0x7c, v12
	v_and_b32_e32 v4, 3, v12
	v_cmp_ne_u32_e32 vcc, s53, v2
                                        ; implicit-def: $vgpr2
	s_and_saveexec_b64 s[88:89], vcc
	s_xor_b64 s[88:89], exec, s[88:89]
	s_cbranch_execz .LBB6_2157
; %bb.2156:                             ;   in Loop: Header=BB6_129 Depth=2
	v_ffbh_u32_e32 v11, v4
	v_min_u32_e32 v11, 32, v11
	v_bfe_u32 v2, v12, 2, 5
	v_subrev_u32_e32 v14, 29, v11
	v_lshlrev_b64 v[14:15], v14, v[12:13]
	v_sub_u32_e32 v11, 30, v11
	v_cmp_eq_u32_e32 vcc, 0, v2
	v_cndmask_b32_e32 v2, v2, v11, vcc
	v_lshlrev_b32_e32 v11, 24, v12
	v_and_b32_e32 v14, 3, v14
	v_and_b32_e32 v11, 0x80000000, v11
	v_cndmask_b32_e32 v4, v4, v14, vcc
	v_lshl_add_u32 v2, v2, 23, v11
	v_lshl_or_b32 v2, v4, 21, v2
	v_add_u32_e32 v2, 0x38000000, v2
                                        ; implicit-def: $vgpr4
.LBB6_2157:                             ;   in Loop: Header=BB6_129 Depth=2
	s_andn2_saveexec_b64 s[88:89], s[88:89]
; %bb.2158:                             ;   in Loop: Header=BB6_129 Depth=2
	v_mov_b32_e32 v2, -1
	v_cmp_gt_i16_sdwa vcc, sext(v12), v2 src0_sel:BYTE_0 src1_sel:DWORD
	v_mov_b32_e32 v2, 0xff800000
	v_mov_b32_e32 v11, 0x7f800000
	v_cndmask_b32_e32 v2, v2, v11, vcc
	v_cmp_eq_u32_e32 vcc, 0, v4
	v_mov_b32_e32 v4, 0x7f800001
	v_cndmask_b32_e32 v2, v4, v2, vcc
; %bb.2159:                             ;   in Loop: Header=BB6_129 Depth=2
	s_or_b64 exec, exec, s[88:89]
.LBB6_2160:                             ;   in Loop: Header=BB6_129 Depth=2
	s_or_b64 exec, exec, s[78:79]
.LBB6_2161:                             ;   in Loop: Header=BB6_129 Depth=2
	s_or_b64 exec, exec, s[20:21]
	v_mul_f32_e32 v2, v3, v2
	v_and_b32_e32 v3, 0x7f800000, v2
	v_mov_b32_e32 v4, v28
	v_cmp_ne_u64_e32 vcc, s[60:61], v[3:4]
	v_and_b32_e32 v27, 0x7fffff, v2
                                        ; implicit-def: $vgpr11
	s_and_saveexec_b64 s[20:21], vcc
	s_xor_b64 s[78:79], exec, s[20:21]
	s_cbranch_execz .LBB6_2175
; %bb.2162:                             ;   in Loop: Header=BB6_129 Depth=2
	v_and_b32_e32 v3, 0x7fffffff, v2
	v_mov_b32_e32 v4, v28
	v_cmp_gt_u64_e32 vcc, s[62:63], v[3:4]
	v_and_b32_sdwa v14, v2, s55 dst_sel:DWORD dst_unused:UNUSED_PAD src0_sel:BYTE_3 src1_sel:DWORD
                                        ; implicit-def: $vgpr11
	s_and_saveexec_b64 s[20:21], vcc
	s_xor_b64 s[88:89], exec, s[20:21]
	s_cbranch_execz .LBB6_2172
; %bb.2163:                             ;   in Loop: Header=BB6_129 Depth=2
	v_mov_b32_e32 v11, 0
	v_cmp_ne_u32_e32 vcc, 0, v2
	s_and_saveexec_b64 s[90:91], vcc
	s_cbranch_execz .LBB6_2171
; %bb.2164:                             ;   in Loop: Header=BB6_129 Depth=2
	v_bfe_u32 v11, v2, 23, 8
	v_cmp_gt_u32_e64 s[20:21], s64, v11
	v_sub_u32_e32 v2, 0x71, v11
	v_cmp_eq_u32_e32 vcc, 0, v11
	v_cndmask_b32_e64 v2, 0, v2, s[20:21]
	v_mov_b32_e32 v4, 0x70
	v_cndmask_b32_e32 v15, v2, v4, vcc
	v_add_u32_e32 v4, 21, v15
	v_or_b32_e32 v3, 0x800000, v27
	v_lshlrev_b64 v[38:39], v4, -1
	v_cndmask_b32_e32 v2, v3, v27, vcc
	v_mov_b32_e32 v3, v28
	v_add_u32_e32 v4, 20, v15
	v_bfi_b32 v38, v38, 0, v2
	v_lshlrev_b64 v[50:51], v4, 1
	v_lshrrev_b64 v[2:3], v15, v[2:3]
	v_bfi_b32 v39, v39, 0, 0
	v_cmp_eq_u64_e64 s[20:21], v[38:39], v[50:51]
	v_mov_b32_e32 v4, v3
	v_mov_b32_e32 v3, v2
	s_and_saveexec_b64 s[92:93], s[20:21]
; %bb.2165:                             ;   in Loop: Header=BB6_129 Depth=2
	v_bfe_u32 v3, v2, 21, 1
	v_add_co_u32_e64 v3, s[20:21], v2, v3
	v_add_co_u32_e64 v3, s[20:21], -1, v3
; %bb.2166:                             ;   in Loop: Header=BB6_129 Depth=2
	s_or_b64 exec, exec, s[92:93]
	v_add_u32_e32 v4, 0xffffff81, v11
	v_mov_b32_e32 v11, 0xffffff82
	v_cndmask_b32_e32 v4, v4, v11, vcc
	v_lshrrev_b32_e32 v11, 23, v2
	v_add3_u32 v15, v15, v4, v11
	v_add_u32_e32 v11, 14, v15
	v_and_b32_e32 v3, 0x1fffff, v3
	v_add_u32_e32 v27, v3, v2
	v_cmp_ne_u32_e32 vcc, 0, v11
                                        ; implicit-def: $vgpr2_vgpr3
                                        ; implicit-def: $vgpr4
	s_and_saveexec_b64 s[20:21], vcc
	s_xor_b64 s[20:21], exec, s[20:21]
; %bb.2167:                             ;   in Loop: Header=BB6_129 Depth=2
	v_cmp_lt_u64_e32 vcc, s[72:73], v[27:28]
	v_add_u32_e32 v2, 15, v15
	v_cndmask_b32_e32 v4, v11, v2, vcc
	v_cndmask_b32_e64 v2, 0, 1, vcc
	v_lshrrev_b64 v[2:3], v2, v[27:28]
; %bb.2168:                             ;   in Loop: Header=BB6_129 Depth=2
	s_andn2_saveexec_b64 s[20:21], s[20:21]
; %bb.2169:                             ;   in Loop: Header=BB6_129 Depth=2
	v_mov_b32_e32 v2, v27
	v_mov_b32_e32 v3, v28
	v_bfe_u32 v4, v27, 23, 1
; %bb.2170:                             ;   in Loop: Header=BB6_129 Depth=2
	s_or_b64 exec, exec, s[20:21]
	v_lshrrev_b64 v[2:3], 21, v[2:3]
	v_cmp_gt_i32_e32 vcc, 32, v4
	v_cndmask_b32_e32 v3, 0, v3, vcc
	v_cndmask_b32_e32 v2, 3, v2, vcc
	v_cmp_eq_u64_e64 s[20:21], 0, v[2:3]
	v_min_i32_e32 v3, 31, v4
	v_lshlrev_b32_e32 v3, 2, v3
	v_cmp_eq_u32_e32 vcc, 0, v4
	v_and_b32_e32 v3, 0xfc, v3
	v_and_or_b32 v2, v2, 3, v3
	s_and_b64 s[20:21], vcc, s[20:21]
	v_cndmask_b32_e64 v2, v2, 0, s[20:21]
	v_or_b32_e32 v11, v2, v14
.LBB6_2171:                             ;   in Loop: Header=BB6_129 Depth=2
	s_or_b64 exec, exec, s[90:91]
                                        ; implicit-def: $vgpr14
.LBB6_2172:                             ;   in Loop: Header=BB6_129 Depth=2
	s_andn2_saveexec_b64 s[20:21], s[88:89]
; %bb.2173:                             ;   in Loop: Header=BB6_129 Depth=2
	v_or_b32_e32 v11, 0x7b, v14
; %bb.2174:                             ;   in Loop: Header=BB6_129 Depth=2
	s_or_b64 exec, exec, s[20:21]
                                        ; implicit-def: $vgpr2
.LBB6_2175:                             ;   in Loop: Header=BB6_129 Depth=2
	s_andn2_saveexec_b64 s[20:21], s[78:79]
	s_cbranch_execz .LBB6_2181
; %bb.2176:                             ;   in Loop: Header=BB6_129 Depth=2
	v_cmp_ne_u64_e32 vcc, 0, v[27:28]
                                        ; implicit-def: $vgpr11
	s_and_saveexec_b64 s[78:79], vcc
	s_xor_b64 s[78:79], exec, s[78:79]
; %bb.2177:                             ;   in Loop: Header=BB6_129 Depth=2
	v_or_b32_sdwa v11, v2, s65 dst_sel:DWORD dst_unused:UNUSED_PAD src0_sel:BYTE_3 src1_sel:DWORD
                                        ; implicit-def: $vgpr2
; %bb.2178:                             ;   in Loop: Header=BB6_129 Depth=2
	s_andn2_saveexec_b64 s[78:79], s[78:79]
; %bb.2179:                             ;   in Loop: Header=BB6_129 Depth=2
	v_cmp_lt_i32_e32 vcc, -1, v2
	v_bfrev_b32_e32 v2, 0.5
	v_mov_b32_e32 v3, 0x7c
	v_cndmask_b32_e32 v11, v2, v3, vcc
; %bb.2180:                             ;   in Loop: Header=BB6_129 Depth=2
	s_or_b64 exec, exec, s[78:79]
.LBB6_2181:                             ;   in Loop: Header=BB6_129 Depth=2
	s_or_b64 exec, exec, s[20:21]
	v_lshrrev_b16_e32 v2, 8, v16
	v_cmp_ne_u16_e32 vcc, 0, v2
	v_mov_b32_e32 v4, 0
	v_mov_b32_e32 v14, 0
	s_and_saveexec_b64 s[20:21], vcc
	s_cbranch_execz .LBB6_2189
; %bb.2182:                             ;   in Loop: Header=BB6_129 Depth=2
	v_cmp_ne_u16_e32 vcc, s55, v2
	v_bfrev_b32_e32 v14, 1
	s_and_saveexec_b64 s[78:79], vcc
	s_cbranch_execz .LBB6_2188
; %bb.2183:                             ;   in Loop: Header=BB6_129 Depth=2
	v_and_b32_e32 v3, 0x7c, v2
	v_and_b32_e32 v15, 3, v2
	v_cmp_ne_u32_e32 vcc, s53, v3
                                        ; implicit-def: $vgpr14
	s_and_saveexec_b64 s[88:89], vcc
	s_xor_b64 s[88:89], exec, s[88:89]
	s_cbranch_execz .LBB6_2185
; %bb.2184:                             ;   in Loop: Header=BB6_129 Depth=2
	v_ffbh_u32_e32 v27, v15
	v_min_u32_e32 v27, 32, v27
	v_mov_b32_e32 v3, v28
	v_subrev_u32_e32 v32, 29, v27
	v_bfe_u32 v14, v2, 2, 5
	v_lshlrev_b64 v[2:3], v32, v[2:3]
	v_sub_u32_e32 v3, 30, v27
	v_cmp_eq_u32_e32 vcc, 0, v14
	v_cndmask_b32_e32 v3, v14, v3, vcc
	v_lshlrev_b32_e32 v14, 16, v16
	v_and_b32_e32 v2, 3, v2
	v_and_b32_e32 v14, 0x80000000, v14
	v_cndmask_b32_e32 v2, v15, v2, vcc
	v_lshl_add_u32 v3, v3, 23, v14
	v_lshl_or_b32 v2, v2, 21, v3
	v_add_u32_e32 v14, 0x38000000, v2
                                        ; implicit-def: $vgpr15
.LBB6_2185:                             ;   in Loop: Header=BB6_129 Depth=2
	s_andn2_saveexec_b64 s[88:89], s[88:89]
; %bb.2186:                             ;   in Loop: Header=BB6_129 Depth=2
	v_cmp_lt_i16_e32 vcc, -1, v16
	v_mov_b32_e32 v2, 0xff800000
	v_mov_b32_e32 v3, 0x7f800000
	v_cndmask_b32_e32 v2, v2, v3, vcc
	v_cmp_eq_u32_e32 vcc, 0, v15
	v_mov_b32_e32 v3, 0x7f800001
	v_cndmask_b32_e32 v14, v3, v2, vcc
; %bb.2187:                             ;   in Loop: Header=BB6_129 Depth=2
	s_or_b64 exec, exec, s[88:89]
.LBB6_2188:                             ;   in Loop: Header=BB6_129 Depth=2
	s_or_b64 exec, exec, s[78:79]
.LBB6_2189:                             ;   in Loop: Header=BB6_129 Depth=2
	s_or_b64 exec, exec, s[20:21]
	v_lshrrev_b16_e32 v2, 8, v12
	v_cmp_ne_u16_e32 vcc, 0, v2
	s_and_saveexec_b64 s[20:21], vcc
	s_cbranch_execz .LBB6_2197
; %bb.2190:                             ;   in Loop: Header=BB6_129 Depth=2
	v_cmp_ne_u16_e32 vcc, s55, v2
	v_bfrev_b32_e32 v4, 1
	s_and_saveexec_b64 s[78:79], vcc
	s_cbranch_execz .LBB6_2196
; %bb.2191:                             ;   in Loop: Header=BB6_129 Depth=2
	v_and_b32_e32 v3, 0x7c, v2
	v_and_b32_e32 v15, 3, v2
	v_cmp_ne_u32_e32 vcc, s53, v3
                                        ; implicit-def: $vgpr4
	s_and_saveexec_b64 s[88:89], vcc
	s_xor_b64 s[88:89], exec, s[88:89]
	s_cbranch_execz .LBB6_2193
; %bb.2192:                             ;   in Loop: Header=BB6_129 Depth=2
	v_ffbh_u32_e32 v27, v15
	v_min_u32_e32 v27, 32, v27
	v_mov_b32_e32 v3, v28
	v_subrev_u32_e32 v32, 29, v27
	v_bfe_u32 v4, v2, 2, 5
	v_lshlrev_b64 v[2:3], v32, v[2:3]
	v_sub_u32_e32 v3, 30, v27
	v_cmp_eq_u32_e32 vcc, 0, v4
	v_cndmask_b32_e32 v3, v4, v3, vcc
	v_lshlrev_b32_e32 v4, 16, v12
	v_and_b32_e32 v2, 3, v2
	v_and_b32_e32 v4, 0x80000000, v4
	v_cndmask_b32_e32 v2, v15, v2, vcc
	v_lshl_add_u32 v3, v3, 23, v4
	v_lshl_or_b32 v2, v2, 21, v3
	v_add_u32_e32 v4, 0x38000000, v2
                                        ; implicit-def: $vgpr15
.LBB6_2193:                             ;   in Loop: Header=BB6_129 Depth=2
	s_andn2_saveexec_b64 s[88:89], s[88:89]
; %bb.2194:                             ;   in Loop: Header=BB6_129 Depth=2
	v_cmp_lt_i16_e32 vcc, -1, v12
	v_mov_b32_e32 v2, 0xff800000
	v_mov_b32_e32 v3, 0x7f800000
	v_cndmask_b32_e32 v2, v2, v3, vcc
	v_cmp_eq_u32_e32 vcc, 0, v15
	v_mov_b32_e32 v3, 0x7f800001
	v_cndmask_b32_e32 v4, v3, v2, vcc
; %bb.2195:                             ;   in Loop: Header=BB6_129 Depth=2
	s_or_b64 exec, exec, s[88:89]
.LBB6_2196:                             ;   in Loop: Header=BB6_129 Depth=2
	s_or_b64 exec, exec, s[78:79]
.LBB6_2197:                             ;   in Loop: Header=BB6_129 Depth=2
	s_or_b64 exec, exec, s[20:21]
	v_mul_f32_e32 v2, v14, v4
	v_and_b32_e32 v3, 0x7f800000, v2
	v_mov_b32_e32 v4, v28
	v_cmp_ne_u64_e32 vcc, s[60:61], v[3:4]
	v_and_b32_e32 v27, 0x7fffff, v2
                                        ; implicit-def: $vgpr14
	s_and_saveexec_b64 s[20:21], vcc
	s_xor_b64 s[78:79], exec, s[20:21]
	s_cbranch_execz .LBB6_2211
; %bb.2198:                             ;   in Loop: Header=BB6_129 Depth=2
	v_and_b32_e32 v3, 0x7fffffff, v2
	v_mov_b32_e32 v4, v28
	v_cmp_gt_u64_e32 vcc, s[62:63], v[3:4]
	v_and_b32_sdwa v15, v2, s55 dst_sel:DWORD dst_unused:UNUSED_PAD src0_sel:BYTE_3 src1_sel:DWORD
                                        ; implicit-def: $vgpr14
	s_and_saveexec_b64 s[20:21], vcc
	s_xor_b64 s[88:89], exec, s[20:21]
	s_cbranch_execz .LBB6_2208
; %bb.2199:                             ;   in Loop: Header=BB6_129 Depth=2
	v_mov_b32_e32 v14, 0
	v_cmp_ne_u32_e32 vcc, 0, v2
	s_and_saveexec_b64 s[90:91], vcc
	s_cbranch_execz .LBB6_2207
; %bb.2200:                             ;   in Loop: Header=BB6_129 Depth=2
	v_bfe_u32 v14, v2, 23, 8
	v_cmp_gt_u32_e64 s[20:21], s64, v14
	v_sub_u32_e32 v2, 0x71, v14
	v_cmp_eq_u32_e32 vcc, 0, v14
	v_cndmask_b32_e64 v2, 0, v2, s[20:21]
	v_mov_b32_e32 v4, 0x70
	v_cndmask_b32_e32 v38, v2, v4, vcc
	v_add_u32_e32 v4, 21, v38
	v_or_b32_e32 v3, 0x800000, v27
	v_lshlrev_b64 v[50:51], v4, -1
	v_cndmask_b32_e32 v2, v3, v27, vcc
	v_mov_b32_e32 v3, v28
	v_add_u32_e32 v4, 20, v38
	v_bfi_b32 v50, v50, 0, v2
	v_lshlrev_b64 v[42:43], v4, 1
	v_lshrrev_b64 v[2:3], v38, v[2:3]
	v_bfi_b32 v51, v51, 0, 0
	v_cmp_eq_u64_e64 s[20:21], v[50:51], v[42:43]
	v_mov_b32_e32 v4, v3
	v_mov_b32_e32 v3, v2
	s_and_saveexec_b64 s[92:93], s[20:21]
; %bb.2201:                             ;   in Loop: Header=BB6_129 Depth=2
	v_bfe_u32 v3, v2, 21, 1
	v_add_co_u32_e64 v3, s[20:21], v2, v3
	v_add_co_u32_e64 v3, s[20:21], -1, v3
; %bb.2202:                             ;   in Loop: Header=BB6_129 Depth=2
	s_or_b64 exec, exec, s[92:93]
	v_add_u32_e32 v4, 0xffffff81, v14
	v_mov_b32_e32 v14, 0xffffff82
	v_cndmask_b32_e32 v4, v4, v14, vcc
	v_lshrrev_b32_e32 v14, 23, v2
	v_add3_u32 v38, v38, v4, v14
	v_add_u32_e32 v14, 14, v38
	v_and_b32_e32 v3, 0x1fffff, v3
	v_add_u32_e32 v27, v3, v2
	v_cmp_ne_u32_e32 vcc, 0, v14
                                        ; implicit-def: $vgpr2_vgpr3
                                        ; implicit-def: $vgpr4
	s_and_saveexec_b64 s[20:21], vcc
	s_xor_b64 s[20:21], exec, s[20:21]
; %bb.2203:                             ;   in Loop: Header=BB6_129 Depth=2
	v_cmp_lt_u64_e32 vcc, s[72:73], v[27:28]
	v_add_u32_e32 v2, 15, v38
	v_cndmask_b32_e32 v4, v14, v2, vcc
	v_cndmask_b32_e64 v2, 0, 1, vcc
	v_lshrrev_b64 v[2:3], v2, v[27:28]
; %bb.2204:                             ;   in Loop: Header=BB6_129 Depth=2
	s_andn2_saveexec_b64 s[20:21], s[20:21]
; %bb.2205:                             ;   in Loop: Header=BB6_129 Depth=2
	v_mov_b32_e32 v2, v27
	v_mov_b32_e32 v3, v28
	v_bfe_u32 v4, v27, 23, 1
; %bb.2206:                             ;   in Loop: Header=BB6_129 Depth=2
	s_or_b64 exec, exec, s[20:21]
	v_lshrrev_b64 v[2:3], 21, v[2:3]
	v_cmp_gt_i32_e32 vcc, 32, v4
	v_cndmask_b32_e32 v3, 0, v3, vcc
	v_cndmask_b32_e32 v2, 3, v2, vcc
	v_cmp_eq_u64_e64 s[20:21], 0, v[2:3]
	v_min_i32_e32 v3, 31, v4
	v_lshlrev_b32_e32 v3, 2, v3
	v_cmp_eq_u32_e32 vcc, 0, v4
	v_and_b32_e32 v3, 0xfc, v3
	v_and_or_b32 v2, v2, 3, v3
	s_and_b64 s[20:21], vcc, s[20:21]
	v_cndmask_b32_e64 v2, v2, 0, s[20:21]
	v_or_b32_e32 v14, v2, v15
.LBB6_2207:                             ;   in Loop: Header=BB6_129 Depth=2
	s_or_b64 exec, exec, s[90:91]
                                        ; implicit-def: $vgpr15
.LBB6_2208:                             ;   in Loop: Header=BB6_129 Depth=2
	s_andn2_saveexec_b64 s[20:21], s[88:89]
; %bb.2209:                             ;   in Loop: Header=BB6_129 Depth=2
	v_or_b32_e32 v14, 0x7b, v15
; %bb.2210:                             ;   in Loop: Header=BB6_129 Depth=2
	s_or_b64 exec, exec, s[20:21]
                                        ; implicit-def: $vgpr2
.LBB6_2211:                             ;   in Loop: Header=BB6_129 Depth=2
	s_andn2_saveexec_b64 s[20:21], s[78:79]
	s_cbranch_execz .LBB6_2217
; %bb.2212:                             ;   in Loop: Header=BB6_129 Depth=2
	v_cmp_ne_u64_e32 vcc, 0, v[27:28]
                                        ; implicit-def: $vgpr14
	s_and_saveexec_b64 s[78:79], vcc
	s_xor_b64 s[78:79], exec, s[78:79]
; %bb.2213:                             ;   in Loop: Header=BB6_129 Depth=2
	v_or_b32_sdwa v14, v2, s65 dst_sel:DWORD dst_unused:UNUSED_PAD src0_sel:BYTE_3 src1_sel:DWORD
                                        ; implicit-def: $vgpr2
; %bb.2214:                             ;   in Loop: Header=BB6_129 Depth=2
	s_andn2_saveexec_b64 s[78:79], s[78:79]
; %bb.2215:                             ;   in Loop: Header=BB6_129 Depth=2
	v_cmp_lt_i32_e32 vcc, -1, v2
	v_bfrev_b32_e32 v2, 0.5
	v_mov_b32_e32 v3, 0x7c
	v_cndmask_b32_e32 v14, v2, v3, vcc
; %bb.2216:                             ;   in Loop: Header=BB6_129 Depth=2
	s_or_b64 exec, exec, s[78:79]
.LBB6_2217:                             ;   in Loop: Header=BB6_129 Depth=2
	s_or_b64 exec, exec, s[20:21]
	v_lshrrev_b32_e32 v2, 16, v16
	v_cmp_ne_u16_sdwa s[78:79], v2, v28 src0_sel:BYTE_0 src1_sel:DWORD
	v_mov_b32_e32 v3, 0
	v_mov_b32_e32 v4, 0
	s_and_saveexec_b64 s[20:21], s[78:79]
	s_cbranch_execz .LBB6_2225
; %bb.2218:                             ;   in Loop: Header=BB6_129 Depth=2
	v_cmp_ne_u16_sdwa s[88:89], v2, s55 src0_sel:BYTE_0 src1_sel:DWORD
	v_bfrev_b32_e32 v4, 1
	s_and_saveexec_b64 s[78:79], s[88:89]
	s_cbranch_execz .LBB6_2224
; %bb.2219:                             ;   in Loop: Header=BB6_129 Depth=2
	v_and_b32_e32 v4, 0x7c0000, v16
	v_bfe_u32 v15, v16, 16, 2
	v_cmp_ne_u32_e32 vcc, s66, v4
                                        ; implicit-def: $vgpr4
	s_and_saveexec_b64 s[88:89], vcc
	s_xor_b64 s[88:89], exec, s[88:89]
	s_cbranch_execz .LBB6_2221
; %bb.2220:                             ;   in Loop: Header=BB6_129 Depth=2
	v_ffbh_u32_e32 v27, v15
	v_min_u32_e32 v27, 32, v27
	v_subrev_u32_e32 v32, 29, v27
	v_lshlrev_b64 v[38:39], v32, v[2:3]
	v_bfe_u32 v4, v16, 18, 5
	v_sub_u32_e32 v2, 30, v27
	v_and_b32_e32 v27, 3, v38
	v_cmp_eq_u32_e32 vcc, 0, v4
	v_cndmask_b32_e32 v2, v4, v2, vcc
	v_cndmask_b32_e32 v4, v15, v27, vcc
	v_lshlrev_b32_e32 v15, 8, v16
	v_and_b32_e32 v15, 0x80000000, v15
	v_lshl_add_u32 v2, v2, 23, v15
	v_lshl_or_b32 v2, v4, 21, v2
	v_add_u32_e32 v4, 0x38000000, v2
                                        ; implicit-def: $vgpr15
                                        ; implicit-def: $vgpr2
.LBB6_2221:                             ;   in Loop: Header=BB6_129 Depth=2
	s_andn2_saveexec_b64 s[88:89], s[88:89]
; %bb.2222:                             ;   in Loop: Header=BB6_129 Depth=2
	v_mov_b32_e32 v4, -1
	v_cmp_gt_i16_sdwa vcc, sext(v2), v4 src0_sel:BYTE_0 src1_sel:DWORD
	v_mov_b32_e32 v2, 0xff800000
	v_mov_b32_e32 v4, 0x7f800000
	v_cndmask_b32_e32 v2, v2, v4, vcc
	v_cmp_eq_u32_e32 vcc, 0, v15
	v_mov_b32_e32 v4, 0x7f800001
	v_cndmask_b32_e32 v4, v4, v2, vcc
; %bb.2223:                             ;   in Loop: Header=BB6_129 Depth=2
	s_or_b64 exec, exec, s[88:89]
.LBB6_2224:                             ;   in Loop: Header=BB6_129 Depth=2
	s_or_b64 exec, exec, s[78:79]
.LBB6_2225:                             ;   in Loop: Header=BB6_129 Depth=2
	s_or_b64 exec, exec, s[20:21]
	v_lshrrev_b32_e32 v2, 16, v12
	v_cmp_ne_u16_sdwa s[78:79], v2, v28 src0_sel:BYTE_0 src1_sel:DWORD
	s_and_saveexec_b64 s[20:21], s[78:79]
	s_cbranch_execz .LBB6_2233
; %bb.2226:                             ;   in Loop: Header=BB6_129 Depth=2
	v_cmp_ne_u16_sdwa s[88:89], v2, s55 src0_sel:BYTE_0 src1_sel:DWORD
	v_bfrev_b32_e32 v3, 1
	s_and_saveexec_b64 s[78:79], s[88:89]
	s_cbranch_execz .LBB6_2232
; %bb.2227:                             ;   in Loop: Header=BB6_129 Depth=2
	v_and_b32_e32 v3, 0x7c0000, v12
	v_bfe_u32 v15, v12, 16, 2
	v_cmp_ne_u32_e32 vcc, s66, v3
                                        ; implicit-def: $vgpr3
	s_and_saveexec_b64 s[88:89], vcc
	s_xor_b64 s[88:89], exec, s[88:89]
	s_cbranch_execz .LBB6_2229
; %bb.2228:                             ;   in Loop: Header=BB6_129 Depth=2
	v_ffbh_u32_e32 v3, v15
	v_min_u32_e32 v32, 32, v3
	v_subrev_u32_e32 v3, 29, v32
	v_lshlrev_b64 v[2:3], v3, v[2:3]
	v_bfe_u32 v27, v12, 18, 5
	v_and_b32_e32 v2, 3, v2
	v_cmp_eq_u32_e32 vcc, 0, v27
	v_sub_u32_e32 v3, 30, v32
	v_cndmask_b32_e32 v2, v15, v2, vcc
	v_lshlrev_b32_e32 v15, 8, v12
	v_cndmask_b32_e32 v3, v27, v3, vcc
	v_and_b32_e32 v15, 0x80000000, v15
	v_lshl_add_u32 v3, v3, 23, v15
	v_lshl_or_b32 v2, v2, 21, v3
	v_add_u32_e32 v3, 0x38000000, v2
                                        ; implicit-def: $vgpr15
                                        ; implicit-def: $vgpr2
.LBB6_2229:                             ;   in Loop: Header=BB6_129 Depth=2
	s_andn2_saveexec_b64 s[88:89], s[88:89]
; %bb.2230:                             ;   in Loop: Header=BB6_129 Depth=2
	v_mov_b32_e32 v3, -1
	v_cmp_gt_i16_sdwa vcc, sext(v2), v3 src0_sel:BYTE_0 src1_sel:DWORD
	v_mov_b32_e32 v2, 0xff800000
	v_mov_b32_e32 v3, 0x7f800000
	v_cndmask_b32_e32 v2, v2, v3, vcc
	v_cmp_eq_u32_e32 vcc, 0, v15
	v_mov_b32_e32 v3, 0x7f800001
	v_cndmask_b32_e32 v3, v3, v2, vcc
; %bb.2231:                             ;   in Loop: Header=BB6_129 Depth=2
	s_or_b64 exec, exec, s[88:89]
.LBB6_2232:                             ;   in Loop: Header=BB6_129 Depth=2
	s_or_b64 exec, exec, s[78:79]
.LBB6_2233:                             ;   in Loop: Header=BB6_129 Depth=2
	s_or_b64 exec, exec, s[20:21]
	v_mul_f32_e32 v2, v4, v3
	v_and_b32_e32 v3, 0x7f800000, v2
	v_mov_b32_e32 v4, v28
	v_cmp_ne_u64_e32 vcc, s[60:61], v[3:4]
	v_and_b32_e32 v27, 0x7fffff, v2
                                        ; implicit-def: $vgpr15
	s_and_saveexec_b64 s[20:21], vcc
	s_xor_b64 s[78:79], exec, s[20:21]
	s_cbranch_execz .LBB6_2247
; %bb.2234:                             ;   in Loop: Header=BB6_129 Depth=2
	v_and_b32_e32 v3, 0x7fffffff, v2
	v_mov_b32_e32 v4, v28
	v_cmp_gt_u64_e32 vcc, s[62:63], v[3:4]
	v_and_b32_sdwa v38, v2, s55 dst_sel:DWORD dst_unused:UNUSED_PAD src0_sel:BYTE_3 src1_sel:DWORD
                                        ; implicit-def: $vgpr15
	s_and_saveexec_b64 s[20:21], vcc
	s_xor_b64 s[88:89], exec, s[20:21]
	s_cbranch_execz .LBB6_2244
; %bb.2235:                             ;   in Loop: Header=BB6_129 Depth=2
	v_mov_b32_e32 v15, 0
	v_cmp_ne_u32_e32 vcc, 0, v2
	s_and_saveexec_b64 s[90:91], vcc
	s_cbranch_execz .LBB6_2243
; %bb.2236:                             ;   in Loop: Header=BB6_129 Depth=2
	v_bfe_u32 v15, v2, 23, 8
	v_cmp_gt_u32_e64 s[20:21], s64, v15
	v_sub_u32_e32 v2, 0x71, v15
	v_cmp_eq_u32_e32 vcc, 0, v15
	v_cndmask_b32_e64 v2, 0, v2, s[20:21]
	v_mov_b32_e32 v4, 0x70
	v_cndmask_b32_e32 v39, v2, v4, vcc
	v_add_u32_e32 v4, 21, v39
	v_or_b32_e32 v3, 0x800000, v27
	v_lshlrev_b64 v[50:51], v4, -1
	v_cndmask_b32_e32 v2, v3, v27, vcc
	v_mov_b32_e32 v3, v28
	v_add_u32_e32 v4, 20, v39
	v_bfi_b32 v50, v50, 0, v2
	v_lshlrev_b64 v[42:43], v4, 1
	v_lshrrev_b64 v[2:3], v39, v[2:3]
	v_bfi_b32 v51, v51, 0, 0
	v_cmp_eq_u64_e64 s[20:21], v[50:51], v[42:43]
	v_mov_b32_e32 v4, v3
	v_mov_b32_e32 v3, v2
	s_and_saveexec_b64 s[92:93], s[20:21]
; %bb.2237:                             ;   in Loop: Header=BB6_129 Depth=2
	v_bfe_u32 v3, v2, 21, 1
	v_add_co_u32_e64 v3, s[20:21], v2, v3
	v_add_co_u32_e64 v3, s[20:21], -1, v3
; %bb.2238:                             ;   in Loop: Header=BB6_129 Depth=2
	s_or_b64 exec, exec, s[92:93]
	v_add_u32_e32 v4, 0xffffff81, v15
	v_mov_b32_e32 v15, 0xffffff82
	v_cndmask_b32_e32 v4, v4, v15, vcc
	v_lshrrev_b32_e32 v15, 23, v2
	v_add3_u32 v39, v39, v4, v15
	v_add_u32_e32 v15, 14, v39
	v_and_b32_e32 v3, 0x1fffff, v3
	v_add_u32_e32 v27, v3, v2
	v_cmp_ne_u32_e32 vcc, 0, v15
                                        ; implicit-def: $vgpr2_vgpr3
                                        ; implicit-def: $vgpr4
	s_and_saveexec_b64 s[20:21], vcc
	s_xor_b64 s[20:21], exec, s[20:21]
; %bb.2239:                             ;   in Loop: Header=BB6_129 Depth=2
	v_cmp_lt_u64_e32 vcc, s[72:73], v[27:28]
	v_add_u32_e32 v2, 15, v39
	v_cndmask_b32_e32 v4, v15, v2, vcc
	v_cndmask_b32_e64 v2, 0, 1, vcc
	v_lshrrev_b64 v[2:3], v2, v[27:28]
; %bb.2240:                             ;   in Loop: Header=BB6_129 Depth=2
	s_andn2_saveexec_b64 s[20:21], s[20:21]
; %bb.2241:                             ;   in Loop: Header=BB6_129 Depth=2
	v_mov_b32_e32 v2, v27
	v_mov_b32_e32 v3, v28
	v_bfe_u32 v4, v27, 23, 1
; %bb.2242:                             ;   in Loop: Header=BB6_129 Depth=2
	s_or_b64 exec, exec, s[20:21]
	v_lshrrev_b64 v[2:3], 21, v[2:3]
	v_cmp_gt_i32_e32 vcc, 32, v4
	v_cndmask_b32_e32 v3, 0, v3, vcc
	v_cndmask_b32_e32 v2, 3, v2, vcc
	v_cmp_eq_u64_e64 s[20:21], 0, v[2:3]
	v_min_i32_e32 v3, 31, v4
	v_lshlrev_b32_e32 v3, 2, v3
	v_cmp_eq_u32_e32 vcc, 0, v4
	v_and_b32_e32 v3, 0xfc, v3
	v_and_or_b32 v2, v2, 3, v3
	s_and_b64 s[20:21], vcc, s[20:21]
	v_cndmask_b32_e64 v2, v2, 0, s[20:21]
	v_or_b32_e32 v15, v2, v38
.LBB6_2243:                             ;   in Loop: Header=BB6_129 Depth=2
	s_or_b64 exec, exec, s[90:91]
                                        ; implicit-def: $vgpr38
.LBB6_2244:                             ;   in Loop: Header=BB6_129 Depth=2
	s_andn2_saveexec_b64 s[20:21], s[88:89]
; %bb.2245:                             ;   in Loop: Header=BB6_129 Depth=2
	v_or_b32_e32 v15, 0x7b, v38
; %bb.2246:                             ;   in Loop: Header=BB6_129 Depth=2
	s_or_b64 exec, exec, s[20:21]
                                        ; implicit-def: $vgpr2
.LBB6_2247:                             ;   in Loop: Header=BB6_129 Depth=2
	s_andn2_saveexec_b64 s[20:21], s[78:79]
	s_cbranch_execz .LBB6_2253
; %bb.2248:                             ;   in Loop: Header=BB6_129 Depth=2
	v_cmp_ne_u64_e32 vcc, 0, v[27:28]
                                        ; implicit-def: $vgpr15
	s_and_saveexec_b64 s[78:79], vcc
	s_xor_b64 s[78:79], exec, s[78:79]
; %bb.2249:                             ;   in Loop: Header=BB6_129 Depth=2
	v_or_b32_sdwa v15, v2, s65 dst_sel:DWORD dst_unused:UNUSED_PAD src0_sel:BYTE_3 src1_sel:DWORD
                                        ; implicit-def: $vgpr2
; %bb.2250:                             ;   in Loop: Header=BB6_129 Depth=2
	s_andn2_saveexec_b64 s[78:79], s[78:79]
; %bb.2251:                             ;   in Loop: Header=BB6_129 Depth=2
	v_cmp_lt_i32_e32 vcc, -1, v2
	v_bfrev_b32_e32 v2, 0.5
	v_mov_b32_e32 v3, 0x7c
	v_cndmask_b32_e32 v15, v2, v3, vcc
; %bb.2252:                             ;   in Loop: Header=BB6_129 Depth=2
	s_or_b64 exec, exec, s[78:79]
.LBB6_2253:                             ;   in Loop: Header=BB6_129 Depth=2
	s_or_b64 exec, exec, s[20:21]
	v_cmp_lt_u32_e32 vcc, s59, v16
	v_mov_b32_e32 v3, 0
	v_mov_b32_e32 v4, 0
	s_and_saveexec_b64 s[20:21], vcc
	s_cbranch_execz .LBB6_2261
; %bb.2254:                             ;   in Loop: Header=BB6_129 Depth=2
	v_lshrrev_b32_e32 v2, 24, v16
	v_cmp_ne_u32_e32 vcc, s55, v2
	v_bfrev_b32_e32 v4, 1
	s_and_saveexec_b64 s[78:79], vcc
	s_cbranch_execz .LBB6_2260
; %bb.2255:                             ;   in Loop: Header=BB6_129 Depth=2
	v_and_b32_e32 v4, 0x7c000000, v16
	v_bfe_u32 v27, v16, 24, 2
	v_cmp_ne_u32_e32 vcc, s67, v4
                                        ; implicit-def: $vgpr4
	s_and_saveexec_b64 s[88:89], vcc
	s_xor_b64 s[88:89], exec, s[88:89]
	s_cbranch_execz .LBB6_2257
; %bb.2256:                             ;   in Loop: Header=BB6_129 Depth=2
	v_ffbh_u32_e32 v32, v27
	v_min_u32_e32 v32, 32, v32
	v_subrev_u32_e32 v33, 29, v32
	v_lshlrev_b64 v[38:39], v33, v[2:3]
	v_bfe_u32 v4, v16, 26, 5
	v_sub_u32_e32 v2, 30, v32
	v_and_b32_e32 v32, 3, v38
	v_cmp_eq_u32_e32 vcc, 0, v4
	v_cndmask_b32_e32 v2, v4, v2, vcc
	v_cndmask_b32_e32 v4, v27, v32, vcc
	v_and_b32_e32 v27, 0x80000000, v16
	v_lshl_add_u32 v2, v2, 23, v27
	v_lshl_or_b32 v2, v4, 21, v2
	v_add_u32_e32 v4, 0x38000000, v2
                                        ; implicit-def: $vgpr27
.LBB6_2257:                             ;   in Loop: Header=BB6_129 Depth=2
	s_andn2_saveexec_b64 s[88:89], s[88:89]
; %bb.2258:                             ;   in Loop: Header=BB6_129 Depth=2
	v_cmp_lt_i32_e32 vcc, -1, v16
	v_mov_b32_e32 v2, 0xff800000
	v_mov_b32_e32 v4, 0x7f800000
	v_cndmask_b32_e32 v2, v2, v4, vcc
	v_cmp_eq_u32_e32 vcc, 0, v27
	v_mov_b32_e32 v4, 0x7f800001
	v_cndmask_b32_e32 v4, v4, v2, vcc
; %bb.2259:                             ;   in Loop: Header=BB6_129 Depth=2
	s_or_b64 exec, exec, s[88:89]
.LBB6_2260:                             ;   in Loop: Header=BB6_129 Depth=2
	s_or_b64 exec, exec, s[78:79]
.LBB6_2261:                             ;   in Loop: Header=BB6_129 Depth=2
	s_or_b64 exec, exec, s[20:21]
	v_cmp_lt_u32_e32 vcc, s59, v12
	s_and_saveexec_b64 s[20:21], vcc
	s_cbranch_execz .LBB6_2269
; %bb.2262:                             ;   in Loop: Header=BB6_129 Depth=2
	v_lshrrev_b32_e32 v2, 24, v12
	v_cmp_ne_u32_e32 vcc, s55, v2
	v_bfrev_b32_e32 v3, 1
	s_and_saveexec_b64 s[78:79], vcc
	s_cbranch_execz .LBB6_2268
; %bb.2263:                             ;   in Loop: Header=BB6_129 Depth=2
	v_and_b32_e32 v3, 0x7c000000, v12
	v_bfe_u32 v27, v12, 24, 2
	v_cmp_ne_u32_e32 vcc, s67, v3
                                        ; implicit-def: $vgpr3
	s_and_saveexec_b64 s[88:89], vcc
	s_xor_b64 s[88:89], exec, s[88:89]
	s_cbranch_execz .LBB6_2265
; %bb.2264:                             ;   in Loop: Header=BB6_129 Depth=2
	v_ffbh_u32_e32 v3, v27
	v_min_u32_e32 v33, 32, v3
	v_subrev_u32_e32 v3, 29, v33
	v_lshlrev_b64 v[2:3], v3, v[2:3]
	v_bfe_u32 v32, v12, 26, 5
	v_sub_u32_e32 v3, 30, v33
	v_and_b32_e32 v2, 3, v2
	v_cmp_eq_u32_e32 vcc, 0, v32
	v_cndmask_b32_e32 v3, v32, v3, vcc
	v_cndmask_b32_e32 v2, v27, v2, vcc
	v_and_b32_e32 v27, 0x80000000, v12
	v_lshl_add_u32 v3, v3, 23, v27
	v_lshl_or_b32 v2, v2, 21, v3
	v_add_u32_e32 v3, 0x38000000, v2
                                        ; implicit-def: $vgpr27
.LBB6_2265:                             ;   in Loop: Header=BB6_129 Depth=2
	s_andn2_saveexec_b64 s[88:89], s[88:89]
; %bb.2266:                             ;   in Loop: Header=BB6_129 Depth=2
	v_cmp_lt_i32_e32 vcc, -1, v12
	v_mov_b32_e32 v2, 0xff800000
	v_mov_b32_e32 v3, 0x7f800000
	v_cndmask_b32_e32 v2, v2, v3, vcc
	v_cmp_eq_u32_e32 vcc, 0, v27
	v_mov_b32_e32 v3, 0x7f800001
	v_cndmask_b32_e32 v3, v3, v2, vcc
; %bb.2267:                             ;   in Loop: Header=BB6_129 Depth=2
	s_or_b64 exec, exec, s[88:89]
.LBB6_2268:                             ;   in Loop: Header=BB6_129 Depth=2
	s_or_b64 exec, exec, s[78:79]
.LBB6_2269:                             ;   in Loop: Header=BB6_129 Depth=2
	s_or_b64 exec, exec, s[20:21]
	v_mul_f32_e32 v2, v4, v3
	v_and_b32_e32 v3, 0x7f800000, v2
	v_mov_b32_e32 v4, v28
	v_cmp_ne_u64_e32 vcc, s[60:61], v[3:4]
	v_and_b32_e32 v27, 0x7fffff, v2
                                        ; implicit-def: $vgpr42
	s_and_saveexec_b64 s[20:21], vcc
	s_xor_b64 s[78:79], exec, s[20:21]
	s_cbranch_execz .LBB6_2283
; %bb.2270:                             ;   in Loop: Header=BB6_129 Depth=2
	v_and_b32_e32 v3, 0x7fffffff, v2
	v_mov_b32_e32 v4, v28
	v_cmp_gt_u64_e32 vcc, s[62:63], v[3:4]
	v_and_b32_sdwa v38, v2, s55 dst_sel:DWORD dst_unused:UNUSED_PAD src0_sel:BYTE_3 src1_sel:DWORD
                                        ; implicit-def: $vgpr42
	s_and_saveexec_b64 s[20:21], vcc
	s_xor_b64 s[88:89], exec, s[20:21]
	s_cbranch_execz .LBB6_2280
; %bb.2271:                             ;   in Loop: Header=BB6_129 Depth=2
	v_mov_b32_e32 v42, 0
	v_cmp_ne_u32_e32 vcc, 0, v2
	s_and_saveexec_b64 s[90:91], vcc
	s_cbranch_execz .LBB6_2279
; %bb.2272:                             ;   in Loop: Header=BB6_129 Depth=2
	v_bfe_u32 v39, v2, 23, 8
	v_cmp_gt_u32_e64 s[20:21], s64, v39
	v_sub_u32_e32 v2, 0x71, v39
	v_cmp_eq_u32_e32 vcc, 0, v39
	v_cndmask_b32_e64 v2, 0, v2, s[20:21]
	v_mov_b32_e32 v4, 0x70
	v_cndmask_b32_e32 v42, v2, v4, vcc
	v_add_u32_e32 v4, 21, v42
	v_or_b32_e32 v3, 0x800000, v27
	v_lshlrev_b64 v[50:51], v4, -1
	v_cndmask_b32_e32 v2, v3, v27, vcc
	v_mov_b32_e32 v3, v28
	v_add_u32_e32 v4, 20, v42
	v_bfi_b32 v50, v50, 0, v2
	v_lshlrev_b64 v[43:44], v4, 1
	v_lshrrev_b64 v[2:3], v42, v[2:3]
	v_bfi_b32 v51, v51, 0, 0
	v_cmp_eq_u64_e64 s[20:21], v[50:51], v[43:44]
	v_mov_b32_e32 v4, v3
	v_mov_b32_e32 v3, v2
	s_and_saveexec_b64 s[92:93], s[20:21]
; %bb.2273:                             ;   in Loop: Header=BB6_129 Depth=2
	v_bfe_u32 v3, v2, 21, 1
	v_add_co_u32_e64 v3, s[20:21], v2, v3
	v_add_co_u32_e64 v3, s[20:21], -1, v3
; %bb.2274:                             ;   in Loop: Header=BB6_129 Depth=2
	s_or_b64 exec, exec, s[92:93]
	v_add_u32_e32 v4, 0xffffff81, v39
	v_mov_b32_e32 v27, 0xffffff82
	v_cndmask_b32_e32 v4, v4, v27, vcc
	v_lshrrev_b32_e32 v27, 23, v2
	v_add3_u32 v50, v42, v4, v27
	v_add_u32_e32 v39, 14, v50
	v_and_b32_e32 v3, 0x1fffff, v3
	v_add_u32_e32 v27, v3, v2
	v_cmp_ne_u32_e32 vcc, 0, v39
                                        ; implicit-def: $vgpr2_vgpr3
                                        ; implicit-def: $vgpr4
	s_and_saveexec_b64 s[20:21], vcc
	s_xor_b64 s[20:21], exec, s[20:21]
; %bb.2275:                             ;   in Loop: Header=BB6_129 Depth=2
	v_cmp_lt_u64_e32 vcc, s[72:73], v[27:28]
	v_add_u32_e32 v2, 15, v50
	v_cndmask_b32_e32 v4, v39, v2, vcc
	v_cndmask_b32_e64 v2, 0, 1, vcc
	v_lshrrev_b64 v[2:3], v2, v[27:28]
; %bb.2276:                             ;   in Loop: Header=BB6_129 Depth=2
	s_andn2_saveexec_b64 s[20:21], s[20:21]
; %bb.2277:                             ;   in Loop: Header=BB6_129 Depth=2
	v_mov_b32_e32 v2, v27
	v_mov_b32_e32 v3, v28
	v_bfe_u32 v4, v27, 23, 1
; %bb.2278:                             ;   in Loop: Header=BB6_129 Depth=2
	s_or_b64 exec, exec, s[20:21]
	v_lshrrev_b64 v[2:3], 21, v[2:3]
	v_cmp_gt_i32_e32 vcc, 32, v4
	v_cndmask_b32_e32 v3, 0, v3, vcc
	v_cndmask_b32_e32 v2, 3, v2, vcc
	v_cmp_eq_u64_e64 s[20:21], 0, v[2:3]
	v_min_i32_e32 v3, 31, v4
	v_lshlrev_b32_e32 v3, 2, v3
	v_cmp_eq_u32_e32 vcc, 0, v4
	v_and_b32_e32 v3, 0xfc, v3
	v_and_or_b32 v2, v2, 3, v3
	s_and_b64 s[20:21], vcc, s[20:21]
	v_cndmask_b32_e64 v2, v2, 0, s[20:21]
	v_or_b32_e32 v42, v2, v38
.LBB6_2279:                             ;   in Loop: Header=BB6_129 Depth=2
	s_or_b64 exec, exec, s[90:91]
                                        ; implicit-def: $vgpr38
.LBB6_2280:                             ;   in Loop: Header=BB6_129 Depth=2
	s_andn2_saveexec_b64 s[20:21], s[88:89]
; %bb.2281:                             ;   in Loop: Header=BB6_129 Depth=2
	v_or_b32_e32 v42, 0x7b, v38
; %bb.2282:                             ;   in Loop: Header=BB6_129 Depth=2
	s_or_b64 exec, exec, s[20:21]
                                        ; implicit-def: $vgpr2
.LBB6_2283:                             ;   in Loop: Header=BB6_129 Depth=2
	s_andn2_saveexec_b64 s[20:21], s[78:79]
	s_cbranch_execz .LBB6_2289
; %bb.2284:                             ;   in Loop: Header=BB6_129 Depth=2
	v_cmp_ne_u64_e32 vcc, 0, v[27:28]
                                        ; implicit-def: $vgpr42
	s_and_saveexec_b64 s[78:79], vcc
	s_xor_b64 s[78:79], exec, s[78:79]
; %bb.2285:                             ;   in Loop: Header=BB6_129 Depth=2
	v_or_b32_sdwa v42, v2, s65 dst_sel:DWORD dst_unused:UNUSED_PAD src0_sel:BYTE_3 src1_sel:DWORD
                                        ; implicit-def: $vgpr2
; %bb.2286:                             ;   in Loop: Header=BB6_129 Depth=2
	s_andn2_saveexec_b64 s[78:79], s[78:79]
; %bb.2287:                             ;   in Loop: Header=BB6_129 Depth=2
	v_cmp_lt_i32_e32 vcc, -1, v2
	v_bfrev_b32_e32 v2, 0.5
	v_mov_b32_e32 v3, 0x7c
	v_cndmask_b32_e32 v42, v2, v3, vcc
; %bb.2288:                             ;   in Loop: Header=BB6_129 Depth=2
	s_or_b64 exec, exec, s[78:79]
.LBB6_2289:                             ;   in Loop: Header=BB6_129 Depth=2
	s_or_b64 exec, exec, s[20:21]
	v_mov_b32_e32 v27, v17
	v_cmp_ne_u16_sdwa s[78:79], v17, v28 src0_sel:BYTE_0 src1_sel:DWORD
	v_mov_b32_e32 v3, 0
	v_mov_b32_e32 v2, 0
	s_and_saveexec_b64 s[20:21], s[78:79]
	s_cbranch_execz .LBB6_2297
; %bb.2290:                             ;   in Loop: Header=BB6_129 Depth=2
	v_cmp_ne_u16_sdwa s[88:89], v17, s55 src0_sel:BYTE_0 src1_sel:DWORD
	v_bfrev_b32_e32 v2, 1
	s_and_saveexec_b64 s[78:79], s[88:89]
	s_cbranch_execz .LBB6_2296
; %bb.2291:                             ;   in Loop: Header=BB6_129 Depth=2
	v_and_b32_e32 v2, 0x7c, v17
	v_and_b32_e32 v4, 3, v17
	v_cmp_ne_u32_e32 vcc, s53, v2
                                        ; implicit-def: $vgpr2
	s_and_saveexec_b64 s[88:89], vcc
	s_xor_b64 s[88:89], exec, s[88:89]
	s_cbranch_execz .LBB6_2293
; %bb.2292:                             ;   in Loop: Header=BB6_129 Depth=2
	v_ffbh_u32_e32 v32, v4
	v_min_u32_e32 v32, 32, v32
	v_bfe_u32 v2, v17, 2, 5
	v_subrev_u32_e32 v33, 29, v32
	v_lshlrev_b64 v[38:39], v33, v[27:28]
	v_sub_u32_e32 v32, 30, v32
	v_cmp_eq_u32_e32 vcc, 0, v2
	v_cndmask_b32_e32 v2, v2, v32, vcc
	v_lshlrev_b32_e32 v32, 24, v17
	v_and_b32_e32 v33, 3, v38
	v_and_b32_e32 v32, 0x80000000, v32
	v_cndmask_b32_e32 v4, v4, v33, vcc
	v_lshl_add_u32 v2, v2, 23, v32
	v_lshl_or_b32 v2, v4, 21, v2
	v_add_u32_e32 v2, 0x38000000, v2
                                        ; implicit-def: $vgpr4
.LBB6_2293:                             ;   in Loop: Header=BB6_129 Depth=2
	s_andn2_saveexec_b64 s[88:89], s[88:89]
; %bb.2294:                             ;   in Loop: Header=BB6_129 Depth=2
	v_mov_b32_e32 v2, -1
	v_cmp_gt_i16_sdwa vcc, sext(v17), v2 src0_sel:BYTE_0 src1_sel:DWORD
	v_mov_b32_e32 v2, 0xff800000
	v_mov_b32_e32 v32, 0x7f800000
	v_cndmask_b32_e32 v2, v2, v32, vcc
	v_cmp_eq_u32_e32 vcc, 0, v4
	v_mov_b32_e32 v4, 0x7f800001
	v_cndmask_b32_e32 v2, v4, v2, vcc
; %bb.2295:                             ;   in Loop: Header=BB6_129 Depth=2
	s_or_b64 exec, exec, s[88:89]
.LBB6_2296:                             ;   in Loop: Header=BB6_129 Depth=2
	s_or_b64 exec, exec, s[78:79]
.LBB6_2297:                             ;   in Loop: Header=BB6_129 Depth=2
	s_or_b64 exec, exec, s[20:21]
	v_cmp_ne_u16_sdwa s[78:79], v13, v28 src0_sel:BYTE_0 src1_sel:DWORD
	s_and_saveexec_b64 s[20:21], s[78:79]
	s_cbranch_execz .LBB6_2305
; %bb.2298:                             ;   in Loop: Header=BB6_129 Depth=2
	v_cmp_ne_u16_sdwa s[88:89], v13, s55 src0_sel:BYTE_0 src1_sel:DWORD
	v_bfrev_b32_e32 v3, 1
	s_and_saveexec_b64 s[78:79], s[88:89]
	s_cbranch_execz .LBB6_2304
; %bb.2299:                             ;   in Loop: Header=BB6_129 Depth=2
	v_and_b32_e32 v3, 0x7c, v13
	v_and_b32_e32 v4, 3, v13
	v_cmp_ne_u32_e32 vcc, s53, v3
                                        ; implicit-def: $vgpr3
	s_and_saveexec_b64 s[88:89], vcc
	s_xor_b64 s[88:89], exec, s[88:89]
	s_cbranch_execz .LBB6_2301
; %bb.2300:                             ;   in Loop: Header=BB6_129 Depth=2
	v_ffbh_u32_e32 v32, v4
	v_min_u32_e32 v32, 32, v32
	v_mov_b32_e32 v38, v13
	v_mov_b32_e32 v39, v28
	v_bfe_u32 v3, v13, 2, 5
	v_subrev_u32_e32 v33, 29, v32
	v_lshlrev_b64 v[38:39], v33, v[38:39]
	v_sub_u32_e32 v32, 30, v32
	v_cmp_eq_u32_e32 vcc, 0, v3
	v_cndmask_b32_e32 v3, v3, v32, vcc
	v_lshlrev_b32_e32 v32, 24, v13
	v_and_b32_e32 v33, 3, v38
	v_and_b32_e32 v32, 0x80000000, v32
	v_cndmask_b32_e32 v4, v4, v33, vcc
	v_lshl_add_u32 v3, v3, 23, v32
	v_lshl_or_b32 v3, v4, 21, v3
	v_add_u32_e32 v3, 0x38000000, v3
                                        ; implicit-def: $vgpr4
.LBB6_2301:                             ;   in Loop: Header=BB6_129 Depth=2
	s_andn2_saveexec_b64 s[88:89], s[88:89]
; %bb.2302:                             ;   in Loop: Header=BB6_129 Depth=2
	v_mov_b32_e32 v3, -1
	v_cmp_gt_i16_sdwa vcc, sext(v13), v3 src0_sel:BYTE_0 src1_sel:DWORD
	v_mov_b32_e32 v3, 0xff800000
	v_mov_b32_e32 v32, 0x7f800000
	v_cndmask_b32_e32 v3, v3, v32, vcc
	v_cmp_eq_u32_e32 vcc, 0, v4
	v_mov_b32_e32 v4, 0x7f800001
	v_cndmask_b32_e32 v3, v4, v3, vcc
; %bb.2303:                             ;   in Loop: Header=BB6_129 Depth=2
	s_or_b64 exec, exec, s[88:89]
.LBB6_2304:                             ;   in Loop: Header=BB6_129 Depth=2
	s_or_b64 exec, exec, s[78:79]
.LBB6_2305:                             ;   in Loop: Header=BB6_129 Depth=2
	s_or_b64 exec, exec, s[20:21]
	v_mul_f32_e32 v4, v2, v3
	v_and_b32_e32 v38, 0x7f800000, v4
	v_mov_b32_e32 v39, v28
	v_cmp_ne_u64_e32 vcc, s[60:61], v[38:39]
	v_and_b32_e32 v2, 0x7fffff, v4
	v_mov_b32_e32 v3, v28
                                        ; implicit-def: $vgpr43
	s_and_saveexec_b64 s[20:21], vcc
	s_xor_b64 s[78:79], exec, s[20:21]
	s_cbranch_execz .LBB6_2319
; %bb.2306:                             ;   in Loop: Header=BB6_129 Depth=2
	v_and_b32_e32 v38, 0x7fffffff, v4
	v_mov_b32_e32 v39, v28
	v_cmp_gt_u64_e32 vcc, s[62:63], v[38:39]
	v_and_b32_sdwa v38, v4, s55 dst_sel:DWORD dst_unused:UNUSED_PAD src0_sel:BYTE_3 src1_sel:DWORD
                                        ; implicit-def: $vgpr43
	s_and_saveexec_b64 s[20:21], vcc
	s_xor_b64 s[88:89], exec, s[20:21]
	s_cbranch_execz .LBB6_2316
; %bb.2307:                             ;   in Loop: Header=BB6_129 Depth=2
	v_mov_b32_e32 v43, 0
	v_cmp_ne_u32_e32 vcc, 0, v4
	s_and_saveexec_b64 s[90:91], vcc
	s_cbranch_execz .LBB6_2315
; %bb.2308:                             ;   in Loop: Header=BB6_129 Depth=2
	v_bfe_u32 v39, v4, 23, 8
	v_cmp_gt_u32_e64 s[20:21], s64, v39
	v_sub_u32_e32 v4, 0x71, v39
	v_cmp_eq_u32_e32 vcc, 0, v39
	v_cndmask_b32_e64 v4, 0, v4, s[20:21]
	v_mov_b32_e32 v33, 0x70
	v_cndmask_b32_e32 v43, v4, v33, vcc
	v_add_u32_e32 v4, 21, v43
	v_or_b32_e32 v32, 0x800000, v2
	v_lshlrev_b64 v[50:51], v4, -1
	v_cndmask_b32_e32 v2, v32, v2, vcc
	v_add_u32_e32 v4, 20, v43
	v_bfi_b32 v50, v50, 0, v2
	v_lshlrev_b64 v[44:45], v4, 1
	v_lshrrev_b64 v[2:3], v43, v[2:3]
	v_bfi_b32 v51, v51, 0, 0
	v_cmp_eq_u64_e64 s[20:21], v[50:51], v[44:45]
	v_mov_b32_e32 v4, v3
	v_mov_b32_e32 v3, v2
	s_and_saveexec_b64 s[92:93], s[20:21]
; %bb.2309:                             ;   in Loop: Header=BB6_129 Depth=2
	v_bfe_u32 v3, v2, 21, 1
	v_add_co_u32_e64 v3, s[20:21], v2, v3
	v_add_co_u32_e64 v3, s[20:21], -1, v3
; %bb.2310:                             ;   in Loop: Header=BB6_129 Depth=2
	s_or_b64 exec, exec, s[92:93]
	v_add_u32_e32 v4, 0xffffff81, v39
	v_mov_b32_e32 v32, 0xffffff82
	v_cndmask_b32_e32 v4, v4, v32, vcc
	v_lshrrev_b32_e32 v32, 23, v2
	v_add3_u32 v50, v43, v4, v32
	v_add_u32_e32 v39, 14, v50
	v_and_b32_e32 v3, 0x1fffff, v3
	v_add_u32_e32 v2, v3, v2
	v_mov_b32_e32 v3, v28
	v_cmp_ne_u32_e32 vcc, 0, v39
                                        ; implicit-def: $vgpr4
	s_and_saveexec_b64 s[20:21], vcc
	s_xor_b64 s[20:21], exec, s[20:21]
; %bb.2311:                             ;   in Loop: Header=BB6_129 Depth=2
	v_cmp_lt_u64_e32 vcc, s[72:73], v[2:3]
	v_add_u32_e32 v4, 15, v50
	v_cndmask_b32_e64 v32, 0, 1, vcc
	v_lshrrev_b64 v[2:3], v32, v[2:3]
	v_cndmask_b32_e32 v4, v39, v4, vcc
; %bb.2312:                             ;   in Loop: Header=BB6_129 Depth=2
	s_andn2_saveexec_b64 s[20:21], s[20:21]
; %bb.2313:                             ;   in Loop: Header=BB6_129 Depth=2
	v_bfe_u32 v4, v2, 23, 1
; %bb.2314:                             ;   in Loop: Header=BB6_129 Depth=2
	s_or_b64 exec, exec, s[20:21]
	v_lshrrev_b64 v[2:3], 21, v[2:3]
	v_cmp_gt_i32_e32 vcc, 32, v4
	v_cndmask_b32_e32 v3, 0, v3, vcc
	v_cndmask_b32_e32 v2, 3, v2, vcc
	v_cmp_eq_u64_e64 s[20:21], 0, v[2:3]
	v_min_i32_e32 v3, 31, v4
	v_lshlrev_b32_e32 v3, 2, v3
	v_cmp_eq_u32_e32 vcc, 0, v4
	v_and_b32_e32 v3, 0xfc, v3
	v_and_or_b32 v2, v2, 3, v3
	s_and_b64 s[20:21], vcc, s[20:21]
	v_cndmask_b32_e64 v2, v2, 0, s[20:21]
	v_or_b32_e32 v43, v2, v38
.LBB6_2315:                             ;   in Loop: Header=BB6_129 Depth=2
	s_or_b64 exec, exec, s[90:91]
                                        ; implicit-def: $vgpr38
.LBB6_2316:                             ;   in Loop: Header=BB6_129 Depth=2
	s_andn2_saveexec_b64 s[20:21], s[88:89]
; %bb.2317:                             ;   in Loop: Header=BB6_129 Depth=2
	v_or_b32_e32 v43, 0x7b, v38
; %bb.2318:                             ;   in Loop: Header=BB6_129 Depth=2
	s_or_b64 exec, exec, s[20:21]
                                        ; implicit-def: $vgpr4
                                        ; implicit-def: $vgpr2_vgpr3
.LBB6_2319:                             ;   in Loop: Header=BB6_129 Depth=2
	s_andn2_saveexec_b64 s[20:21], s[78:79]
	s_cbranch_execz .LBB6_2325
; %bb.2320:                             ;   in Loop: Header=BB6_129 Depth=2
	v_cmp_ne_u64_e32 vcc, 0, v[2:3]
                                        ; implicit-def: $vgpr43
	s_and_saveexec_b64 s[78:79], vcc
	s_xor_b64 s[78:79], exec, s[78:79]
; %bb.2321:                             ;   in Loop: Header=BB6_129 Depth=2
	v_or_b32_sdwa v43, v4, s65 dst_sel:DWORD dst_unused:UNUSED_PAD src0_sel:BYTE_3 src1_sel:DWORD
                                        ; implicit-def: $vgpr4
; %bb.2322:                             ;   in Loop: Header=BB6_129 Depth=2
	s_andn2_saveexec_b64 s[78:79], s[78:79]
; %bb.2323:                             ;   in Loop: Header=BB6_129 Depth=2
	v_cmp_lt_i32_e32 vcc, -1, v4
	v_bfrev_b32_e32 v2, 0.5
	v_mov_b32_e32 v3, 0x7c
	v_cndmask_b32_e32 v43, v2, v3, vcc
; %bb.2324:                             ;   in Loop: Header=BB6_129 Depth=2
	s_or_b64 exec, exec, s[78:79]
.LBB6_2325:                             ;   in Loop: Header=BB6_129 Depth=2
	s_or_b64 exec, exec, s[20:21]
	v_lshrrev_b16_e32 v2, 8, v27
	v_cmp_ne_u16_e32 vcc, 0, v2
	v_mov_b32_e32 v4, 0
	v_mov_b32_e32 v38, 0
	s_and_saveexec_b64 s[20:21], vcc
	s_cbranch_execz .LBB6_2333
; %bb.2326:                             ;   in Loop: Header=BB6_129 Depth=2
	v_cmp_ne_u16_e32 vcc, s55, v2
	v_bfrev_b32_e32 v38, 1
	s_and_saveexec_b64 s[78:79], vcc
	s_cbranch_execz .LBB6_2332
; %bb.2327:                             ;   in Loop: Header=BB6_129 Depth=2
	v_and_b32_e32 v3, 0x7c, v2
	v_and_b32_e32 v39, 3, v2
	v_cmp_ne_u32_e32 vcc, s53, v3
                                        ; implicit-def: $vgpr38
	s_and_saveexec_b64 s[88:89], vcc
	s_xor_b64 s[88:89], exec, s[88:89]
	s_cbranch_execz .LBB6_2329
; %bb.2328:                             ;   in Loop: Header=BB6_129 Depth=2
	v_ffbh_u32_e32 v33, v39
	v_min_u32_e32 v33, 32, v33
	v_mov_b32_e32 v3, v28
	v_subrev_u32_e32 v38, 29, v33
	v_bfe_u32 v32, v2, 2, 5
	v_lshlrev_b64 v[2:3], v38, v[2:3]
	v_sub_u32_e32 v3, 30, v33
	v_cmp_eq_u32_e32 vcc, 0, v32
	v_lshlrev_b32_e32 v27, 16, v27
	v_and_b32_e32 v2, 3, v2
	v_cndmask_b32_e32 v3, v32, v3, vcc
	v_and_b32_e32 v27, 0x80000000, v27
	v_cndmask_b32_e32 v2, v39, v2, vcc
	v_lshl_add_u32 v3, v3, 23, v27
	v_lshl_or_b32 v2, v2, 21, v3
	v_add_u32_e32 v38, 0x38000000, v2
                                        ; implicit-def: $vgpr39
.LBB6_2329:                             ;   in Loop: Header=BB6_129 Depth=2
	s_andn2_saveexec_b64 s[88:89], s[88:89]
; %bb.2330:                             ;   in Loop: Header=BB6_129 Depth=2
	v_cmp_lt_i16_e32 vcc, -1, v27
	v_mov_b32_e32 v2, 0xff800000
	v_mov_b32_e32 v3, 0x7f800000
	v_cndmask_b32_e32 v2, v2, v3, vcc
	v_cmp_eq_u32_e32 vcc, 0, v39
	v_mov_b32_e32 v3, 0x7f800001
	v_cndmask_b32_e32 v38, v3, v2, vcc
; %bb.2331:                             ;   in Loop: Header=BB6_129 Depth=2
	s_or_b64 exec, exec, s[88:89]
.LBB6_2332:                             ;   in Loop: Header=BB6_129 Depth=2
	s_or_b64 exec, exec, s[78:79]
.LBB6_2333:                             ;   in Loop: Header=BB6_129 Depth=2
	s_or_b64 exec, exec, s[20:21]
	v_lshrrev_b16_e32 v2, 8, v13
	v_cmp_ne_u16_e32 vcc, 0, v2
	s_and_saveexec_b64 s[20:21], vcc
	s_cbranch_execz .LBB6_2341
; %bb.2334:                             ;   in Loop: Header=BB6_129 Depth=2
	v_cmp_ne_u16_e32 vcc, s55, v2
	v_bfrev_b32_e32 v4, 1
	s_and_saveexec_b64 s[78:79], vcc
	s_cbranch_execz .LBB6_2340
; %bb.2335:                             ;   in Loop: Header=BB6_129 Depth=2
	v_and_b32_e32 v3, 0x7c, v2
	v_and_b32_e32 v27, 3, v2
	v_cmp_ne_u32_e32 vcc, s53, v3
                                        ; implicit-def: $vgpr4
	s_and_saveexec_b64 s[88:89], vcc
	s_xor_b64 s[88:89], exec, s[88:89]
	s_cbranch_execz .LBB6_2337
; %bb.2336:                             ;   in Loop: Header=BB6_129 Depth=2
	v_ffbh_u32_e32 v32, v27
	v_min_u32_e32 v32, 32, v32
	v_mov_b32_e32 v3, v28
	v_subrev_u32_e32 v33, 29, v32
	v_bfe_u32 v4, v2, 2, 5
	v_lshlrev_b64 v[2:3], v33, v[2:3]
	v_sub_u32_e32 v3, 30, v32
	v_cmp_eq_u32_e32 vcc, 0, v4
	v_cndmask_b32_e32 v3, v4, v3, vcc
	v_lshlrev_b32_e32 v4, 16, v13
	v_and_b32_e32 v2, 3, v2
	v_and_b32_e32 v4, 0x80000000, v4
	v_cndmask_b32_e32 v2, v27, v2, vcc
	v_lshl_add_u32 v3, v3, 23, v4
	v_lshl_or_b32 v2, v2, 21, v3
	v_add_u32_e32 v4, 0x38000000, v2
                                        ; implicit-def: $vgpr27
.LBB6_2337:                             ;   in Loop: Header=BB6_129 Depth=2
	s_andn2_saveexec_b64 s[88:89], s[88:89]
; %bb.2338:                             ;   in Loop: Header=BB6_129 Depth=2
	v_cmp_lt_i16_e32 vcc, -1, v13
	v_mov_b32_e32 v2, 0xff800000
	v_mov_b32_e32 v3, 0x7f800000
	v_cndmask_b32_e32 v2, v2, v3, vcc
	v_cmp_eq_u32_e32 vcc, 0, v27
	v_mov_b32_e32 v3, 0x7f800001
	v_cndmask_b32_e32 v4, v3, v2, vcc
; %bb.2339:                             ;   in Loop: Header=BB6_129 Depth=2
	s_or_b64 exec, exec, s[88:89]
.LBB6_2340:                             ;   in Loop: Header=BB6_129 Depth=2
	s_or_b64 exec, exec, s[78:79]
.LBB6_2341:                             ;   in Loop: Header=BB6_129 Depth=2
	s_or_b64 exec, exec, s[20:21]
	v_mul_f32_e32 v2, v38, v4
	v_and_b32_e32 v3, 0x7f800000, v2
	v_mov_b32_e32 v4, v28
	v_cmp_ne_u64_e32 vcc, s[60:61], v[3:4]
	v_and_b32_e32 v27, 0x7fffff, v2
                                        ; implicit-def: $vgpr44
	s_and_saveexec_b64 s[20:21], vcc
	s_xor_b64 s[78:79], exec, s[20:21]
	s_cbranch_execz .LBB6_2355
; %bb.2342:                             ;   in Loop: Header=BB6_129 Depth=2
	v_and_b32_e32 v3, 0x7fffffff, v2
	v_mov_b32_e32 v4, v28
	v_cmp_gt_u64_e32 vcc, s[62:63], v[3:4]
	v_and_b32_sdwa v38, v2, s55 dst_sel:DWORD dst_unused:UNUSED_PAD src0_sel:BYTE_3 src1_sel:DWORD
                                        ; implicit-def: $vgpr44
	s_and_saveexec_b64 s[20:21], vcc
	s_xor_b64 s[88:89], exec, s[20:21]
	s_cbranch_execz .LBB6_2352
; %bb.2343:                             ;   in Loop: Header=BB6_129 Depth=2
	v_mov_b32_e32 v44, 0
	v_cmp_ne_u32_e32 vcc, 0, v2
	s_and_saveexec_b64 s[90:91], vcc
	s_cbranch_execz .LBB6_2351
; %bb.2344:                             ;   in Loop: Header=BB6_129 Depth=2
	v_bfe_u32 v39, v2, 23, 8
	v_cmp_gt_u32_e64 s[20:21], s64, v39
	v_sub_u32_e32 v2, 0x71, v39
	v_cmp_eq_u32_e32 vcc, 0, v39
	v_cndmask_b32_e64 v2, 0, v2, s[20:21]
	v_mov_b32_e32 v4, 0x70
	v_cndmask_b32_e32 v44, v2, v4, vcc
	v_add_u32_e32 v4, 21, v44
	v_or_b32_e32 v3, 0x800000, v27
	v_lshlrev_b64 v[50:51], v4, -1
	v_cndmask_b32_e32 v2, v3, v27, vcc
	v_mov_b32_e32 v3, v28
	v_add_u32_e32 v4, 20, v44
	v_mov_b32_e32 v32, v46
	v_bfi_b32 v50, v50, 0, v2
	v_lshlrev_b64 v[45:46], v4, 1
	v_lshrrev_b64 v[2:3], v44, v[2:3]
	v_bfi_b32 v51, v51, 0, 0
	v_cmp_eq_u64_e64 s[20:21], v[50:51], v[45:46]
	v_mov_b32_e32 v4, v3
	v_mov_b32_e32 v3, v2
	s_and_saveexec_b64 s[92:93], s[20:21]
; %bb.2345:                             ;   in Loop: Header=BB6_129 Depth=2
	v_bfe_u32 v3, v2, 21, 1
	v_add_co_u32_e64 v3, s[20:21], v2, v3
	v_add_co_u32_e64 v3, s[20:21], -1, v3
; %bb.2346:                             ;   in Loop: Header=BB6_129 Depth=2
	s_or_b64 exec, exec, s[92:93]
	v_add_u32_e32 v4, 0xffffff81, v39
	v_mov_b32_e32 v27, 0xffffff82
	v_cndmask_b32_e32 v4, v4, v27, vcc
	v_lshrrev_b32_e32 v27, 23, v2
	v_add3_u32 v50, v44, v4, v27
	v_add_u32_e32 v39, 14, v50
	v_and_b32_e32 v3, 0x1fffff, v3
	v_add_u32_e32 v27, v3, v2
	v_cmp_ne_u32_e32 vcc, 0, v39
                                        ; implicit-def: $vgpr2_vgpr3
                                        ; implicit-def: $vgpr4
	s_and_saveexec_b64 s[20:21], vcc
	s_xor_b64 s[20:21], exec, s[20:21]
; %bb.2347:                             ;   in Loop: Header=BB6_129 Depth=2
	v_cmp_lt_u64_e32 vcc, s[72:73], v[27:28]
	v_add_u32_e32 v2, 15, v50
	v_cndmask_b32_e32 v4, v39, v2, vcc
	v_cndmask_b32_e64 v2, 0, 1, vcc
	v_lshrrev_b64 v[2:3], v2, v[27:28]
; %bb.2348:                             ;   in Loop: Header=BB6_129 Depth=2
	s_or_saveexec_b64 s[20:21], s[20:21]
	v_mov_b32_e32 v46, v32
	s_xor_b64 exec, exec, s[20:21]
; %bb.2349:                             ;   in Loop: Header=BB6_129 Depth=2
	v_mov_b32_e32 v2, v27
	v_mov_b32_e32 v3, v28
	v_bfe_u32 v4, v27, 23, 1
; %bb.2350:                             ;   in Loop: Header=BB6_129 Depth=2
	s_or_b64 exec, exec, s[20:21]
	v_lshrrev_b64 v[2:3], 21, v[2:3]
	v_cmp_gt_i32_e32 vcc, 32, v4
	v_cndmask_b32_e32 v3, 0, v3, vcc
	v_cndmask_b32_e32 v2, 3, v2, vcc
	v_cmp_eq_u64_e64 s[20:21], 0, v[2:3]
	v_min_i32_e32 v3, 31, v4
	v_lshlrev_b32_e32 v3, 2, v3
	v_cmp_eq_u32_e32 vcc, 0, v4
	v_and_b32_e32 v3, 0xfc, v3
	v_and_or_b32 v2, v2, 3, v3
	s_and_b64 s[20:21], vcc, s[20:21]
	v_cndmask_b32_e64 v2, v2, 0, s[20:21]
	v_or_b32_e32 v44, v2, v38
.LBB6_2351:                             ;   in Loop: Header=BB6_129 Depth=2
	s_or_b64 exec, exec, s[90:91]
                                        ; implicit-def: $vgpr38
.LBB6_2352:                             ;   in Loop: Header=BB6_129 Depth=2
	s_andn2_saveexec_b64 s[20:21], s[88:89]
; %bb.2353:                             ;   in Loop: Header=BB6_129 Depth=2
	v_or_b32_e32 v44, 0x7b, v38
; %bb.2354:                             ;   in Loop: Header=BB6_129 Depth=2
	s_or_b64 exec, exec, s[20:21]
                                        ; implicit-def: $vgpr2
.LBB6_2355:                             ;   in Loop: Header=BB6_129 Depth=2
	s_andn2_saveexec_b64 s[20:21], s[78:79]
	s_cbranch_execz .LBB6_2361
; %bb.2356:                             ;   in Loop: Header=BB6_129 Depth=2
	v_cmp_ne_u64_e32 vcc, 0, v[27:28]
                                        ; implicit-def: $vgpr44
	s_and_saveexec_b64 s[78:79], vcc
	s_xor_b64 s[78:79], exec, s[78:79]
; %bb.2357:                             ;   in Loop: Header=BB6_129 Depth=2
	v_or_b32_sdwa v44, v2, s65 dst_sel:DWORD dst_unused:UNUSED_PAD src0_sel:BYTE_3 src1_sel:DWORD
                                        ; implicit-def: $vgpr2
; %bb.2358:                             ;   in Loop: Header=BB6_129 Depth=2
	s_andn2_saveexec_b64 s[78:79], s[78:79]
; %bb.2359:                             ;   in Loop: Header=BB6_129 Depth=2
	v_cmp_lt_i32_e32 vcc, -1, v2
	v_bfrev_b32_e32 v2, 0.5
	v_mov_b32_e32 v3, 0x7c
	v_cndmask_b32_e32 v44, v2, v3, vcc
; %bb.2360:                             ;   in Loop: Header=BB6_129 Depth=2
	s_or_b64 exec, exec, s[78:79]
.LBB6_2361:                             ;   in Loop: Header=BB6_129 Depth=2
	s_or_b64 exec, exec, s[20:21]
	v_lshrrev_b32_e32 v2, 16, v17
	v_cmp_ne_u16_sdwa s[78:79], v2, v28 src0_sel:BYTE_0 src1_sel:DWORD
	v_mov_b32_e32 v3, 0
	v_mov_b32_e32 v4, 0
	s_and_saveexec_b64 s[20:21], s[78:79]
	s_cbranch_execz .LBB6_2369
; %bb.2362:                             ;   in Loop: Header=BB6_129 Depth=2
	v_cmp_ne_u16_sdwa s[88:89], v2, s55 src0_sel:BYTE_0 src1_sel:DWORD
	v_bfrev_b32_e32 v4, 1
	s_and_saveexec_b64 s[78:79], s[88:89]
	s_cbranch_execz .LBB6_2368
; %bb.2363:                             ;   in Loop: Header=BB6_129 Depth=2
	v_and_b32_e32 v4, 0x7c0000, v17
	v_bfe_u32 v27, v17, 16, 2
	v_cmp_ne_u32_e32 vcc, s66, v4
                                        ; implicit-def: $vgpr4
	s_and_saveexec_b64 s[88:89], vcc
	s_xor_b64 s[88:89], exec, s[88:89]
	s_cbranch_execz .LBB6_2365
; %bb.2364:                             ;   in Loop: Header=BB6_129 Depth=2
	v_ffbh_u32_e32 v32, v27
	v_min_u32_e32 v32, 32, v32
	v_subrev_u32_e32 v33, 29, v32
	v_lshlrev_b64 v[38:39], v33, v[2:3]
	v_bfe_u32 v4, v17, 18, 5
	v_sub_u32_e32 v2, 30, v32
	v_and_b32_e32 v32, 3, v38
	v_cmp_eq_u32_e32 vcc, 0, v4
	v_cndmask_b32_e32 v2, v4, v2, vcc
	v_cndmask_b32_e32 v4, v27, v32, vcc
	v_lshlrev_b32_e32 v27, 8, v17
	v_and_b32_e32 v27, 0x80000000, v27
	v_lshl_add_u32 v2, v2, 23, v27
	v_lshl_or_b32 v2, v4, 21, v2
	v_add_u32_e32 v4, 0x38000000, v2
                                        ; implicit-def: $vgpr27
                                        ; implicit-def: $vgpr2
.LBB6_2365:                             ;   in Loop: Header=BB6_129 Depth=2
	s_andn2_saveexec_b64 s[88:89], s[88:89]
; %bb.2366:                             ;   in Loop: Header=BB6_129 Depth=2
	v_mov_b32_e32 v4, -1
	v_cmp_gt_i16_sdwa vcc, sext(v2), v4 src0_sel:BYTE_0 src1_sel:DWORD
	v_mov_b32_e32 v2, 0xff800000
	v_mov_b32_e32 v4, 0x7f800000
	v_cndmask_b32_e32 v2, v2, v4, vcc
	v_cmp_eq_u32_e32 vcc, 0, v27
	v_mov_b32_e32 v4, 0x7f800001
	v_cndmask_b32_e32 v4, v4, v2, vcc
; %bb.2367:                             ;   in Loop: Header=BB6_129 Depth=2
	s_or_b64 exec, exec, s[88:89]
.LBB6_2368:                             ;   in Loop: Header=BB6_129 Depth=2
	s_or_b64 exec, exec, s[78:79]
.LBB6_2369:                             ;   in Loop: Header=BB6_129 Depth=2
	s_or_b64 exec, exec, s[20:21]
	v_lshrrev_b32_e32 v2, 16, v13
	v_cmp_ne_u16_sdwa s[78:79], v2, v28 src0_sel:BYTE_0 src1_sel:DWORD
	s_and_saveexec_b64 s[20:21], s[78:79]
	s_cbranch_execz .LBB6_2377
; %bb.2370:                             ;   in Loop: Header=BB6_129 Depth=2
	v_cmp_ne_u16_sdwa s[88:89], v2, s55 src0_sel:BYTE_0 src1_sel:DWORD
	v_bfrev_b32_e32 v3, 1
	s_and_saveexec_b64 s[78:79], s[88:89]
	s_cbranch_execz .LBB6_2376
; %bb.2371:                             ;   in Loop: Header=BB6_129 Depth=2
	v_and_b32_e32 v3, 0x7c0000, v13
	v_bfe_u32 v27, v13, 16, 2
	v_cmp_ne_u32_e32 vcc, s66, v3
                                        ; implicit-def: $vgpr3
	s_and_saveexec_b64 s[88:89], vcc
	s_xor_b64 s[88:89], exec, s[88:89]
	s_cbranch_execz .LBB6_2373
; %bb.2372:                             ;   in Loop: Header=BB6_129 Depth=2
	v_ffbh_u32_e32 v3, v27
	v_min_u32_e32 v33, 32, v3
	v_subrev_u32_e32 v3, 29, v33
	v_lshlrev_b64 v[2:3], v3, v[2:3]
	v_bfe_u32 v32, v13, 18, 5
	v_and_b32_e32 v2, 3, v2
	v_cmp_eq_u32_e32 vcc, 0, v32
	v_sub_u32_e32 v3, 30, v33
	v_cndmask_b32_e32 v2, v27, v2, vcc
	v_lshlrev_b32_e32 v27, 8, v13
	v_cndmask_b32_e32 v3, v32, v3, vcc
	v_and_b32_e32 v27, 0x80000000, v27
	v_lshl_add_u32 v3, v3, 23, v27
	v_lshl_or_b32 v2, v2, 21, v3
	v_add_u32_e32 v3, 0x38000000, v2
                                        ; implicit-def: $vgpr27
                                        ; implicit-def: $vgpr2
.LBB6_2373:                             ;   in Loop: Header=BB6_129 Depth=2
	s_andn2_saveexec_b64 s[88:89], s[88:89]
; %bb.2374:                             ;   in Loop: Header=BB6_129 Depth=2
	v_mov_b32_e32 v3, -1
	v_cmp_gt_i16_sdwa vcc, sext(v2), v3 src0_sel:BYTE_0 src1_sel:DWORD
	v_mov_b32_e32 v2, 0xff800000
	v_mov_b32_e32 v3, 0x7f800000
	v_cndmask_b32_e32 v2, v2, v3, vcc
	v_cmp_eq_u32_e32 vcc, 0, v27
	v_mov_b32_e32 v3, 0x7f800001
	v_cndmask_b32_e32 v3, v3, v2, vcc
; %bb.2375:                             ;   in Loop: Header=BB6_129 Depth=2
	s_or_b64 exec, exec, s[88:89]
.LBB6_2376:                             ;   in Loop: Header=BB6_129 Depth=2
	s_or_b64 exec, exec, s[78:79]
.LBB6_2377:                             ;   in Loop: Header=BB6_129 Depth=2
	s_or_b64 exec, exec, s[20:21]
	v_mul_f32_e32 v2, v4, v3
	v_and_b32_e32 v3, 0x7f800000, v2
	v_mov_b32_e32 v4, v28
	v_cmp_ne_u64_e32 vcc, s[60:61], v[3:4]
	v_and_b32_e32 v27, 0x7fffff, v2
                                        ; implicit-def: $vgpr38
	s_and_saveexec_b64 s[20:21], vcc
	s_xor_b64 s[78:79], exec, s[20:21]
	s_cbranch_execz .LBB6_2391
; %bb.2378:                             ;   in Loop: Header=BB6_129 Depth=2
	v_and_b32_e32 v3, 0x7fffffff, v2
	v_mov_b32_e32 v4, v28
	v_cmp_gt_u64_e32 vcc, s[62:63], v[3:4]
	v_and_b32_sdwa v39, v2, s55 dst_sel:DWORD dst_unused:UNUSED_PAD src0_sel:BYTE_3 src1_sel:DWORD
                                        ; implicit-def: $vgpr38
	s_and_saveexec_b64 s[20:21], vcc
	s_xor_b64 s[88:89], exec, s[20:21]
	s_cbranch_execz .LBB6_2388
; %bb.2379:                             ;   in Loop: Header=BB6_129 Depth=2
	v_mov_b32_e32 v38, 0
	v_cmp_ne_u32_e32 vcc, 0, v2
	s_and_saveexec_b64 s[90:91], vcc
	s_cbranch_execz .LBB6_2387
; %bb.2380:                             ;   in Loop: Header=BB6_129 Depth=2
	v_bfe_u32 v38, v2, 23, 8
	v_cmp_gt_u32_e64 s[20:21], s64, v38
	v_sub_u32_e32 v2, 0x71, v38
	v_cmp_eq_u32_e32 vcc, 0, v38
	v_cndmask_b32_e64 v2, 0, v2, s[20:21]
	v_mov_b32_e32 v4, 0x70
	v_cndmask_b32_e32 v50, v2, v4, vcc
	v_add_u32_e32 v4, 21, v50
	v_mov_b32_e32 v51, v46
	v_or_b32_e32 v3, 0x800000, v27
	v_lshlrev_b64 v[45:46], v4, -1
	v_cndmask_b32_e32 v2, v3, v27, vcc
	v_mov_b32_e32 v3, v28
	v_add_u32_e32 v4, 20, v50
	v_bfi_b32 v45, v45, 0, v2
	v_lshlrev_b64 v[32:33], v4, 1
	v_lshrrev_b64 v[2:3], v50, v[2:3]
	v_bfi_b32 v46, v46, 0, 0
	v_cmp_eq_u64_e64 s[20:21], v[45:46], v[32:33]
	v_mov_b32_e32 v4, v3
	v_mov_b32_e32 v3, v2
	s_and_saveexec_b64 s[92:93], s[20:21]
; %bb.2381:                             ;   in Loop: Header=BB6_129 Depth=2
	v_bfe_u32 v3, v2, 21, 1
	v_add_co_u32_e64 v3, s[20:21], v2, v3
	v_add_co_u32_e64 v3, s[20:21], -1, v3
; %bb.2382:                             ;   in Loop: Header=BB6_129 Depth=2
	s_or_b64 exec, exec, s[92:93]
	v_add_u32_e32 v4, 0xffffff81, v38
	v_mov_b32_e32 v27, 0xffffff82
	v_cndmask_b32_e32 v4, v4, v27, vcc
	v_lshrrev_b32_e32 v27, 23, v2
	v_add3_u32 v50, v50, v4, v27
	v_add_u32_e32 v38, 14, v50
	v_and_b32_e32 v3, 0x1fffff, v3
	v_add_u32_e32 v27, v3, v2
	v_cmp_ne_u32_e32 vcc, 0, v38
                                        ; implicit-def: $vgpr2_vgpr3
                                        ; implicit-def: $vgpr4
	s_and_saveexec_b64 s[20:21], vcc
	s_xor_b64 s[20:21], exec, s[20:21]
; %bb.2383:                             ;   in Loop: Header=BB6_129 Depth=2
	v_cmp_lt_u64_e32 vcc, s[72:73], v[27:28]
	v_add_u32_e32 v2, 15, v50
	v_cndmask_b32_e32 v4, v38, v2, vcc
	v_cndmask_b32_e64 v2, 0, 1, vcc
	v_lshrrev_b64 v[2:3], v2, v[27:28]
; %bb.2384:                             ;   in Loop: Header=BB6_129 Depth=2
	s_or_saveexec_b64 s[20:21], s[20:21]
	v_mov_b32_e32 v46, v51
	s_xor_b64 exec, exec, s[20:21]
; %bb.2385:                             ;   in Loop: Header=BB6_129 Depth=2
	v_mov_b32_e32 v2, v27
	v_mov_b32_e32 v3, v28
	v_bfe_u32 v4, v27, 23, 1
; %bb.2386:                             ;   in Loop: Header=BB6_129 Depth=2
	s_or_b64 exec, exec, s[20:21]
	v_lshrrev_b64 v[2:3], 21, v[2:3]
	v_cmp_gt_i32_e32 vcc, 32, v4
	v_cndmask_b32_e32 v3, 0, v3, vcc
	v_cndmask_b32_e32 v2, 3, v2, vcc
	v_cmp_eq_u64_e64 s[20:21], 0, v[2:3]
	v_min_i32_e32 v3, 31, v4
	v_lshlrev_b32_e32 v3, 2, v3
	v_cmp_eq_u32_e32 vcc, 0, v4
	v_and_b32_e32 v3, 0xfc, v3
	v_and_or_b32 v2, v2, 3, v3
	s_and_b64 s[20:21], vcc, s[20:21]
	v_cndmask_b32_e64 v2, v2, 0, s[20:21]
	v_or_b32_e32 v38, v2, v39
.LBB6_2387:                             ;   in Loop: Header=BB6_129 Depth=2
	s_or_b64 exec, exec, s[90:91]
                                        ; implicit-def: $vgpr39
.LBB6_2388:                             ;   in Loop: Header=BB6_129 Depth=2
	s_andn2_saveexec_b64 s[20:21], s[88:89]
; %bb.2389:                             ;   in Loop: Header=BB6_129 Depth=2
	v_or_b32_e32 v38, 0x7b, v39
; %bb.2390:                             ;   in Loop: Header=BB6_129 Depth=2
	s_or_b64 exec, exec, s[20:21]
                                        ; implicit-def: $vgpr2
.LBB6_2391:                             ;   in Loop: Header=BB6_129 Depth=2
	s_andn2_saveexec_b64 s[20:21], s[78:79]
	s_cbranch_execz .LBB6_2397
; %bb.2392:                             ;   in Loop: Header=BB6_129 Depth=2
	v_cmp_ne_u64_e32 vcc, 0, v[27:28]
                                        ; implicit-def: $vgpr38
	s_and_saveexec_b64 s[78:79], vcc
	s_xor_b64 s[78:79], exec, s[78:79]
; %bb.2393:                             ;   in Loop: Header=BB6_129 Depth=2
	v_or_b32_sdwa v38, v2, s65 dst_sel:DWORD dst_unused:UNUSED_PAD src0_sel:BYTE_3 src1_sel:DWORD
                                        ; implicit-def: $vgpr2
; %bb.2394:                             ;   in Loop: Header=BB6_129 Depth=2
	s_andn2_saveexec_b64 s[78:79], s[78:79]
; %bb.2395:                             ;   in Loop: Header=BB6_129 Depth=2
	v_cmp_lt_i32_e32 vcc, -1, v2
	v_bfrev_b32_e32 v2, 0.5
	v_mov_b32_e32 v3, 0x7c
	v_cndmask_b32_e32 v38, v2, v3, vcc
; %bb.2396:                             ;   in Loop: Header=BB6_129 Depth=2
	s_or_b64 exec, exec, s[78:79]
.LBB6_2397:                             ;   in Loop: Header=BB6_129 Depth=2
	s_or_b64 exec, exec, s[20:21]
	v_cmp_lt_u64_e32 vcc, s[58:59], v[16:17]
	v_mov_b32_e32 v3, 0
	v_mov_b32_e32 v4, 0
	s_and_saveexec_b64 s[20:21], vcc
	s_cbranch_execz .LBB6_2405
; %bb.2398:                             ;   in Loop: Header=BB6_129 Depth=2
	v_lshrrev_b32_e32 v2, 24, v17
	v_cmp_ne_u32_e32 vcc, s55, v2
	v_bfrev_b32_e32 v4, 1
	s_and_saveexec_b64 s[78:79], vcc
	s_cbranch_execz .LBB6_2404
; %bb.2399:                             ;   in Loop: Header=BB6_129 Depth=2
	v_and_b32_e32 v4, 0x7c000000, v17
	v_bfe_u32 v27, v17, 24, 2
	v_cmp_ne_u32_e32 vcc, s67, v4
                                        ; implicit-def: $vgpr4
	s_and_saveexec_b64 s[88:89], vcc
	s_xor_b64 s[88:89], exec, s[88:89]
	s_cbranch_execz .LBB6_2401
; %bb.2400:                             ;   in Loop: Header=BB6_129 Depth=2
	v_ffbh_u32_e32 v16, v27
	v_min_u32_e32 v16, 32, v16
	v_subrev_u32_e32 v32, 29, v16
	v_lshlrev_b64 v[32:33], v32, v[2:3]
	v_bfe_u32 v4, v17, 26, 5
	v_sub_u32_e32 v2, 30, v16
	v_and_b32_e32 v16, 3, v32
	v_cmp_eq_u32_e32 vcc, 0, v4
	v_cndmask_b32_e32 v2, v4, v2, vcc
	v_cndmask_b32_e32 v4, v27, v16, vcc
	v_and_b32_e32 v16, 0x80000000, v17
	v_lshl_add_u32 v2, v2, 23, v16
	v_lshl_or_b32 v2, v4, 21, v2
	v_add_u32_e32 v4, 0x38000000, v2
                                        ; implicit-def: $vgpr27
                                        ; implicit-def: $vgpr16_vgpr17
.LBB6_2401:                             ;   in Loop: Header=BB6_129 Depth=2
	s_andn2_saveexec_b64 s[88:89], s[88:89]
; %bb.2402:                             ;   in Loop: Header=BB6_129 Depth=2
	v_cmp_lt_i64_e32 vcc, -1, v[16:17]
	v_mov_b32_e32 v2, 0xff800000
	v_mov_b32_e32 v4, 0x7f800000
	v_cndmask_b32_e32 v2, v2, v4, vcc
	v_cmp_eq_u32_e32 vcc, 0, v27
	v_mov_b32_e32 v4, 0x7f800001
	v_cndmask_b32_e32 v4, v4, v2, vcc
; %bb.2403:                             ;   in Loop: Header=BB6_129 Depth=2
	s_or_b64 exec, exec, s[88:89]
.LBB6_2404:                             ;   in Loop: Header=BB6_129 Depth=2
	s_or_b64 exec, exec, s[78:79]
.LBB6_2405:                             ;   in Loop: Header=BB6_129 Depth=2
	s_or_b64 exec, exec, s[20:21]
	v_cmp_lt_u64_e32 vcc, s[58:59], v[12:13]
	s_and_saveexec_b64 s[20:21], vcc
	s_cbranch_execz .LBB6_2413
; %bb.2406:                             ;   in Loop: Header=BB6_129 Depth=2
	v_lshrrev_b32_e32 v2, 24, v13
	v_cmp_ne_u32_e32 vcc, s55, v2
	v_bfrev_b32_e32 v3, 1
	s_and_saveexec_b64 s[78:79], vcc
	s_cbranch_execz .LBB6_2412
; %bb.2407:                             ;   in Loop: Header=BB6_129 Depth=2
	v_and_b32_e32 v3, 0x7c000000, v13
	v_bfe_u32 v16, v13, 24, 2
	v_cmp_ne_u32_e32 vcc, s67, v3
                                        ; implicit-def: $vgpr3
	s_and_saveexec_b64 s[88:89], vcc
	s_xor_b64 s[88:89], exec, s[88:89]
	s_cbranch_execz .LBB6_2409
; %bb.2408:                             ;   in Loop: Header=BB6_129 Depth=2
	v_ffbh_u32_e32 v3, v16
	v_min_u32_e32 v17, 32, v3
	v_subrev_u32_e32 v3, 29, v17
	v_bfe_u32 v12, v13, 26, 5
	v_lshlrev_b64 v[2:3], v3, v[2:3]
	v_sub_u32_e32 v3, 30, v17
	v_cmp_eq_u32_e32 vcc, 0, v12
	v_and_b32_e32 v2, 3, v2
	v_cndmask_b32_e32 v3, v12, v3, vcc
	v_and_b32_e32 v12, 0x80000000, v13
	v_cndmask_b32_e32 v2, v16, v2, vcc
	v_lshl_add_u32 v3, v3, 23, v12
	v_lshl_or_b32 v2, v2, 21, v3
	v_add_u32_e32 v3, 0x38000000, v2
                                        ; implicit-def: $vgpr16
                                        ; implicit-def: $vgpr12_vgpr13
.LBB6_2409:                             ;   in Loop: Header=BB6_129 Depth=2
	s_andn2_saveexec_b64 s[88:89], s[88:89]
; %bb.2410:                             ;   in Loop: Header=BB6_129 Depth=2
	v_cmp_lt_i64_e32 vcc, -1, v[12:13]
	v_mov_b32_e32 v2, 0xff800000
	v_mov_b32_e32 v3, 0x7f800000
	v_cndmask_b32_e32 v2, v2, v3, vcc
	v_cmp_eq_u32_e32 vcc, 0, v16
	v_mov_b32_e32 v3, 0x7f800001
	v_cndmask_b32_e32 v3, v3, v2, vcc
; %bb.2411:                             ;   in Loop: Header=BB6_129 Depth=2
	s_or_b64 exec, exec, s[88:89]
.LBB6_2412:                             ;   in Loop: Header=BB6_129 Depth=2
	s_or_b64 exec, exec, s[78:79]
.LBB6_2413:                             ;   in Loop: Header=BB6_129 Depth=2
	s_or_b64 exec, exec, s[20:21]
	v_mul_f32_e32 v3, v4, v3
	v_and_b32_e32 v12, 0x7f800000, v3
	v_mov_b32_e32 v13, v28
	v_cmp_ne_u64_e32 vcc, s[60:61], v[12:13]
	v_and_b32_e32 v27, 0x7fffff, v3
                                        ; implicit-def: $vgpr2
	s_and_saveexec_b64 s[20:21], vcc
	s_xor_b64 s[78:79], exec, s[20:21]
	s_cbranch_execz .LBB6_2427
; %bb.2414:                             ;   in Loop: Header=BB6_129 Depth=2
	v_and_b32_e32 v12, 0x7fffffff, v3
	v_mov_b32_e32 v13, v28
	v_cmp_gt_u64_e32 vcc, s[62:63], v[12:13]
	v_and_b32_sdwa v12, v3, s55 dst_sel:DWORD dst_unused:UNUSED_PAD src0_sel:BYTE_3 src1_sel:DWORD
                                        ; implicit-def: $vgpr2
	s_and_saveexec_b64 s[20:21], vcc
	s_xor_b64 s[88:89], exec, s[20:21]
	s_cbranch_execz .LBB6_2424
; %bb.2415:                             ;   in Loop: Header=BB6_129 Depth=2
	v_mov_b32_e32 v2, 0
	v_cmp_ne_u32_e32 vcc, 0, v3
	s_and_saveexec_b64 s[90:91], vcc
	s_cbranch_execz .LBB6_2423
; %bb.2416:                             ;   in Loop: Header=BB6_129 Depth=2
	v_bfe_u32 v13, v3, 23, 8
	v_cmp_gt_u32_e64 s[20:21], s64, v13
	v_sub_u32_e32 v2, 0x71, v13
	v_cmp_eq_u32_e32 vcc, 0, v13
	v_cndmask_b32_e64 v2, 0, v2, s[20:21]
	v_mov_b32_e32 v4, 0x70
	v_cndmask_b32_e32 v16, v2, v4, vcc
	v_add_u32_e32 v4, 21, v16
	v_or_b32_e32 v3, 0x800000, v27
	v_lshlrev_b64 v[32:33], v4, -1
	v_cndmask_b32_e32 v2, v3, v27, vcc
	v_mov_b32_e32 v3, v28
	v_add_u32_e32 v4, 20, v16
	v_bfi_b32 v32, v32, 0, v2
	v_lshlrev_b64 v[50:51], v4, 1
	v_lshrrev_b64 v[2:3], v16, v[2:3]
	v_bfi_b32 v33, v33, 0, 0
	v_cmp_eq_u64_e64 s[20:21], v[32:33], v[50:51]
	v_mov_b32_e32 v4, v3
	v_mov_b32_e32 v3, v2
	s_and_saveexec_b64 s[92:93], s[20:21]
; %bb.2417:                             ;   in Loop: Header=BB6_129 Depth=2
	v_bfe_u32 v3, v2, 21, 1
	v_add_co_u32_e64 v3, s[20:21], v2, v3
	v_add_co_u32_e64 v3, s[20:21], -1, v3
; %bb.2418:                             ;   in Loop: Header=BB6_129 Depth=2
	s_or_b64 exec, exec, s[92:93]
	v_add_u32_e32 v4, 0xffffff81, v13
	v_mov_b32_e32 v13, 0xffffff82
	v_cndmask_b32_e32 v4, v4, v13, vcc
	v_lshrrev_b32_e32 v13, 23, v2
	v_add3_u32 v16, v16, v4, v13
	v_add_u32_e32 v13, 14, v16
	v_and_b32_e32 v3, 0x1fffff, v3
	v_add_u32_e32 v27, v3, v2
	v_cmp_ne_u32_e32 vcc, 0, v13
                                        ; implicit-def: $vgpr2_vgpr3
                                        ; implicit-def: $vgpr4
	s_and_saveexec_b64 s[20:21], vcc
	s_xor_b64 s[20:21], exec, s[20:21]
; %bb.2419:                             ;   in Loop: Header=BB6_129 Depth=2
	v_cmp_lt_u64_e32 vcc, s[72:73], v[27:28]
	v_add_u32_e32 v2, 15, v16
	v_cndmask_b32_e32 v4, v13, v2, vcc
	v_cndmask_b32_e64 v2, 0, 1, vcc
	v_lshrrev_b64 v[2:3], v2, v[27:28]
; %bb.2420:                             ;   in Loop: Header=BB6_129 Depth=2
	s_andn2_saveexec_b64 s[20:21], s[20:21]
; %bb.2421:                             ;   in Loop: Header=BB6_129 Depth=2
	v_mov_b32_e32 v2, v27
	v_mov_b32_e32 v3, v28
	v_bfe_u32 v4, v27, 23, 1
; %bb.2422:                             ;   in Loop: Header=BB6_129 Depth=2
	s_or_b64 exec, exec, s[20:21]
	v_lshrrev_b64 v[2:3], 21, v[2:3]
	v_cmp_gt_i32_e32 vcc, 32, v4
	v_cndmask_b32_e32 v3, 0, v3, vcc
	v_cndmask_b32_e32 v2, 3, v2, vcc
	v_cmp_eq_u64_e64 s[20:21], 0, v[2:3]
	v_min_i32_e32 v3, 31, v4
	v_lshlrev_b32_e32 v3, 2, v3
	v_cmp_eq_u32_e32 vcc, 0, v4
	v_and_b32_e32 v3, 0xfc, v3
	v_and_or_b32 v2, v2, 3, v3
	s_and_b64 s[20:21], vcc, s[20:21]
	v_cndmask_b32_e64 v2, v2, 0, s[20:21]
	v_or_b32_e32 v2, v2, v12
.LBB6_2423:                             ;   in Loop: Header=BB6_129 Depth=2
	s_or_b64 exec, exec, s[90:91]
                                        ; implicit-def: $vgpr12
.LBB6_2424:                             ;   in Loop: Header=BB6_129 Depth=2
	s_andn2_saveexec_b64 s[20:21], s[88:89]
; %bb.2425:                             ;   in Loop: Header=BB6_129 Depth=2
	v_or_b32_e32 v2, 0x7b, v12
; %bb.2426:                             ;   in Loop: Header=BB6_129 Depth=2
	s_or_b64 exec, exec, s[20:21]
                                        ; implicit-def: $vgpr3
.LBB6_2427:                             ;   in Loop: Header=BB6_129 Depth=2
	s_andn2_saveexec_b64 s[20:21], s[78:79]
	s_cbranch_execz .LBB6_128
; %bb.2428:                             ;   in Loop: Header=BB6_129 Depth=2
	v_cmp_ne_u64_e32 vcc, 0, v[27:28]
                                        ; implicit-def: $vgpr2
	s_and_saveexec_b64 s[78:79], vcc
	s_xor_b64 s[78:79], exec, s[78:79]
; %bb.2429:                             ;   in Loop: Header=BB6_129 Depth=2
	v_or_b32_sdwa v2, v3, s65 dst_sel:DWORD dst_unused:UNUSED_PAD src0_sel:BYTE_3 src1_sel:DWORD
                                        ; implicit-def: $vgpr3
; %bb.2430:                             ;   in Loop: Header=BB6_129 Depth=2
	s_andn2_saveexec_b64 s[78:79], s[78:79]
	s_cbranch_execz .LBB6_127
; %bb.2431:                             ;   in Loop: Header=BB6_129 Depth=2
	v_cmp_lt_i32_e32 vcc, -1, v3
	v_bfrev_b32_e32 v2, 0.5
	v_mov_b32_e32 v3, 0x7c
	v_cndmask_b32_e32 v2, v2, v3, vcc
	s_branch .LBB6_127
.LBB6_2432:                             ;   in Loop: Header=BB6_49 Depth=1
	s_or_b64 exec, exec, s[24:25]
	buffer_load_dword v48, off, s[0:3], s33 offset:344 ; 4-byte Folded Reload
	buffer_load_dword v49, off, s[0:3], s33 offset:376 ; 4-byte Folded Reload
	;; [unrolled: 1-line block ×20, first 2 shown]
.LBB6_2433:                             ;   in Loop: Header=BB6_49 Depth=1
	s_or_b64 exec, exec, s[22:23]
	buffer_load_dword v0, off, s[0:3], s33 offset:336 ; 4-byte Folded Reload
	s_mov_b64 s[20:21], 0
	v_mov_b32_e32 v3, 0
                                        ; implicit-def: $vgpr4
                                        ; implicit-def: $vgpr2
	s_waitcnt vmcnt(0)
	v_and_b32_e32 v1, 0x3ffff000, v0
	v_cmp_ne_u32_e32 vcc, v0, v1
                                        ; implicit-def: $vgpr0
	s_and_saveexec_b64 s[78:79], vcc
	s_cbranch_execz .LBB6_2985
; %bb.2434:                             ;   in Loop: Header=BB6_49 Depth=1
	buffer_load_dword v5, off, s[0:3], s33 offset:336 ; 4-byte Folded Reload
	buffer_load_dword v3, off, s[0:3], s33 offset:440 ; 4-byte Folded Reload
	v_lshlrev_b32_e32 v0, 6, v9
	s_waitcnt vmcnt(1)
	v_and_b32_e32 v2, 0xfff, v5
	s_waitcnt vmcnt(0)
	v_sub_u32_e32 v0, v3, v0
	v_ashrrev_i32_e32 v3, 31, v0
	v_lshrrev_b32_e32 v3, 26, v3
	v_add_u32_e32 v3, v0, v3
	v_ashrrev_i32_e32 v4, 6, v3
	v_and_b32_e32 v3, 0xffffffc0, v3
	v_sub_u32_e32 v6, v0, v3
	v_lshlrev_b32_e32 v0, 4, v6
	v_lshl_add_u32 v0, v4, 10, v0
	v_and_b32_e32 v8, 0x3ff, v5
	v_sub_u32_e32 v9, v2, v0
	v_bfe_u32 v2, v5, 10, 2
	v_cmp_lt_u32_e32 vcc, 15, v8
	v_addc_co_u32_e64 v2, s[20:21], 0, v2, vcc
	v_sub_u32_e32 v7, v2, v4
	v_cmp_lt_i32_e64 s[20:21], 15, v9
	s_and_saveexec_b64 s[88:89], s[20:21]
	s_cbranch_execz .LBB6_2982
; %bb.2435:                             ;   in Loop: Header=BB6_49 Depth=1
	v_add_u32_e32 v4, v0, v1
	s_trap 2
	ds_read_b64 v[2:3], v0
	buffer_load_dword v0, off, s[0:3], s33 offset:388 ; 4-byte Folded Reload
	buffer_load_dword v1, off, s[0:3], s33 offset:392 ; 4-byte Folded Reload
	v_ashrrev_i32_e32 v5, 31, v4
	s_mov_b64 s[90:91], 0
	s_waitcnt vmcnt(1)
	v_add_co_u32_e64 v0, s[20:21], v4, v0
	s_waitcnt vmcnt(0)
	v_addc_co_u32_e64 v1, s[20:21], v5, v1, s[20:21]
	s_waitcnt lgkmcnt(0)
	v_add_co_u32_e64 v18, s[20:21], v2, v4
	v_addc_co_u32_e64 v19, s[20:21], v3, v5, s[20:21]
	buffer_load_dword v2, off, s[0:3], s33 offset:380 ; 4-byte Folded Reload
	buffer_load_dword v3, off, s[0:3], s33 offset:384 ; 4-byte Folded Reload
	s_waitcnt vmcnt(1)
	v_add_co_u32_e64 v20, s[20:21], v4, v2
	s_waitcnt vmcnt(0)
	v_addc_co_u32_e64 v21, s[20:21], v5, v3, s[20:21]
	s_branch .LBB6_2438
.LBB6_2436:                             ;   in Loop: Header=BB6_2438 Depth=2
	s_or_b64 exec, exec, s[24:25]
.LBB6_2437:                             ;   in Loop: Header=BB6_2438 Depth=2
	s_or_b64 exec, exec, s[22:23]
	v_lshl_or_b32 v3, v29, 8, v26
	v_lshlrev_b32_e32 v4, 16, v30
	v_lshlrev_b32_e32 v10, 24, v10
	v_or3_b32 v13, v3, v4, v10
	v_lshl_or_b32 v3, v23, 8, v22
	v_lshlrev_b32_e32 v4, 16, v24
	v_lshlrev_b32_e32 v10, 24, v25
	v_or3_b32 v12, v3, v4, v10
	;; [unrolled: 4-line block ×3, first 2 shown]
	v_lshlrev_b32_e32 v2, 24, v2
	v_lshlrev_b32_e32 v3, 16, v33
	v_lshl_or_b32 v4, v32, 8, v5
	v_or3_b32 v15, v4, v3, v2
	buffer_load_dword v2, off, s[0:3], s33 offset:236 ; 4-byte Folded Reload
	v_add_co_u32_e64 v0, s[20:21], v0, v44
	v_addc_co_u32_e64 v1, s[20:21], 0, v1, s[20:21]
	v_add_co_u32_e64 v18, s[20:21], v18, v44
	v_addc_co_u32_e64 v19, s[20:21], 0, v19, s[20:21]
	global_store_dwordx4 v[20:21], v[12:15], off glc slc
	v_add_co_u32_e64 v20, s[20:21], v20, v44
	v_addc_co_u32_e64 v21, s[20:21], 0, v21, s[20:21]
	v_sub_u32_e32 v9, v9, v44
	v_cmp_gt_i32_e64 s[20:21], 16, v9
	s_or_b64 s[90:91], s[20:21], s[90:91]
	s_waitcnt vmcnt(1)
	v_sub_u32_e32 v7, v7, v2
	s_andn2_b64 exec, exec, s[90:91]
	s_cbranch_execz .LBB6_2981
.LBB6_2438:                             ;   Parent Loop BB6_49 Depth=1
                                        ; =>  This Inner Loop Header: Depth=2
	global_load_dwordx4 v[14:17], v[0:1], off glc slc
	global_load_dwordx4 v[10:13], v[18:19], off glc slc
	v_mov_b32_e32 v2, 0
	s_waitcnt vmcnt(1)
	v_cmp_ne_u16_sdwa s[20:21], v14, v28 src0_sel:BYTE_0 src1_sel:DWORD
	s_and_saveexec_b64 s[22:23], s[20:21]
	s_cbranch_execz .LBB6_2446
; %bb.2439:                             ;   in Loop: Header=BB6_2438 Depth=2
	v_cmp_ne_u16_sdwa s[20:21], sext(v14), s52 src0_sel:BYTE_0 src1_sel:DWORD
	v_bfrev_b32_e32 v2, 1
	s_and_saveexec_b64 s[24:25], s[20:21]
	s_cbranch_execz .LBB6_2445
; %bb.2440:                             ;   in Loop: Header=BB6_2438 Depth=2
	v_and_b32_e32 v2, 0x7c, v14
	v_and_b32_e32 v3, 3, v14
	v_cmp_ne_u32_e64 s[20:21], s53, v2
                                        ; implicit-def: $vgpr2
	s_and_saveexec_b64 s[92:93], s[20:21]
	s_xor_b64 s[92:93], exec, s[92:93]
	s_cbranch_execz .LBB6_2442
; %bb.2441:                             ;   in Loop: Header=BB6_2438 Depth=2
	v_ffbh_u32_e32 v4, v3
	v_min_u32_e32 v22, 32, v4
	v_subrev_u32_e32 v4, 29, v22
	v_lshlrev_b64 v[4:5], v4, v[14:15]
	v_bfe_u32 v2, v14, 2, 5
	v_and_b32_e32 v4, 3, v4
	v_cmp_eq_u32_e64 s[20:21], 0, v2
	v_sub_u32_e32 v5, 30, v22
	v_cndmask_b32_e64 v3, v3, v4, s[20:21]
	v_lshlrev_b32_e32 v4, 24, v14
	v_cndmask_b32_e64 v2, v2, v5, s[20:21]
	v_and_b32_e32 v4, 0x80000000, v4
	v_lshl_add_u32 v2, v2, 23, v4
	v_lshl_or_b32 v2, v3, 21, v2
	v_add_u32_e32 v2, 0x38000000, v2
                                        ; implicit-def: $vgpr3
.LBB6_2442:                             ;   in Loop: Header=BB6_2438 Depth=2
	s_andn2_saveexec_b64 s[92:93], s[92:93]
; %bb.2443:                             ;   in Loop: Header=BB6_2438 Depth=2
	v_mov_b32_e32 v2, -1
	v_cmp_gt_i16_sdwa s[20:21], sext(v14), v2 src0_sel:BYTE_0 src1_sel:DWORD
	v_mov_b32_e32 v2, 0xff800000
	v_mov_b32_e32 v4, 0x7f800000
	v_cndmask_b32_e64 v2, v2, v4, s[20:21]
	v_cmp_eq_u32_e64 s[20:21], 0, v3
	v_mov_b32_e32 v3, 0x7f800001
	v_cndmask_b32_e64 v2, v3, v2, s[20:21]
; %bb.2444:                             ;   in Loop: Header=BB6_2438 Depth=2
	s_or_b64 exec, exec, s[92:93]
.LBB6_2445:                             ;   in Loop: Header=BB6_2438 Depth=2
	s_or_b64 exec, exec, s[24:25]
.LBB6_2446:                             ;   in Loop: Header=BB6_2438 Depth=2
	s_or_b64 exec, exec, s[22:23]
	s_waitcnt vmcnt(0)
	v_cmp_gt_i16_sdwa s[22:23], v10, s65 src0_sel:BYTE_0 src1_sel:DWORD
	s_mov_b64 s[20:21], 0
	s_and_saveexec_b64 s[24:25], s[22:23]
	s_xor_b64 s[22:23], exec, s[24:25]
	s_cbranch_execz .LBB6_2961
; %bb.2447:                             ;   in Loop: Header=BB6_2438 Depth=2
	v_cmp_eq_u16_sdwa s[92:93], v10, s55 src0_sel:BYTE_0 src1_sel:DWORD
	s_mov_b64 s[20:21], -1
	s_and_saveexec_b64 s[24:25], s[92:93]
; %bb.2448:                             ;   in Loop: Header=BB6_2438 Depth=2
	s_xor_b64 s[20:21], exec, -1
; %bb.2449:                             ;   in Loop: Header=BB6_2438 Depth=2
	s_or_b64 exec, exec, s[24:25]
	s_and_b64 s[20:21], s[20:21], exec
	s_or_saveexec_b64 s[22:23], s[22:23]
	v_bfrev_b32_e32 v3, 1
	s_xor_b64 exec, exec, s[22:23]
	s_cbranch_execnz .LBB6_2962
.LBB6_2450:                             ;   in Loop: Header=BB6_2438 Depth=2
	s_or_b64 exec, exec, s[22:23]
	s_and_saveexec_b64 s[92:93], s[20:21]
	s_cbranch_execz .LBB6_2452
.LBB6_2451:                             ;   in Loop: Header=BB6_2438 Depth=2
	v_and_b32_e32 v5, 3, v10
	v_and_b32_e32 v3, 0x7c, v10
	v_cmp_eq_u32_e64 s[20:21], s53, v3
	v_ffbh_u32_e32 v3, v5
	v_min_u32_e32 v23, 32, v3
	v_subrev_u32_e32 v3, 29, v23
	v_bfe_u32 v22, v10, 2, 5
	v_lshlrev_b64 v[3:4], v3, v[10:11]
	v_cmp_eq_u32_e64 s[22:23], 0, v22
	v_sub_u32_e32 v4, 30, v23
	v_cndmask_b32_e64 v4, v22, v4, s[22:23]
	v_lshlrev_b32_e32 v22, 24, v10
	v_and_b32_e32 v3, 3, v3
	v_and_b32_e32 v22, 0x80000000, v22
	v_cndmask_b32_e64 v3, v5, v3, s[22:23]
	v_lshl_add_u32 v4, v4, 23, v22
	v_lshl_or_b32 v3, v3, 21, v4
	v_mov_b32_e32 v4, -1
	v_cmp_eq_u32_e64 s[22:23], 0, v5
	v_cmp_gt_i16_sdwa s[24:25], sext(v10), v4 src0_sel:BYTE_0 src1_sel:DWORD
	v_mov_b32_e32 v4, 0xff800000
	v_mov_b32_e32 v5, 0x7f800000
	v_cndmask_b32_e64 v4, v4, v5, s[24:25]
	v_mov_b32_e32 v5, 0x7f800001
	v_add_u32_e32 v3, 0x38000000, v3
	v_cndmask_b32_e64 v4, v5, v4, s[22:23]
	v_cndmask_b32_e64 v3, v3, v4, s[20:21]
.LBB6_2452:                             ;   in Loop: Header=BB6_2438 Depth=2
	s_or_b64 exec, exec, s[92:93]
	v_mul_f32_e32 v2, v2, v3
	v_and_b32_e32 v3, 0x7f800000, v2
	v_mov_b32_e32 v4, v28
	v_cmp_ne_u64_e64 s[20:21], s[60:61], v[3:4]
	v_and_b32_e32 v27, 0x7fffff, v2
                                        ; implicit-def: $vgpr22
	s_and_saveexec_b64 s[22:23], s[20:21]
	s_xor_b64 s[24:25], exec, s[22:23]
	s_cbranch_execz .LBB6_2466
; %bb.2453:                             ;   in Loop: Header=BB6_2438 Depth=2
	v_and_b32_e32 v3, 0x7fffffff, v2
	v_mov_b32_e32 v4, v28
	v_cmp_gt_u64_e64 s[20:21], s[62:63], v[3:4]
	v_and_b32_sdwa v5, v2, s55 dst_sel:DWORD dst_unused:UNUSED_PAD src0_sel:BYTE_3 src1_sel:DWORD
                                        ; implicit-def: $vgpr22
	s_and_saveexec_b64 s[22:23], s[20:21]
	s_xor_b64 s[92:93], exec, s[22:23]
	s_cbranch_execz .LBB6_2463
; %bb.2454:                             ;   in Loop: Header=BB6_2438 Depth=2
	v_mov_b32_e32 v22, 0
	v_cmp_ne_u32_e64 s[20:21], 0, v2
	s_and_saveexec_b64 s[94:95], s[20:21]
	s_cbranch_execz .LBB6_2462
; %bb.2455:                             ;   in Loop: Header=BB6_2438 Depth=2
	v_bfe_u32 v22, v2, 23, 8
	v_cmp_gt_u32_e64 s[22:23], s64, v22
	v_sub_u32_e32 v2, 0x71, v22
	v_cmp_eq_u32_e64 s[20:21], 0, v22
	v_cndmask_b32_e64 v2, 0, v2, s[22:23]
	v_mov_b32_e32 v4, 0x70
	v_cndmask_b32_e64 v23, v2, v4, s[20:21]
	v_add_u32_e32 v4, 21, v23
	v_or_b32_e32 v3, 0x800000, v27
	v_lshlrev_b64 v[24:25], v4, -1
	v_cndmask_b32_e64 v2, v3, v27, s[20:21]
	v_mov_b32_e32 v3, v28
	v_add_u32_e32 v4, 20, v23
	v_bfi_b32 v24, v24, 0, v2
	v_lshlrev_b64 v[26:27], v4, 1
	v_lshrrev_b64 v[2:3], v23, v[2:3]
	v_bfi_b32 v25, v25, 0, 0
	v_cmp_eq_u64_e64 s[22:23], v[24:25], v[26:27]
	v_mov_b32_e32 v4, v3
	v_mov_b32_e32 v3, v2
	s_and_saveexec_b64 s[30:31], s[22:23]
; %bb.2456:                             ;   in Loop: Header=BB6_2438 Depth=2
	v_bfe_u32 v3, v2, 21, 1
	v_add_co_u32_e64 v3, s[22:23], v2, v3
	v_add_co_u32_e64 v3, s[22:23], -1, v3
; %bb.2457:                             ;   in Loop: Header=BB6_2438 Depth=2
	s_or_b64 exec, exec, s[30:31]
	v_add_u32_e32 v4, 0xffffff81, v22
	v_mov_b32_e32 v22, 0xffffff82
	v_cndmask_b32_e64 v4, v4, v22, s[20:21]
	v_lshrrev_b32_e32 v22, 23, v2
	v_add3_u32 v23, v23, v4, v22
	v_add_u32_e32 v22, 14, v23
	v_and_b32_e32 v3, 0x1fffff, v3
	v_add_u32_e32 v27, v3, v2
	v_cmp_ne_u32_e64 s[20:21], 0, v22
                                        ; implicit-def: $vgpr2_vgpr3
                                        ; implicit-def: $vgpr4
	s_and_saveexec_b64 s[22:23], s[20:21]
	s_xor_b64 s[22:23], exec, s[22:23]
; %bb.2458:                             ;   in Loop: Header=BB6_2438 Depth=2
	v_cmp_lt_u64_e64 s[20:21], s[72:73], v[27:28]
	v_add_u32_e32 v2, 15, v23
	v_cndmask_b32_e64 v4, v22, v2, s[20:21]
	v_cndmask_b32_e64 v2, 0, 1, s[20:21]
	v_lshrrev_b64 v[2:3], v2, v[27:28]
; %bb.2459:                             ;   in Loop: Header=BB6_2438 Depth=2
	s_andn2_saveexec_b64 s[20:21], s[22:23]
; %bb.2460:                             ;   in Loop: Header=BB6_2438 Depth=2
	v_mov_b32_e32 v2, v27
	v_mov_b32_e32 v3, v28
	v_bfe_u32 v4, v27, 23, 1
; %bb.2461:                             ;   in Loop: Header=BB6_2438 Depth=2
	s_or_b64 exec, exec, s[20:21]
	v_lshrrev_b64 v[2:3], 21, v[2:3]
	v_cmp_gt_i32_e64 s[20:21], 32, v4
	v_cndmask_b32_e64 v3, 0, v3, s[20:21]
	v_cndmask_b32_e64 v2, 3, v2, s[20:21]
	v_cmp_eq_u64_e64 s[22:23], 0, v[2:3]
	v_min_i32_e32 v3, 31, v4
	v_lshlrev_b32_e32 v3, 2, v3
	v_cmp_eq_u32_e64 s[20:21], 0, v4
	v_and_b32_e32 v3, 0xfc, v3
	v_and_or_b32 v2, v2, 3, v3
	s_and_b64 s[20:21], s[20:21], s[22:23]
	v_cndmask_b32_e64 v2, v2, 0, s[20:21]
	v_or_b32_e32 v22, v2, v5
.LBB6_2462:                             ;   in Loop: Header=BB6_2438 Depth=2
	s_or_b64 exec, exec, s[94:95]
                                        ; implicit-def: $vgpr5
.LBB6_2463:                             ;   in Loop: Header=BB6_2438 Depth=2
	s_andn2_saveexec_b64 s[20:21], s[92:93]
; %bb.2464:                             ;   in Loop: Header=BB6_2438 Depth=2
	v_or_b32_e32 v22, 0x7b, v5
; %bb.2465:                             ;   in Loop: Header=BB6_2438 Depth=2
	s_or_b64 exec, exec, s[20:21]
                                        ; implicit-def: $vgpr2
.LBB6_2466:                             ;   in Loop: Header=BB6_2438 Depth=2
	s_andn2_saveexec_b64 s[22:23], s[24:25]
	s_cbranch_execz .LBB6_2472
; %bb.2467:                             ;   in Loop: Header=BB6_2438 Depth=2
	v_cmp_ne_u64_e64 s[20:21], 0, v[27:28]
                                        ; implicit-def: $vgpr22
	s_and_saveexec_b64 s[24:25], s[20:21]
	s_xor_b64 s[20:21], exec, s[24:25]
; %bb.2468:                             ;   in Loop: Header=BB6_2438 Depth=2
	v_or_b32_sdwa v22, v2, s65 dst_sel:DWORD dst_unused:UNUSED_PAD src0_sel:BYTE_3 src1_sel:DWORD
                                        ; implicit-def: $vgpr2
; %bb.2469:                             ;   in Loop: Header=BB6_2438 Depth=2
	s_andn2_saveexec_b64 s[24:25], s[20:21]
; %bb.2470:                             ;   in Loop: Header=BB6_2438 Depth=2
	v_cmp_lt_i32_e64 s[20:21], -1, v2
	v_bfrev_b32_e32 v2, 0.5
	v_mov_b32_e32 v3, 0x7c
	v_cndmask_b32_e64 v22, v2, v3, s[20:21]
; %bb.2471:                             ;   in Loop: Header=BB6_2438 Depth=2
	s_or_b64 exec, exec, s[24:25]
.LBB6_2472:                             ;   in Loop: Header=BB6_2438 Depth=2
	s_or_b64 exec, exec, s[22:23]
	v_lshrrev_b16_e32 v2, 8, v14
	v_cmp_ne_u16_e64 s[20:21], 0, v2
	v_mov_b32_e32 v4, 0
	s_and_saveexec_b64 s[22:23], s[20:21]
	s_cbranch_execz .LBB6_2480
; %bb.2473:                             ;   in Loop: Header=BB6_2438 Depth=2
	v_cmp_ne_u16_e64 s[20:21], s55, v2
	v_bfrev_b32_e32 v4, 1
	s_and_saveexec_b64 s[24:25], s[20:21]
	s_cbranch_execz .LBB6_2479
; %bb.2474:                             ;   in Loop: Header=BB6_2438 Depth=2
	v_and_b32_e32 v3, 0x7c, v2
	v_and_b32_e32 v5, 3, v2
	v_cmp_ne_u32_e64 s[20:21], s53, v3
                                        ; implicit-def: $vgpr4
	s_and_saveexec_b64 s[92:93], s[20:21]
	s_xor_b64 s[92:93], exec, s[92:93]
	s_cbranch_execz .LBB6_2476
; %bb.2475:                             ;   in Loop: Header=BB6_2438 Depth=2
	v_ffbh_u32_e32 v23, v5
	v_min_u32_e32 v23, 32, v23
	v_mov_b32_e32 v3, v28
	v_subrev_u32_e32 v24, 29, v23
	v_bfe_u32 v4, v2, 2, 5
	v_lshlrev_b64 v[2:3], v24, v[2:3]
	v_sub_u32_e32 v3, 30, v23
	v_cmp_eq_u32_e64 s[20:21], 0, v4
	v_cndmask_b32_e64 v3, v4, v3, s[20:21]
	v_lshlrev_b32_e32 v4, 16, v14
	v_and_b32_e32 v2, 3, v2
	v_and_b32_e32 v4, 0x80000000, v4
	v_cndmask_b32_e64 v2, v5, v2, s[20:21]
	v_lshl_add_u32 v3, v3, 23, v4
	v_lshl_or_b32 v2, v2, 21, v3
	v_add_u32_e32 v4, 0x38000000, v2
                                        ; implicit-def: $vgpr5
.LBB6_2476:                             ;   in Loop: Header=BB6_2438 Depth=2
	s_andn2_saveexec_b64 s[92:93], s[92:93]
; %bb.2477:                             ;   in Loop: Header=BB6_2438 Depth=2
	v_cmp_lt_i16_e64 s[20:21], -1, v14
	v_mov_b32_e32 v2, 0xff800000
	v_mov_b32_e32 v3, 0x7f800000
	v_cndmask_b32_e64 v2, v2, v3, s[20:21]
	v_cmp_eq_u32_e64 s[20:21], 0, v5
	v_mov_b32_e32 v3, 0x7f800001
	v_cndmask_b32_e64 v4, v3, v2, s[20:21]
; %bb.2478:                             ;   in Loop: Header=BB6_2438 Depth=2
	s_or_b64 exec, exec, s[92:93]
.LBB6_2479:                             ;   in Loop: Header=BB6_2438 Depth=2
	s_or_b64 exec, exec, s[24:25]
.LBB6_2480:                             ;   in Loop: Header=BB6_2438 Depth=2
	s_or_b64 exec, exec, s[22:23]
	v_lshrrev_b16_e32 v2, 8, v10
	v_cmp_lt_i16_e64 s[20:21], s65, v2
	s_mov_b64 s[22:23], 0
	s_and_saveexec_b64 s[24:25], s[20:21]
	s_xor_b64 s[24:25], exec, s[24:25]
	s_cbranch_execz .LBB6_2963
; %bb.2481:                             ;   in Loop: Header=BB6_2438 Depth=2
	v_cmp_eq_u16_e64 s[20:21], s55, v2
	s_mov_b64 s[22:23], -1
	s_and_saveexec_b64 s[92:93], s[20:21]
; %bb.2482:                             ;   in Loop: Header=BB6_2438 Depth=2
	s_xor_b64 s[22:23], exec, -1
; %bb.2483:                             ;   in Loop: Header=BB6_2438 Depth=2
	s_or_b64 exec, exec, s[92:93]
	s_and_b64 s[22:23], s[22:23], exec
	s_or_saveexec_b64 s[24:25], s[24:25]
	v_bfrev_b32_e32 v3, 1
	s_xor_b64 exec, exec, s[24:25]
	s_cbranch_execnz .LBB6_2964
.LBB6_2484:                             ;   in Loop: Header=BB6_2438 Depth=2
	s_or_b64 exec, exec, s[24:25]
	s_and_saveexec_b64 s[92:93], s[22:23]
	s_cbranch_execz .LBB6_2486
.LBB6_2485:                             ;   in Loop: Header=BB6_2438 Depth=2
	v_and_b32_e32 v5, 3, v2
	v_and_b32_e32 v23, 0x7c, v2
	v_cmp_eq_u32_e64 s[20:21], s53, v23
	v_ffbh_u32_e32 v23, v5
	v_min_u32_e32 v26, 32, v23
	v_mov_b32_e32 v3, v28
	v_subrev_u32_e32 v23, 29, v26
	v_bfe_u32 v25, v2, 2, 5
	v_lshlrev_b64 v[23:24], v23, v[2:3]
	v_cmp_eq_u32_e64 s[22:23], 0, v25
	v_sub_u32_e32 v3, 30, v26
	v_lshlrev_b32_e32 v2, 24, v2
	v_and_b32_e32 v23, 3, v23
	v_cndmask_b32_e64 v3, v25, v3, s[22:23]
	v_and_b32_e32 v2, 0x80000000, v2
	v_cndmask_b32_e64 v23, v5, v23, s[22:23]
	v_lshl_add_u32 v2, v3, 23, v2
	v_cmp_eq_u32_e64 s[22:23], 0, v5
	v_cmp_lt_i16_e64 s[24:25], -1, v10
	v_mov_b32_e32 v3, 0xff800000
	v_mov_b32_e32 v5, 0x7f800000
	v_lshl_or_b32 v2, v23, 21, v2
	v_cndmask_b32_e64 v3, v3, v5, s[24:25]
	v_mov_b32_e32 v5, 0x7f800001
	v_add_u32_e32 v2, 0x38000000, v2
	v_cndmask_b32_e64 v3, v5, v3, s[22:23]
	v_cndmask_b32_e64 v3, v2, v3, s[20:21]
.LBB6_2486:                             ;   in Loop: Header=BB6_2438 Depth=2
	s_or_b64 exec, exec, s[92:93]
	v_mul_f32_e32 v2, v4, v3
	v_and_b32_e32 v3, 0x7f800000, v2
	v_mov_b32_e32 v4, v28
	v_cmp_ne_u64_e64 s[20:21], s[60:61], v[3:4]
	v_and_b32_e32 v27, 0x7fffff, v2
                                        ; implicit-def: $vgpr23
	s_and_saveexec_b64 s[22:23], s[20:21]
	s_xor_b64 s[24:25], exec, s[22:23]
	s_cbranch_execz .LBB6_2500
; %bb.2487:                             ;   in Loop: Header=BB6_2438 Depth=2
	v_and_b32_e32 v3, 0x7fffffff, v2
	v_mov_b32_e32 v4, v28
	v_cmp_gt_u64_e64 s[20:21], s[62:63], v[3:4]
	v_and_b32_sdwa v5, v2, s55 dst_sel:DWORD dst_unused:UNUSED_PAD src0_sel:BYTE_3 src1_sel:DWORD
                                        ; implicit-def: $vgpr23
	s_and_saveexec_b64 s[22:23], s[20:21]
	s_xor_b64 s[92:93], exec, s[22:23]
	s_cbranch_execz .LBB6_2497
; %bb.2488:                             ;   in Loop: Header=BB6_2438 Depth=2
	v_mov_b32_e32 v23, 0
	v_cmp_ne_u32_e64 s[20:21], 0, v2
	s_and_saveexec_b64 s[94:95], s[20:21]
	s_cbranch_execz .LBB6_2496
; %bb.2489:                             ;   in Loop: Header=BB6_2438 Depth=2
	v_bfe_u32 v23, v2, 23, 8
	v_cmp_gt_u32_e64 s[22:23], s64, v23
	v_sub_u32_e32 v2, 0x71, v23
	v_cmp_eq_u32_e64 s[20:21], 0, v23
	v_cndmask_b32_e64 v2, 0, v2, s[22:23]
	v_mov_b32_e32 v4, 0x70
	v_cndmask_b32_e64 v24, v2, v4, s[20:21]
	v_add_u32_e32 v4, 21, v24
	v_or_b32_e32 v3, 0x800000, v27
	v_lshlrev_b64 v[25:26], v4, -1
	v_cndmask_b32_e64 v2, v3, v27, s[20:21]
	v_mov_b32_e32 v3, v28
	v_add_u32_e32 v4, 20, v24
	v_bfi_b32 v25, v25, 0, v2
	v_lshlrev_b64 v[29:30], v4, 1
	v_lshrrev_b64 v[2:3], v24, v[2:3]
	v_bfi_b32 v26, v26, 0, 0
	v_cmp_eq_u64_e64 s[22:23], v[25:26], v[29:30]
	v_mov_b32_e32 v4, v3
	v_mov_b32_e32 v3, v2
	s_and_saveexec_b64 s[30:31], s[22:23]
; %bb.2490:                             ;   in Loop: Header=BB6_2438 Depth=2
	v_bfe_u32 v3, v2, 21, 1
	v_add_co_u32_e64 v3, s[22:23], v2, v3
	v_add_co_u32_e64 v3, s[22:23], -1, v3
; %bb.2491:                             ;   in Loop: Header=BB6_2438 Depth=2
	s_or_b64 exec, exec, s[30:31]
	v_add_u32_e32 v4, 0xffffff81, v23
	v_mov_b32_e32 v23, 0xffffff82
	v_cndmask_b32_e64 v4, v4, v23, s[20:21]
	v_lshrrev_b32_e32 v23, 23, v2
	v_add3_u32 v24, v24, v4, v23
	v_add_u32_e32 v23, 14, v24
	v_and_b32_e32 v3, 0x1fffff, v3
	v_add_u32_e32 v27, v3, v2
	v_cmp_ne_u32_e64 s[20:21], 0, v23
                                        ; implicit-def: $vgpr2_vgpr3
                                        ; implicit-def: $vgpr4
	s_and_saveexec_b64 s[22:23], s[20:21]
	s_xor_b64 s[22:23], exec, s[22:23]
; %bb.2492:                             ;   in Loop: Header=BB6_2438 Depth=2
	v_cmp_lt_u64_e64 s[20:21], s[72:73], v[27:28]
	v_add_u32_e32 v2, 15, v24
	v_cndmask_b32_e64 v4, v23, v2, s[20:21]
	v_cndmask_b32_e64 v2, 0, 1, s[20:21]
	v_lshrrev_b64 v[2:3], v2, v[27:28]
; %bb.2493:                             ;   in Loop: Header=BB6_2438 Depth=2
	s_andn2_saveexec_b64 s[20:21], s[22:23]
; %bb.2494:                             ;   in Loop: Header=BB6_2438 Depth=2
	v_mov_b32_e32 v2, v27
	v_mov_b32_e32 v3, v28
	v_bfe_u32 v4, v27, 23, 1
; %bb.2495:                             ;   in Loop: Header=BB6_2438 Depth=2
	s_or_b64 exec, exec, s[20:21]
	v_lshrrev_b64 v[2:3], 21, v[2:3]
	v_cmp_gt_i32_e64 s[20:21], 32, v4
	v_cndmask_b32_e64 v3, 0, v3, s[20:21]
	v_cndmask_b32_e64 v2, 3, v2, s[20:21]
	v_cmp_eq_u64_e64 s[22:23], 0, v[2:3]
	v_min_i32_e32 v3, 31, v4
	v_lshlrev_b32_e32 v3, 2, v3
	v_cmp_eq_u32_e64 s[20:21], 0, v4
	v_and_b32_e32 v3, 0xfc, v3
	v_and_or_b32 v2, v2, 3, v3
	s_and_b64 s[20:21], s[20:21], s[22:23]
	v_cndmask_b32_e64 v2, v2, 0, s[20:21]
	v_or_b32_e32 v23, v2, v5
.LBB6_2496:                             ;   in Loop: Header=BB6_2438 Depth=2
	s_or_b64 exec, exec, s[94:95]
                                        ; implicit-def: $vgpr5
.LBB6_2497:                             ;   in Loop: Header=BB6_2438 Depth=2
	s_andn2_saveexec_b64 s[20:21], s[92:93]
; %bb.2498:                             ;   in Loop: Header=BB6_2438 Depth=2
	v_or_b32_e32 v23, 0x7b, v5
; %bb.2499:                             ;   in Loop: Header=BB6_2438 Depth=2
	s_or_b64 exec, exec, s[20:21]
                                        ; implicit-def: $vgpr2
.LBB6_2500:                             ;   in Loop: Header=BB6_2438 Depth=2
	s_andn2_saveexec_b64 s[22:23], s[24:25]
	s_cbranch_execz .LBB6_2506
; %bb.2501:                             ;   in Loop: Header=BB6_2438 Depth=2
	v_cmp_ne_u64_e64 s[20:21], 0, v[27:28]
                                        ; implicit-def: $vgpr23
	s_and_saveexec_b64 s[24:25], s[20:21]
	s_xor_b64 s[20:21], exec, s[24:25]
; %bb.2502:                             ;   in Loop: Header=BB6_2438 Depth=2
	v_or_b32_sdwa v23, v2, s65 dst_sel:DWORD dst_unused:UNUSED_PAD src0_sel:BYTE_3 src1_sel:DWORD
                                        ; implicit-def: $vgpr2
; %bb.2503:                             ;   in Loop: Header=BB6_2438 Depth=2
	s_andn2_saveexec_b64 s[24:25], s[20:21]
; %bb.2504:                             ;   in Loop: Header=BB6_2438 Depth=2
	v_cmp_lt_i32_e64 s[20:21], -1, v2
	v_bfrev_b32_e32 v2, 0.5
	v_mov_b32_e32 v3, 0x7c
	v_cndmask_b32_e64 v23, v2, v3, s[20:21]
; %bb.2505:                             ;   in Loop: Header=BB6_2438 Depth=2
	s_or_b64 exec, exec, s[24:25]
.LBB6_2506:                             ;   in Loop: Header=BB6_2438 Depth=2
	s_or_b64 exec, exec, s[22:23]
	v_lshrrev_b32_e32 v2, 16, v14
	v_cmp_ne_u16_sdwa s[20:21], v2, v28 src0_sel:BYTE_0 src1_sel:DWORD
	v_mov_b32_e32 v3, 0
	s_and_saveexec_b64 s[22:23], s[20:21]
	s_cbranch_execz .LBB6_2514
; %bb.2507:                             ;   in Loop: Header=BB6_2438 Depth=2
	v_cmp_ne_u16_sdwa s[20:21], v2, s55 src0_sel:BYTE_0 src1_sel:DWORD
	v_bfrev_b32_e32 v3, 1
	s_and_saveexec_b64 s[24:25], s[20:21]
	s_cbranch_execz .LBB6_2513
; %bb.2508:                             ;   in Loop: Header=BB6_2438 Depth=2
	v_and_b32_e32 v3, 0x7c0000, v14
	v_bfe_u32 v4, v14, 16, 2
	v_cmp_ne_u32_e64 s[20:21], s66, v3
                                        ; implicit-def: $vgpr3
	s_and_saveexec_b64 s[92:93], s[20:21]
	s_xor_b64 s[92:93], exec, s[92:93]
	s_cbranch_execz .LBB6_2510
; %bb.2509:                             ;   in Loop: Header=BB6_2438 Depth=2
	v_ffbh_u32_e32 v3, v4
	v_min_u32_e32 v24, 32, v3
	v_subrev_u32_e32 v3, 29, v24
	v_lshlrev_b64 v[2:3], v3, v[2:3]
	v_bfe_u32 v5, v14, 18, 5
	v_and_b32_e32 v2, 3, v2
	v_cmp_eq_u32_e64 s[20:21], 0, v5
	v_sub_u32_e32 v3, 30, v24
	v_cndmask_b32_e64 v2, v4, v2, s[20:21]
	v_lshlrev_b32_e32 v4, 8, v14
	v_cndmask_b32_e64 v3, v5, v3, s[20:21]
	v_and_b32_e32 v4, 0x80000000, v4
	v_lshl_add_u32 v3, v3, 23, v4
	v_lshl_or_b32 v2, v2, 21, v3
	v_add_u32_e32 v3, 0x38000000, v2
                                        ; implicit-def: $vgpr4
                                        ; implicit-def: $vgpr2
.LBB6_2510:                             ;   in Loop: Header=BB6_2438 Depth=2
	s_andn2_saveexec_b64 s[92:93], s[92:93]
; %bb.2511:                             ;   in Loop: Header=BB6_2438 Depth=2
	v_mov_b32_e32 v3, -1
	v_cmp_gt_i16_sdwa s[20:21], sext(v2), v3 src0_sel:BYTE_0 src1_sel:DWORD
	v_mov_b32_e32 v2, 0xff800000
	v_mov_b32_e32 v3, 0x7f800000
	v_cndmask_b32_e64 v2, v2, v3, s[20:21]
	v_cmp_eq_u32_e64 s[20:21], 0, v4
	v_mov_b32_e32 v3, 0x7f800001
	v_cndmask_b32_e64 v3, v3, v2, s[20:21]
; %bb.2512:                             ;   in Loop: Header=BB6_2438 Depth=2
	s_or_b64 exec, exec, s[92:93]
.LBB6_2513:                             ;   in Loop: Header=BB6_2438 Depth=2
	s_or_b64 exec, exec, s[24:25]
.LBB6_2514:                             ;   in Loop: Header=BB6_2438 Depth=2
	s_or_b64 exec, exec, s[22:23]
	v_lshrrev_b32_e32 v2, 16, v10
	v_cmp_gt_i16_sdwa s[22:23], v2, s65 src0_sel:BYTE_0 src1_sel:DWORD
	s_mov_b64 s[20:21], 0
	s_and_saveexec_b64 s[24:25], s[22:23]
	s_xor_b64 s[22:23], exec, s[24:25]
	s_cbranch_execz .LBB6_2965
; %bb.2515:                             ;   in Loop: Header=BB6_2438 Depth=2
	v_cmp_eq_u16_sdwa s[92:93], v2, s55 src0_sel:BYTE_0 src1_sel:DWORD
	s_mov_b64 s[20:21], -1
	s_and_saveexec_b64 s[24:25], s[92:93]
; %bb.2516:                             ;   in Loop: Header=BB6_2438 Depth=2
	s_xor_b64 s[20:21], exec, -1
; %bb.2517:                             ;   in Loop: Header=BB6_2438 Depth=2
	s_or_b64 exec, exec, s[24:25]
	s_and_b64 s[20:21], s[20:21], exec
	s_or_saveexec_b64 s[22:23], s[22:23]
	v_bfrev_b32_e32 v4, 1
	s_xor_b64 exec, exec, s[22:23]
	s_cbranch_execnz .LBB6_2966
.LBB6_2518:                             ;   in Loop: Header=BB6_2438 Depth=2
	s_or_b64 exec, exec, s[22:23]
	s_and_saveexec_b64 s[92:93], s[20:21]
	s_cbranch_execz .LBB6_2520
.LBB6_2519:                             ;   in Loop: Header=BB6_2438 Depth=2
	v_and_b32_e32 v24, 3, v2
	v_and_b32_e32 v4, 0x7c0000, v10
	v_cmp_eq_u32_e64 s[20:21], s66, v4
	v_ffbh_u32_e32 v4, v24
	v_min_u32_e32 v26, 32, v4
	v_subrev_u32_e32 v4, 29, v26
	v_bfe_u32 v25, v10, 18, 5
	v_lshlrev_b64 v[4:5], v4, v[2:3]
	v_cmp_eq_u32_e64 s[22:23], 0, v25
	v_sub_u32_e32 v5, 30, v26
	v_cndmask_b32_e64 v5, v25, v5, s[22:23]
	v_lshlrev_b32_e32 v25, 24, v2
	v_and_b32_e32 v4, 3, v4
	v_and_b32_e32 v25, 0x80000000, v25
	v_cndmask_b32_e64 v4, v24, v4, s[22:23]
	v_lshl_add_u32 v5, v5, 23, v25
	v_lshl_or_b32 v4, v4, 21, v5
	v_mov_b32_e32 v5, -1
	v_cmp_gt_i16_sdwa s[24:25], sext(v2), v5 src0_sel:BYTE_0 src1_sel:DWORD
	v_mov_b32_e32 v2, 0xff800000
	v_mov_b32_e32 v5, 0x7f800000
	v_cmp_eq_u32_e64 s[22:23], 0, v24
	v_cndmask_b32_e64 v2, v2, v5, s[24:25]
	v_mov_b32_e32 v5, 0x7f800001
	v_add_u32_e32 v4, 0x38000000, v4
	v_cndmask_b32_e64 v2, v5, v2, s[22:23]
	v_cndmask_b32_e64 v4, v4, v2, s[20:21]
.LBB6_2520:                             ;   in Loop: Header=BB6_2438 Depth=2
	s_or_b64 exec, exec, s[92:93]
	v_mul_f32_e32 v2, v3, v4
	v_and_b32_e32 v3, 0x7f800000, v2
	v_mov_b32_e32 v4, v28
	v_cmp_ne_u64_e64 s[20:21], s[60:61], v[3:4]
	v_and_b32_e32 v27, 0x7fffff, v2
                                        ; implicit-def: $vgpr24
	s_and_saveexec_b64 s[22:23], s[20:21]
	s_xor_b64 s[24:25], exec, s[22:23]
	s_cbranch_execz .LBB6_2534
; %bb.2521:                             ;   in Loop: Header=BB6_2438 Depth=2
	v_and_b32_e32 v3, 0x7fffffff, v2
	v_mov_b32_e32 v4, v28
	v_cmp_gt_u64_e64 s[20:21], s[62:63], v[3:4]
	v_and_b32_sdwa v5, v2, s55 dst_sel:DWORD dst_unused:UNUSED_PAD src0_sel:BYTE_3 src1_sel:DWORD
                                        ; implicit-def: $vgpr24
	s_and_saveexec_b64 s[22:23], s[20:21]
	s_xor_b64 s[92:93], exec, s[22:23]
	s_cbranch_execz .LBB6_2531
; %bb.2522:                             ;   in Loop: Header=BB6_2438 Depth=2
	v_mov_b32_e32 v24, 0
	v_cmp_ne_u32_e64 s[20:21], 0, v2
	s_and_saveexec_b64 s[94:95], s[20:21]
	s_cbranch_execz .LBB6_2530
; %bb.2523:                             ;   in Loop: Header=BB6_2438 Depth=2
	v_bfe_u32 v24, v2, 23, 8
	v_cmp_gt_u32_e64 s[22:23], s64, v24
	v_sub_u32_e32 v2, 0x71, v24
	v_cmp_eq_u32_e64 s[20:21], 0, v24
	v_cndmask_b32_e64 v2, 0, v2, s[22:23]
	v_mov_b32_e32 v4, 0x70
	v_cndmask_b32_e64 v25, v2, v4, s[20:21]
	v_or_b32_e32 v3, 0x800000, v27
	v_add_u32_e32 v4, 21, v25
	v_cndmask_b32_e64 v2, v3, v27, s[20:21]
	v_lshlrev_b64 v[26:27], v4, -1
	v_mov_b32_e32 v3, v28
	v_add_u32_e32 v4, 20, v25
	v_bfi_b32 v26, v26, 0, v2
	v_lshlrev_b64 v[29:30], v4, 1
	v_lshrrev_b64 v[2:3], v25, v[2:3]
	v_bfi_b32 v27, v27, 0, 0
	v_cmp_eq_u64_e64 s[22:23], v[26:27], v[29:30]
	v_mov_b32_e32 v4, v3
	v_mov_b32_e32 v3, v2
	s_and_saveexec_b64 s[30:31], s[22:23]
; %bb.2524:                             ;   in Loop: Header=BB6_2438 Depth=2
	v_bfe_u32 v3, v2, 21, 1
	v_add_co_u32_e64 v3, s[22:23], v2, v3
	v_add_co_u32_e64 v3, s[22:23], -1, v3
; %bb.2525:                             ;   in Loop: Header=BB6_2438 Depth=2
	s_or_b64 exec, exec, s[30:31]
	v_add_u32_e32 v4, 0xffffff81, v24
	v_mov_b32_e32 v24, 0xffffff82
	v_cndmask_b32_e64 v4, v4, v24, s[20:21]
	v_lshrrev_b32_e32 v24, 23, v2
	v_add3_u32 v25, v25, v4, v24
	v_add_u32_e32 v24, 14, v25
	v_and_b32_e32 v3, 0x1fffff, v3
	v_add_u32_e32 v27, v3, v2
	v_cmp_ne_u32_e64 s[20:21], 0, v24
                                        ; implicit-def: $vgpr2_vgpr3
                                        ; implicit-def: $vgpr4
	s_and_saveexec_b64 s[22:23], s[20:21]
	s_xor_b64 s[22:23], exec, s[22:23]
; %bb.2526:                             ;   in Loop: Header=BB6_2438 Depth=2
	v_cmp_lt_u64_e64 s[20:21], s[72:73], v[27:28]
	v_add_u32_e32 v2, 15, v25
	v_cndmask_b32_e64 v4, v24, v2, s[20:21]
	v_cndmask_b32_e64 v2, 0, 1, s[20:21]
	v_lshrrev_b64 v[2:3], v2, v[27:28]
; %bb.2527:                             ;   in Loop: Header=BB6_2438 Depth=2
	s_andn2_saveexec_b64 s[20:21], s[22:23]
; %bb.2528:                             ;   in Loop: Header=BB6_2438 Depth=2
	v_mov_b32_e32 v2, v27
	v_mov_b32_e32 v3, v28
	v_bfe_u32 v4, v27, 23, 1
; %bb.2529:                             ;   in Loop: Header=BB6_2438 Depth=2
	s_or_b64 exec, exec, s[20:21]
	v_lshrrev_b64 v[2:3], 21, v[2:3]
	v_cmp_gt_i32_e64 s[20:21], 32, v4
	v_cndmask_b32_e64 v3, 0, v3, s[20:21]
	v_cndmask_b32_e64 v2, 3, v2, s[20:21]
	v_cmp_eq_u64_e64 s[22:23], 0, v[2:3]
	v_min_i32_e32 v3, 31, v4
	v_lshlrev_b32_e32 v3, 2, v3
	v_cmp_eq_u32_e64 s[20:21], 0, v4
	v_and_b32_e32 v3, 0xfc, v3
	v_and_or_b32 v2, v2, 3, v3
	s_and_b64 s[20:21], s[20:21], s[22:23]
	v_cndmask_b32_e64 v2, v2, 0, s[20:21]
	v_or_b32_e32 v24, v2, v5
.LBB6_2530:                             ;   in Loop: Header=BB6_2438 Depth=2
	s_or_b64 exec, exec, s[94:95]
                                        ; implicit-def: $vgpr5
.LBB6_2531:                             ;   in Loop: Header=BB6_2438 Depth=2
	s_andn2_saveexec_b64 s[20:21], s[92:93]
; %bb.2532:                             ;   in Loop: Header=BB6_2438 Depth=2
	v_or_b32_e32 v24, 0x7b, v5
; %bb.2533:                             ;   in Loop: Header=BB6_2438 Depth=2
	s_or_b64 exec, exec, s[20:21]
                                        ; implicit-def: $vgpr2
.LBB6_2534:                             ;   in Loop: Header=BB6_2438 Depth=2
	s_andn2_saveexec_b64 s[22:23], s[24:25]
	s_cbranch_execz .LBB6_2540
; %bb.2535:                             ;   in Loop: Header=BB6_2438 Depth=2
	v_cmp_ne_u64_e64 s[20:21], 0, v[27:28]
                                        ; implicit-def: $vgpr24
	s_and_saveexec_b64 s[24:25], s[20:21]
	s_xor_b64 s[20:21], exec, s[24:25]
; %bb.2536:                             ;   in Loop: Header=BB6_2438 Depth=2
	v_or_b32_sdwa v24, v2, s65 dst_sel:DWORD dst_unused:UNUSED_PAD src0_sel:BYTE_3 src1_sel:DWORD
                                        ; implicit-def: $vgpr2
; %bb.2537:                             ;   in Loop: Header=BB6_2438 Depth=2
	s_andn2_saveexec_b64 s[24:25], s[20:21]
; %bb.2538:                             ;   in Loop: Header=BB6_2438 Depth=2
	v_cmp_lt_i32_e64 s[20:21], -1, v2
	v_bfrev_b32_e32 v2, 0.5
	v_mov_b32_e32 v3, 0x7c
	v_cndmask_b32_e64 v24, v2, v3, s[20:21]
; %bb.2539:                             ;   in Loop: Header=BB6_2438 Depth=2
	s_or_b64 exec, exec, s[24:25]
.LBB6_2540:                             ;   in Loop: Header=BB6_2438 Depth=2
	s_or_b64 exec, exec, s[22:23]
	v_cmp_lt_u32_e64 s[20:21], s59, v14
	v_mov_b32_e32 v3, 0
	s_and_saveexec_b64 s[22:23], s[20:21]
	s_cbranch_execz .LBB6_2548
; %bb.2541:                             ;   in Loop: Header=BB6_2438 Depth=2
	v_lshrrev_b32_e32 v2, 24, v14
	v_cmp_ne_u32_e64 s[20:21], s55, v2
	v_bfrev_b32_e32 v3, 1
	s_and_saveexec_b64 s[24:25], s[20:21]
	s_cbranch_execz .LBB6_2547
; %bb.2542:                             ;   in Loop: Header=BB6_2438 Depth=2
	v_and_b32_e32 v3, 0x7c000000, v14
	v_bfe_u32 v4, v14, 24, 2
	v_cmp_ne_u32_e64 s[20:21], s67, v3
                                        ; implicit-def: $vgpr3
	s_and_saveexec_b64 s[92:93], s[20:21]
	s_xor_b64 s[92:93], exec, s[92:93]
	s_cbranch_execz .LBB6_2544
; %bb.2543:                             ;   in Loop: Header=BB6_2438 Depth=2
	v_ffbh_u32_e32 v3, v4
	v_min_u32_e32 v25, 32, v3
	v_subrev_u32_e32 v3, 29, v25
	v_lshlrev_b64 v[2:3], v3, v[2:3]
	v_bfe_u32 v5, v14, 26, 5
	v_sub_u32_e32 v3, 30, v25
	v_and_b32_e32 v2, 3, v2
	v_cmp_eq_u32_e64 s[20:21], 0, v5
	v_cndmask_b32_e64 v3, v5, v3, s[20:21]
	v_cndmask_b32_e64 v2, v4, v2, s[20:21]
	v_and_b32_e32 v4, 0x80000000, v14
	v_lshl_add_u32 v3, v3, 23, v4
	v_lshl_or_b32 v2, v2, 21, v3
	v_add_u32_e32 v3, 0x38000000, v2
                                        ; implicit-def: $vgpr4
.LBB6_2544:                             ;   in Loop: Header=BB6_2438 Depth=2
	s_andn2_saveexec_b64 s[92:93], s[92:93]
; %bb.2545:                             ;   in Loop: Header=BB6_2438 Depth=2
	v_cmp_lt_i32_e64 s[20:21], -1, v14
	v_mov_b32_e32 v2, 0xff800000
	v_mov_b32_e32 v3, 0x7f800000
	v_cndmask_b32_e64 v2, v2, v3, s[20:21]
	v_cmp_eq_u32_e64 s[20:21], 0, v4
	v_mov_b32_e32 v3, 0x7f800001
	v_cndmask_b32_e64 v3, v3, v2, s[20:21]
; %bb.2546:                             ;   in Loop: Header=BB6_2438 Depth=2
	s_or_b64 exec, exec, s[92:93]
.LBB6_2547:                             ;   in Loop: Header=BB6_2438 Depth=2
	s_or_b64 exec, exec, s[24:25]
.LBB6_2548:                             ;   in Loop: Header=BB6_2438 Depth=2
	s_or_b64 exec, exec, s[22:23]
	v_bfe_u32 v25, v10, 24, 2
	v_and_b32_e32 v4, 0x7c000000, v10
	v_cmp_eq_u32_e64 s[20:21], s67, v4
	v_ffbh_u32_e32 v4, v25
	v_min_u32_e32 v27, 32, v4
	v_lshrrev_b32_e32 v2, 24, v10
	v_subrev_u32_e32 v4, 29, v27
	v_bfe_u32 v26, v10, 26, 5
	v_lshlrev_b64 v[4:5], v4, v[2:3]
	v_cmp_eq_u32_e64 s[22:23], 0, v26
	v_sub_u32_e32 v5, 30, v27
	v_and_b32_e32 v4, 3, v4
	v_cndmask_b32_e64 v5, v26, v5, s[22:23]
	v_and_b32_e32 v26, 0x80000000, v10
	v_cndmask_b32_e64 v4, v25, v4, s[22:23]
	v_lshl_add_u32 v5, v5, 23, v26
	v_lshl_or_b32 v4, v4, 21, v5
	v_cmp_eq_u32_e64 s[22:23], 0, v25
	v_cmp_lt_i32_e64 s[24:25], -1, v10
	v_mov_b32_e32 v5, 0xff800000
	v_mov_b32_e32 v25, 0x7f800000
	v_cndmask_b32_e64 v5, v5, v25, s[24:25]
	v_mov_b32_e32 v25, 0x7f800001
	v_add_u32_e32 v4, 0x38000000, v4
	v_cndmask_b32_e64 v5, v25, v5, s[22:23]
	v_cndmask_b32_e64 v4, v4, v5, s[20:21]
	v_cmp_ne_u32_e64 s[20:21], s55, v2
	v_bfrev_b32_e32 v2, 1
	v_cndmask_b32_e64 v2, v2, v4, s[20:21]
	v_cmp_lt_u32_e64 s[20:21], s59, v10
	v_cndmask_b32_e64 v2, 0, v2, s[20:21]
	v_mul_f32_e32 v2, v2, v3
	v_and_b32_e32 v3, 0x7f800000, v2
	v_mov_b32_e32 v4, v28
	v_cmp_ne_u64_e64 s[20:21], s[60:61], v[3:4]
	v_and_b32_e32 v27, 0x7fffff, v2
                                        ; implicit-def: $vgpr25
	s_and_saveexec_b64 s[22:23], s[20:21]
	s_xor_b64 s[24:25], exec, s[22:23]
	s_cbranch_execz .LBB6_2562
; %bb.2549:                             ;   in Loop: Header=BB6_2438 Depth=2
	v_and_b32_e32 v3, 0x7fffffff, v2
	v_mov_b32_e32 v4, v28
	v_cmp_gt_u64_e64 s[20:21], s[62:63], v[3:4]
	v_and_b32_sdwa v5, v2, s55 dst_sel:DWORD dst_unused:UNUSED_PAD src0_sel:BYTE_3 src1_sel:DWORD
                                        ; implicit-def: $vgpr25
	s_and_saveexec_b64 s[22:23], s[20:21]
	s_xor_b64 s[92:93], exec, s[22:23]
	s_cbranch_execz .LBB6_2559
; %bb.2550:                             ;   in Loop: Header=BB6_2438 Depth=2
	v_mov_b32_e32 v25, 0
	v_cmp_ne_u32_e64 s[20:21], 0, v2
	s_and_saveexec_b64 s[94:95], s[20:21]
	s_cbranch_execz .LBB6_2558
; %bb.2551:                             ;   in Loop: Header=BB6_2438 Depth=2
	v_bfe_u32 v25, v2, 23, 8
	v_cmp_gt_u32_e64 s[22:23], s64, v25
	v_sub_u32_e32 v2, 0x71, v25
	v_cmp_eq_u32_e64 s[20:21], 0, v25
	v_cndmask_b32_e64 v2, 0, v2, s[22:23]
	v_mov_b32_e32 v4, 0x70
	v_cndmask_b32_e64 v26, v2, v4, s[20:21]
	v_add_u32_e32 v4, 21, v26
	v_or_b32_e32 v3, 0x800000, v27
	v_lshlrev_b64 v[29:30], v4, -1
	v_cndmask_b32_e64 v2, v3, v27, s[20:21]
	v_mov_b32_e32 v3, v28
	v_add_u32_e32 v4, 20, v26
	v_bfi_b32 v29, v29, 0, v2
	v_lshlrev_b64 v[31:32], v4, 1
	v_lshrrev_b64 v[2:3], v26, v[2:3]
	v_bfi_b32 v30, v30, 0, 0
	v_cmp_eq_u64_e64 s[22:23], v[29:30], v[31:32]
	v_mov_b32_e32 v4, v3
	v_mov_b32_e32 v3, v2
	s_and_saveexec_b64 s[30:31], s[22:23]
; %bb.2552:                             ;   in Loop: Header=BB6_2438 Depth=2
	v_bfe_u32 v3, v2, 21, 1
	v_add_co_u32_e64 v3, s[22:23], v2, v3
	v_add_co_u32_e64 v3, s[22:23], -1, v3
; %bb.2553:                             ;   in Loop: Header=BB6_2438 Depth=2
	s_or_b64 exec, exec, s[30:31]
	v_add_u32_e32 v4, 0xffffff81, v25
	v_mov_b32_e32 v25, 0xffffff82
	v_cndmask_b32_e64 v4, v4, v25, s[20:21]
	v_lshrrev_b32_e32 v25, 23, v2
	v_add3_u32 v26, v26, v4, v25
	v_add_u32_e32 v25, 14, v26
	v_and_b32_e32 v3, 0x1fffff, v3
	v_add_u32_e32 v27, v3, v2
	v_cmp_ne_u32_e64 s[20:21], 0, v25
                                        ; implicit-def: $vgpr2_vgpr3
                                        ; implicit-def: $vgpr4
	s_and_saveexec_b64 s[22:23], s[20:21]
	s_xor_b64 s[22:23], exec, s[22:23]
; %bb.2554:                             ;   in Loop: Header=BB6_2438 Depth=2
	v_cmp_lt_u64_e64 s[20:21], s[72:73], v[27:28]
	v_add_u32_e32 v2, 15, v26
	v_cndmask_b32_e64 v4, v25, v2, s[20:21]
	v_cndmask_b32_e64 v2, 0, 1, s[20:21]
	v_lshrrev_b64 v[2:3], v2, v[27:28]
; %bb.2555:                             ;   in Loop: Header=BB6_2438 Depth=2
	s_andn2_saveexec_b64 s[20:21], s[22:23]
; %bb.2556:                             ;   in Loop: Header=BB6_2438 Depth=2
	v_mov_b32_e32 v2, v27
	v_mov_b32_e32 v3, v28
	v_bfe_u32 v4, v27, 23, 1
; %bb.2557:                             ;   in Loop: Header=BB6_2438 Depth=2
	s_or_b64 exec, exec, s[20:21]
	v_lshrrev_b64 v[2:3], 21, v[2:3]
	v_cmp_gt_i32_e64 s[20:21], 32, v4
	v_cndmask_b32_e64 v3, 0, v3, s[20:21]
	v_cndmask_b32_e64 v2, 3, v2, s[20:21]
	v_cmp_eq_u64_e64 s[22:23], 0, v[2:3]
	v_min_i32_e32 v3, 31, v4
	v_lshlrev_b32_e32 v3, 2, v3
	v_cmp_eq_u32_e64 s[20:21], 0, v4
	v_and_b32_e32 v3, 0xfc, v3
	v_and_or_b32 v2, v2, 3, v3
	s_and_b64 s[20:21], s[20:21], s[22:23]
	v_cndmask_b32_e64 v2, v2, 0, s[20:21]
	v_or_b32_e32 v25, v2, v5
.LBB6_2558:                             ;   in Loop: Header=BB6_2438 Depth=2
	s_or_b64 exec, exec, s[94:95]
                                        ; implicit-def: $vgpr5
.LBB6_2559:                             ;   in Loop: Header=BB6_2438 Depth=2
	s_andn2_saveexec_b64 s[20:21], s[92:93]
; %bb.2560:                             ;   in Loop: Header=BB6_2438 Depth=2
	v_or_b32_e32 v25, 0x7b, v5
; %bb.2561:                             ;   in Loop: Header=BB6_2438 Depth=2
	s_or_b64 exec, exec, s[20:21]
                                        ; implicit-def: $vgpr2
.LBB6_2562:                             ;   in Loop: Header=BB6_2438 Depth=2
	s_andn2_saveexec_b64 s[22:23], s[24:25]
	s_cbranch_execz .LBB6_2568
; %bb.2563:                             ;   in Loop: Header=BB6_2438 Depth=2
	v_cmp_ne_u64_e64 s[20:21], 0, v[27:28]
                                        ; implicit-def: $vgpr25
	s_and_saveexec_b64 s[24:25], s[20:21]
	s_xor_b64 s[20:21], exec, s[24:25]
; %bb.2564:                             ;   in Loop: Header=BB6_2438 Depth=2
	v_or_b32_sdwa v25, v2, s65 dst_sel:DWORD dst_unused:UNUSED_PAD src0_sel:BYTE_3 src1_sel:DWORD
                                        ; implicit-def: $vgpr2
; %bb.2565:                             ;   in Loop: Header=BB6_2438 Depth=2
	s_andn2_saveexec_b64 s[24:25], s[20:21]
; %bb.2566:                             ;   in Loop: Header=BB6_2438 Depth=2
	v_cmp_lt_i32_e64 s[20:21], -1, v2
	v_bfrev_b32_e32 v2, 0.5
	v_mov_b32_e32 v3, 0x7c
	v_cndmask_b32_e64 v25, v2, v3, s[20:21]
; %bb.2567:                             ;   in Loop: Header=BB6_2438 Depth=2
	s_or_b64 exec, exec, s[24:25]
.LBB6_2568:                             ;   in Loop: Header=BB6_2438 Depth=2
	s_or_b64 exec, exec, s[22:23]
	v_mov_b32_e32 v27, v15
	v_cmp_ne_u16_sdwa s[20:21], v15, v28 src0_sel:BYTE_0 src1_sel:DWORD
	v_mov_b32_e32 v4, 0
	s_and_saveexec_b64 s[22:23], s[20:21]
	s_cbranch_execz .LBB6_2576
; %bb.2569:                             ;   in Loop: Header=BB6_2438 Depth=2
	v_cmp_ne_u16_sdwa s[20:21], v15, s55 src0_sel:BYTE_0 src1_sel:DWORD
	v_bfrev_b32_e32 v4, 1
	s_and_saveexec_b64 s[24:25], s[20:21]
	s_cbranch_execz .LBB6_2575
; %bb.2570:                             ;   in Loop: Header=BB6_2438 Depth=2
	v_and_b32_e32 v3, 0x7c, v15
	v_and_b32_e32 v2, 3, v15
	v_cmp_ne_u32_e64 s[20:21], s53, v3
                                        ; implicit-def: $vgpr4
	s_and_saveexec_b64 s[92:93], s[20:21]
	s_xor_b64 s[92:93], exec, s[92:93]
	s_cbranch_execz .LBB6_2572
; %bb.2571:                             ;   in Loop: Header=BB6_2438 Depth=2
	v_ffbh_u32_e32 v3, v2
	v_min_u32_e32 v26, 32, v3
	v_subrev_u32_e32 v3, 29, v26
	v_lshlrev_b64 v[3:4], v3, v[27:28]
	v_bfe_u32 v5, v15, 2, 5
	v_and_b32_e32 v3, 3, v3
	v_cmp_eq_u32_e64 s[20:21], 0, v5
	v_sub_u32_e32 v4, 30, v26
	v_cndmask_b32_e64 v2, v2, v3, s[20:21]
	v_lshlrev_b32_e32 v3, 24, v15
	v_cndmask_b32_e64 v4, v5, v4, s[20:21]
	v_and_b32_e32 v3, 0x80000000, v3
	v_lshl_add_u32 v3, v4, 23, v3
	v_lshl_or_b32 v2, v2, 21, v3
	v_add_u32_e32 v4, 0x38000000, v2
                                        ; implicit-def: $vgpr2
.LBB6_2572:                             ;   in Loop: Header=BB6_2438 Depth=2
	s_andn2_saveexec_b64 s[92:93], s[92:93]
; %bb.2573:                             ;   in Loop: Header=BB6_2438 Depth=2
	v_mov_b32_e32 v3, -1
	v_cmp_gt_i16_sdwa s[20:21], sext(v15), v3 src0_sel:BYTE_0 src1_sel:DWORD
	v_mov_b32_e32 v3, 0xff800000
	v_mov_b32_e32 v4, 0x7f800000
	v_cndmask_b32_e64 v3, v3, v4, s[20:21]
	v_cmp_eq_u32_e64 s[20:21], 0, v2
	v_mov_b32_e32 v2, 0x7f800001
	v_cndmask_b32_e64 v4, v2, v3, s[20:21]
; %bb.2574:                             ;   in Loop: Header=BB6_2438 Depth=2
	s_or_b64 exec, exec, s[92:93]
.LBB6_2575:                             ;   in Loop: Header=BB6_2438 Depth=2
	s_or_b64 exec, exec, s[24:25]
.LBB6_2576:                             ;   in Loop: Header=BB6_2438 Depth=2
	s_or_b64 exec, exec, s[22:23]
	v_cmp_gt_i16_sdwa s[22:23], v11, s65 src0_sel:BYTE_0 src1_sel:DWORD
	s_mov_b64 s[20:21], 0
	s_and_saveexec_b64 s[24:25], s[22:23]
	s_xor_b64 s[22:23], exec, s[24:25]
	s_cbranch_execz .LBB6_2580
; %bb.2577:                             ;   in Loop: Header=BB6_2438 Depth=2
	v_cmp_eq_u16_sdwa s[92:93], v11, s55 src0_sel:BYTE_0 src1_sel:DWORD
	s_mov_b64 s[20:21], -1
	s_and_saveexec_b64 s[24:25], s[92:93]
; %bb.2578:                             ;   in Loop: Header=BB6_2438 Depth=2
	s_xor_b64 s[20:21], exec, -1
; %bb.2579:                             ;   in Loop: Header=BB6_2438 Depth=2
	s_or_b64 exec, exec, s[24:25]
	s_and_b64 s[20:21], s[20:21], exec
.LBB6_2580:                             ;   in Loop: Header=BB6_2438 Depth=2
	s_or_saveexec_b64 s[22:23], s[22:23]
	v_bfrev_b32_e32 v5, 1
	s_xor_b64 exec, exec, s[22:23]
; %bb.2581:                             ;   in Loop: Header=BB6_2438 Depth=2
	v_cmp_ne_u16_sdwa s[24:25], v11, v28 src0_sel:BYTE_0 src1_sel:DWORD
	s_andn2_b64 s[20:21], s[20:21], exec
	s_and_b64 s[24:25], s[24:25], exec
	v_mov_b32_e32 v5, 0
	s_or_b64 s[20:21], s[20:21], s[24:25]
; %bb.2582:                             ;   in Loop: Header=BB6_2438 Depth=2
	s_or_b64 exec, exec, s[22:23]
	v_mov_b32_e32 v2, v11
	v_mov_b32_e32 v3, v28
	s_and_saveexec_b64 s[92:93], s[20:21]
	s_cbranch_execz .LBB6_2584
; %bb.2583:                             ;   in Loop: Header=BB6_2438 Depth=2
	v_and_b32_e32 v5, 3, v11
	v_and_b32_e32 v29, 0x7c, v11
	v_cmp_eq_u32_e64 s[20:21], s53, v29
	v_ffbh_u32_e32 v29, v5
	v_min_u32_e32 v31, 32, v29
	v_subrev_u32_e32 v29, 29, v31
	v_lshlrev_b64 v[29:30], v29, v[2:3]
	v_bfe_u32 v26, v11, 2, 5
	v_cmp_eq_u32_e64 s[22:23], 0, v26
	v_sub_u32_e32 v3, 30, v31
	v_and_b32_e32 v29, 3, v29
	v_cndmask_b32_e64 v3, v26, v3, s[22:23]
	v_cndmask_b32_e64 v26, v5, v29, s[22:23]
	v_lshlrev_b32_e32 v29, 24, v11
	v_and_b32_e32 v29, 0x80000000, v29
	v_lshl_add_u32 v3, v3, 23, v29
	v_cmp_eq_u32_e64 s[22:23], 0, v5
	v_mov_b32_e32 v5, -1
	v_lshl_or_b32 v3, v26, 21, v3
	v_cmp_gt_i16_sdwa s[24:25], sext(v11), v5 src0_sel:BYTE_0 src1_sel:DWORD
	v_mov_b32_e32 v5, 0xff800000
	v_mov_b32_e32 v26, 0x7f800000
	v_cndmask_b32_e64 v5, v5, v26, s[24:25]
	v_mov_b32_e32 v26, 0x7f800001
	v_add_u32_e32 v3, 0x38000000, v3
	v_cndmask_b32_e64 v5, v26, v5, s[22:23]
	v_cndmask_b32_e64 v5, v3, v5, s[20:21]
.LBB6_2584:                             ;   in Loop: Header=BB6_2438 Depth=2
	s_or_b64 exec, exec, s[92:93]
	v_mul_f32_e32 v5, v4, v5
	v_and_b32_e32 v29, 0x7f800000, v5
	v_mov_b32_e32 v30, v28
	v_cmp_ne_u64_e64 s[20:21], s[60:61], v[29:30]
	v_and_b32_e32 v3, 0x7fffff, v5
	v_mov_b32_e32 v4, v28
                                        ; implicit-def: $vgpr26
	s_and_saveexec_b64 s[22:23], s[20:21]
	s_xor_b64 s[24:25], exec, s[22:23]
	s_cbranch_execz .LBB6_2598
; %bb.2585:                             ;   in Loop: Header=BB6_2438 Depth=2
	v_and_b32_e32 v29, 0x7fffffff, v5
	v_mov_b32_e32 v30, v28
	v_cmp_gt_u64_e64 s[20:21], s[62:63], v[29:30]
	v_and_b32_sdwa v29, v5, s55 dst_sel:DWORD dst_unused:UNUSED_PAD src0_sel:BYTE_3 src1_sel:DWORD
                                        ; implicit-def: $vgpr26
	s_and_saveexec_b64 s[22:23], s[20:21]
	s_xor_b64 s[92:93], exec, s[22:23]
	s_cbranch_execz .LBB6_2595
; %bb.2586:                             ;   in Loop: Header=BB6_2438 Depth=2
	v_mov_b32_e32 v26, 0
	v_cmp_ne_u32_e64 s[20:21], 0, v5
	s_and_saveexec_b64 s[94:95], s[20:21]
	s_cbranch_execz .LBB6_2594
; %bb.2587:                             ;   in Loop: Header=BB6_2438 Depth=2
	v_bfe_u32 v26, v5, 23, 8
	v_cmp_gt_u32_e64 s[22:23], s64, v26
	v_sub_u32_e32 v5, 0x71, v26
	v_cmp_eq_u32_e64 s[20:21], 0, v26
	v_cndmask_b32_e64 v5, 0, v5, s[22:23]
	v_mov_b32_e32 v30, 0x70
	v_cndmask_b32_e64 v30, v5, v30, s[20:21]
	v_or_b32_e32 v31, 0x800000, v3
	v_add_u32_e32 v5, 21, v30
	v_cndmask_b32_e64 v3, v31, v3, s[20:21]
	v_lshlrev_b64 v[31:32], v5, -1
	v_add_u32_e32 v5, 20, v30
	v_bfi_b32 v31, v31, 0, v3
	v_lshlrev_b64 v[33:34], v5, 1
	v_lshrrev_b64 v[3:4], v30, v[3:4]
	v_bfi_b32 v32, v32, 0, 0
	v_cmp_eq_u64_e64 s[22:23], v[31:32], v[33:34]
	v_mov_b32_e32 v5, v4
	v_mov_b32_e32 v4, v3
	s_and_saveexec_b64 s[30:31], s[22:23]
; %bb.2588:                             ;   in Loop: Header=BB6_2438 Depth=2
	v_bfe_u32 v4, v3, 21, 1
	v_add_co_u32_e64 v4, s[22:23], v3, v4
	v_add_co_u32_e64 v4, s[22:23], -1, v4
; %bb.2589:                             ;   in Loop: Header=BB6_2438 Depth=2
	s_or_b64 exec, exec, s[30:31]
	v_add_u32_e32 v5, 0xffffff81, v26
	v_mov_b32_e32 v26, 0xffffff82
	v_cndmask_b32_e64 v5, v5, v26, s[20:21]
	v_lshrrev_b32_e32 v26, 23, v3
	v_add3_u32 v30, v30, v5, v26
	v_add_u32_e32 v26, 14, v30
	v_and_b32_e32 v4, 0x1fffff, v4
	v_add_u32_e32 v3, v4, v3
	v_mov_b32_e32 v4, v28
	v_cmp_ne_u32_e64 s[20:21], 0, v26
                                        ; implicit-def: $vgpr5
	s_and_saveexec_b64 s[22:23], s[20:21]
	s_xor_b64 s[22:23], exec, s[22:23]
; %bb.2590:                             ;   in Loop: Header=BB6_2438 Depth=2
	v_cmp_lt_u64_e64 s[20:21], s[72:73], v[3:4]
	v_add_u32_e32 v5, 15, v30
	v_cndmask_b32_e64 v5, v26, v5, s[20:21]
	v_cndmask_b32_e64 v26, 0, 1, s[20:21]
	v_lshrrev_b64 v[3:4], v26, v[3:4]
; %bb.2591:                             ;   in Loop: Header=BB6_2438 Depth=2
	s_andn2_saveexec_b64 s[20:21], s[22:23]
; %bb.2592:                             ;   in Loop: Header=BB6_2438 Depth=2
	v_bfe_u32 v5, v3, 23, 1
; %bb.2593:                             ;   in Loop: Header=BB6_2438 Depth=2
	s_or_b64 exec, exec, s[20:21]
	v_lshrrev_b64 v[3:4], 21, v[3:4]
	v_cmp_gt_i32_e64 s[20:21], 32, v5
	v_cndmask_b32_e64 v4, 0, v4, s[20:21]
	v_cndmask_b32_e64 v3, 3, v3, s[20:21]
	v_cmp_eq_u64_e64 s[22:23], 0, v[3:4]
	v_min_i32_e32 v4, 31, v5
	v_lshlrev_b32_e32 v4, 2, v4
	v_cmp_eq_u32_e64 s[20:21], 0, v5
	v_and_b32_e32 v4, 0xfc, v4
	v_and_or_b32 v3, v3, 3, v4
	s_and_b64 s[20:21], s[20:21], s[22:23]
	v_cndmask_b32_e64 v3, v3, 0, s[20:21]
	v_or_b32_e32 v26, v3, v29
.LBB6_2594:                             ;   in Loop: Header=BB6_2438 Depth=2
	s_or_b64 exec, exec, s[94:95]
                                        ; implicit-def: $vgpr29
.LBB6_2595:                             ;   in Loop: Header=BB6_2438 Depth=2
	s_andn2_saveexec_b64 s[20:21], s[92:93]
; %bb.2596:                             ;   in Loop: Header=BB6_2438 Depth=2
	v_or_b32_e32 v26, 0x7b, v29
; %bb.2597:                             ;   in Loop: Header=BB6_2438 Depth=2
	s_or_b64 exec, exec, s[20:21]
                                        ; implicit-def: $vgpr5
                                        ; implicit-def: $vgpr3_vgpr4
.LBB6_2598:                             ;   in Loop: Header=BB6_2438 Depth=2
	s_andn2_saveexec_b64 s[22:23], s[24:25]
	s_cbranch_execz .LBB6_2604
; %bb.2599:                             ;   in Loop: Header=BB6_2438 Depth=2
	v_cmp_ne_u64_e64 s[20:21], 0, v[3:4]
                                        ; implicit-def: $vgpr26
	s_and_saveexec_b64 s[24:25], s[20:21]
	s_xor_b64 s[20:21], exec, s[24:25]
; %bb.2600:                             ;   in Loop: Header=BB6_2438 Depth=2
	v_or_b32_sdwa v26, v5, s65 dst_sel:DWORD dst_unused:UNUSED_PAD src0_sel:BYTE_3 src1_sel:DWORD
                                        ; implicit-def: $vgpr5
; %bb.2601:                             ;   in Loop: Header=BB6_2438 Depth=2
	s_andn2_saveexec_b64 s[24:25], s[20:21]
; %bb.2602:                             ;   in Loop: Header=BB6_2438 Depth=2
	v_cmp_lt_i32_e64 s[20:21], -1, v5
	v_bfrev_b32_e32 v3, 0.5
	v_mov_b32_e32 v4, 0x7c
	v_cndmask_b32_e64 v26, v3, v4, s[20:21]
; %bb.2603:                             ;   in Loop: Header=BB6_2438 Depth=2
	s_or_b64 exec, exec, s[24:25]
.LBB6_2604:                             ;   in Loop: Header=BB6_2438 Depth=2
	s_or_b64 exec, exec, s[22:23]
	v_lshrrev_b16_e32 v3, 8, v27
	v_cmp_ne_u16_e64 s[20:21], 0, v3
	v_mov_b32_e32 v5, 0
	s_and_saveexec_b64 s[22:23], s[20:21]
	s_cbranch_execz .LBB6_2612
; %bb.2605:                             ;   in Loop: Header=BB6_2438 Depth=2
	v_cmp_ne_u16_e64 s[20:21], s55, v3
	v_bfrev_b32_e32 v5, 1
	s_and_saveexec_b64 s[24:25], s[20:21]
	s_cbranch_execz .LBB6_2611
; %bb.2606:                             ;   in Loop: Header=BB6_2438 Depth=2
	v_and_b32_e32 v4, 0x7c, v3
	v_and_b32_e32 v29, 3, v3
	v_cmp_ne_u32_e64 s[20:21], s53, v4
                                        ; implicit-def: $vgpr5
	s_and_saveexec_b64 s[92:93], s[20:21]
	s_xor_b64 s[92:93], exec, s[92:93]
	s_cbranch_execz .LBB6_2608
; %bb.2607:                             ;   in Loop: Header=BB6_2438 Depth=2
	v_ffbh_u32_e32 v30, v29
	v_min_u32_e32 v30, 32, v30
	v_mov_b32_e32 v4, v28
	v_subrev_u32_e32 v31, 29, v30
	v_bfe_u32 v5, v3, 2, 5
	v_lshlrev_b64 v[3:4], v31, v[3:4]
	v_sub_u32_e32 v4, 30, v30
	v_cmp_eq_u32_e64 s[20:21], 0, v5
	v_cndmask_b32_e64 v4, v5, v4, s[20:21]
	v_lshlrev_b32_e32 v5, 16, v27
	v_and_b32_e32 v3, 3, v3
	v_and_b32_e32 v5, 0x80000000, v5
	v_cndmask_b32_e64 v3, v29, v3, s[20:21]
	v_lshl_add_u32 v4, v4, 23, v5
	v_lshl_or_b32 v3, v3, 21, v4
	v_add_u32_e32 v5, 0x38000000, v3
                                        ; implicit-def: $vgpr29
.LBB6_2608:                             ;   in Loop: Header=BB6_2438 Depth=2
	s_andn2_saveexec_b64 s[92:93], s[92:93]
; %bb.2609:                             ;   in Loop: Header=BB6_2438 Depth=2
	v_cmp_lt_i16_e64 s[20:21], -1, v27
	v_mov_b32_e32 v3, 0xff800000
	v_mov_b32_e32 v4, 0x7f800000
	v_cndmask_b32_e64 v3, v3, v4, s[20:21]
	v_cmp_eq_u32_e64 s[20:21], 0, v29
	v_mov_b32_e32 v4, 0x7f800001
	v_cndmask_b32_e64 v5, v4, v3, s[20:21]
; %bb.2610:                             ;   in Loop: Header=BB6_2438 Depth=2
	s_or_b64 exec, exec, s[92:93]
.LBB6_2611:                             ;   in Loop: Header=BB6_2438 Depth=2
	s_or_b64 exec, exec, s[24:25]
.LBB6_2612:                             ;   in Loop: Header=BB6_2438 Depth=2
	s_or_b64 exec, exec, s[22:23]
	v_lshrrev_b16_e32 v3, 8, v2
	v_cmp_lt_i16_e64 s[20:21], s65, v3
	s_mov_b64 s[22:23], 0
	s_and_saveexec_b64 s[24:25], s[20:21]
	s_xor_b64 s[24:25], exec, s[24:25]
	s_cbranch_execz .LBB6_2967
; %bb.2613:                             ;   in Loop: Header=BB6_2438 Depth=2
	v_cmp_eq_u16_e64 s[20:21], s55, v3
	s_mov_b64 s[22:23], -1
	s_and_saveexec_b64 s[92:93], s[20:21]
; %bb.2614:                             ;   in Loop: Header=BB6_2438 Depth=2
	s_xor_b64 s[22:23], exec, -1
; %bb.2615:                             ;   in Loop: Header=BB6_2438 Depth=2
	s_or_b64 exec, exec, s[92:93]
	s_and_b64 s[22:23], s[22:23], exec
	s_or_saveexec_b64 s[24:25], s[24:25]
	v_bfrev_b32_e32 v4, 1
	s_xor_b64 exec, exec, s[24:25]
	s_cbranch_execnz .LBB6_2968
.LBB6_2616:                             ;   in Loop: Header=BB6_2438 Depth=2
	s_or_b64 exec, exec, s[24:25]
	s_and_saveexec_b64 s[92:93], s[22:23]
	s_cbranch_execz .LBB6_2618
.LBB6_2617:                             ;   in Loop: Header=BB6_2438 Depth=2
	v_and_b32_e32 v27, 3, v3
	v_and_b32_e32 v29, 0x7c, v3
	v_cmp_eq_u32_e64 s[20:21], s53, v29
	v_ffbh_u32_e32 v29, v27
	v_min_u32_e32 v32, 32, v29
	v_mov_b32_e32 v4, v28
	v_subrev_u32_e32 v29, 29, v32
	v_bfe_u32 v31, v3, 2, 5
	v_lshlrev_b64 v[29:30], v29, v[3:4]
	v_cmp_eq_u32_e64 s[22:23], 0, v31
	v_sub_u32_e32 v4, 30, v32
	v_lshlrev_b32_e32 v3, 24, v3
	v_and_b32_e32 v29, 3, v29
	v_cndmask_b32_e64 v4, v31, v4, s[22:23]
	v_and_b32_e32 v3, 0x80000000, v3
	v_cndmask_b32_e64 v29, v27, v29, s[22:23]
	v_lshl_add_u32 v3, v4, 23, v3
	v_cmp_lt_i16_e64 s[24:25], -1, v2
	v_mov_b32_e32 v2, 0xff800000
	v_mov_b32_e32 v4, 0x7f800000
	v_lshl_or_b32 v3, v29, 21, v3
	v_cmp_eq_u32_e64 s[22:23], 0, v27
	v_cndmask_b32_e64 v2, v2, v4, s[24:25]
	v_mov_b32_e32 v4, 0x7f800001
	v_add_u32_e32 v3, 0x38000000, v3
	v_cndmask_b32_e64 v2, v4, v2, s[22:23]
	v_cndmask_b32_e64 v4, v3, v2, s[20:21]
.LBB6_2618:                             ;   in Loop: Header=BB6_2438 Depth=2
	s_or_b64 exec, exec, s[92:93]
	v_mul_f32_e32 v2, v5, v4
	v_and_b32_e32 v3, 0x7f800000, v2
	v_mov_b32_e32 v4, v28
	v_cmp_ne_u64_e64 s[20:21], s[60:61], v[3:4]
	v_and_b32_e32 v27, 0x7fffff, v2
                                        ; implicit-def: $vgpr29
	s_and_saveexec_b64 s[22:23], s[20:21]
	s_xor_b64 s[24:25], exec, s[22:23]
	s_cbranch_execz .LBB6_2632
; %bb.2619:                             ;   in Loop: Header=BB6_2438 Depth=2
	v_and_b32_e32 v3, 0x7fffffff, v2
	v_mov_b32_e32 v4, v28
	v_cmp_gt_u64_e64 s[20:21], s[62:63], v[3:4]
	v_and_b32_sdwa v5, v2, s55 dst_sel:DWORD dst_unused:UNUSED_PAD src0_sel:BYTE_3 src1_sel:DWORD
                                        ; implicit-def: $vgpr29
	s_and_saveexec_b64 s[22:23], s[20:21]
	s_xor_b64 s[92:93], exec, s[22:23]
	s_cbranch_execz .LBB6_2629
; %bb.2620:                             ;   in Loop: Header=BB6_2438 Depth=2
	v_mov_b32_e32 v29, 0
	v_cmp_ne_u32_e64 s[20:21], 0, v2
	s_and_saveexec_b64 s[94:95], s[20:21]
	s_cbranch_execz .LBB6_2628
; %bb.2621:                             ;   in Loop: Header=BB6_2438 Depth=2
	v_bfe_u32 v29, v2, 23, 8
	v_cmp_gt_u32_e64 s[22:23], s64, v29
	v_sub_u32_e32 v2, 0x71, v29
	v_cmp_eq_u32_e64 s[20:21], 0, v29
	v_cndmask_b32_e64 v2, 0, v2, s[22:23]
	v_mov_b32_e32 v4, 0x70
	v_cndmask_b32_e64 v30, v2, v4, s[20:21]
	v_add_u32_e32 v4, 21, v30
	v_or_b32_e32 v3, 0x800000, v27
	v_lshlrev_b64 v[31:32], v4, -1
	v_cndmask_b32_e64 v2, v3, v27, s[20:21]
	v_mov_b32_e32 v3, v28
	v_add_u32_e32 v4, 20, v30
	v_bfi_b32 v31, v31, 0, v2
	v_lshlrev_b64 v[33:34], v4, 1
	v_lshrrev_b64 v[2:3], v30, v[2:3]
	v_bfi_b32 v32, v32, 0, 0
	v_cmp_eq_u64_e64 s[22:23], v[31:32], v[33:34]
	v_mov_b32_e32 v4, v3
	v_mov_b32_e32 v3, v2
	s_and_saveexec_b64 s[30:31], s[22:23]
; %bb.2622:                             ;   in Loop: Header=BB6_2438 Depth=2
	v_bfe_u32 v3, v2, 21, 1
	v_add_co_u32_e64 v3, s[22:23], v2, v3
	v_add_co_u32_e64 v3, s[22:23], -1, v3
; %bb.2623:                             ;   in Loop: Header=BB6_2438 Depth=2
	s_or_b64 exec, exec, s[30:31]
	v_add_u32_e32 v4, 0xffffff81, v29
	v_mov_b32_e32 v27, 0xffffff82
	v_cndmask_b32_e64 v4, v4, v27, s[20:21]
	v_lshrrev_b32_e32 v27, 23, v2
	v_add3_u32 v30, v30, v4, v27
	v_add_u32_e32 v29, 14, v30
	v_and_b32_e32 v3, 0x1fffff, v3
	v_add_u32_e32 v27, v3, v2
	v_cmp_ne_u32_e64 s[20:21], 0, v29
                                        ; implicit-def: $vgpr2_vgpr3
                                        ; implicit-def: $vgpr4
	s_and_saveexec_b64 s[22:23], s[20:21]
	s_xor_b64 s[22:23], exec, s[22:23]
; %bb.2624:                             ;   in Loop: Header=BB6_2438 Depth=2
	v_cmp_lt_u64_e64 s[20:21], s[72:73], v[27:28]
	v_add_u32_e32 v2, 15, v30
	v_cndmask_b32_e64 v4, v29, v2, s[20:21]
	v_cndmask_b32_e64 v2, 0, 1, s[20:21]
	v_lshrrev_b64 v[2:3], v2, v[27:28]
; %bb.2625:                             ;   in Loop: Header=BB6_2438 Depth=2
	s_andn2_saveexec_b64 s[20:21], s[22:23]
; %bb.2626:                             ;   in Loop: Header=BB6_2438 Depth=2
	v_mov_b32_e32 v2, v27
	v_mov_b32_e32 v3, v28
	v_bfe_u32 v4, v27, 23, 1
; %bb.2627:                             ;   in Loop: Header=BB6_2438 Depth=2
	s_or_b64 exec, exec, s[20:21]
	v_lshrrev_b64 v[2:3], 21, v[2:3]
	v_cmp_gt_i32_e64 s[20:21], 32, v4
	v_cndmask_b32_e64 v3, 0, v3, s[20:21]
	v_cndmask_b32_e64 v2, 3, v2, s[20:21]
	v_cmp_eq_u64_e64 s[22:23], 0, v[2:3]
	v_min_i32_e32 v3, 31, v4
	v_lshlrev_b32_e32 v3, 2, v3
	v_cmp_eq_u32_e64 s[20:21], 0, v4
	v_and_b32_e32 v3, 0xfc, v3
	v_and_or_b32 v2, v2, 3, v3
	s_and_b64 s[20:21], s[20:21], s[22:23]
	v_cndmask_b32_e64 v2, v2, 0, s[20:21]
	v_or_b32_e32 v29, v2, v5
.LBB6_2628:                             ;   in Loop: Header=BB6_2438 Depth=2
	s_or_b64 exec, exec, s[94:95]
                                        ; implicit-def: $vgpr5
.LBB6_2629:                             ;   in Loop: Header=BB6_2438 Depth=2
	s_andn2_saveexec_b64 s[20:21], s[92:93]
; %bb.2630:                             ;   in Loop: Header=BB6_2438 Depth=2
	v_or_b32_e32 v29, 0x7b, v5
; %bb.2631:                             ;   in Loop: Header=BB6_2438 Depth=2
	s_or_b64 exec, exec, s[20:21]
                                        ; implicit-def: $vgpr2
.LBB6_2632:                             ;   in Loop: Header=BB6_2438 Depth=2
	s_andn2_saveexec_b64 s[22:23], s[24:25]
	s_cbranch_execz .LBB6_2638
; %bb.2633:                             ;   in Loop: Header=BB6_2438 Depth=2
	v_cmp_ne_u64_e64 s[20:21], 0, v[27:28]
                                        ; implicit-def: $vgpr29
	s_and_saveexec_b64 s[24:25], s[20:21]
	s_xor_b64 s[20:21], exec, s[24:25]
; %bb.2634:                             ;   in Loop: Header=BB6_2438 Depth=2
	v_or_b32_sdwa v29, v2, s65 dst_sel:DWORD dst_unused:UNUSED_PAD src0_sel:BYTE_3 src1_sel:DWORD
                                        ; implicit-def: $vgpr2
; %bb.2635:                             ;   in Loop: Header=BB6_2438 Depth=2
	s_andn2_saveexec_b64 s[24:25], s[20:21]
; %bb.2636:                             ;   in Loop: Header=BB6_2438 Depth=2
	v_cmp_lt_i32_e64 s[20:21], -1, v2
	v_bfrev_b32_e32 v2, 0.5
	v_mov_b32_e32 v3, 0x7c
	v_cndmask_b32_e64 v29, v2, v3, s[20:21]
; %bb.2637:                             ;   in Loop: Header=BB6_2438 Depth=2
	s_or_b64 exec, exec, s[24:25]
.LBB6_2638:                             ;   in Loop: Header=BB6_2438 Depth=2
	s_or_b64 exec, exec, s[22:23]
	v_lshrrev_b32_e32 v2, 16, v15
	v_cmp_ne_u16_sdwa s[20:21], v2, v28 src0_sel:BYTE_0 src1_sel:DWORD
	v_mov_b32_e32 v3, 0
	s_and_saveexec_b64 s[22:23], s[20:21]
	s_cbranch_execz .LBB6_2646
; %bb.2639:                             ;   in Loop: Header=BB6_2438 Depth=2
	v_cmp_ne_u16_sdwa s[20:21], v2, s55 src0_sel:BYTE_0 src1_sel:DWORD
	v_bfrev_b32_e32 v3, 1
	s_and_saveexec_b64 s[24:25], s[20:21]
	s_cbranch_execz .LBB6_2645
; %bb.2640:                             ;   in Loop: Header=BB6_2438 Depth=2
	v_and_b32_e32 v3, 0x7c0000, v15
	v_bfe_u32 v4, v15, 16, 2
	v_cmp_ne_u32_e64 s[20:21], s66, v3
                                        ; implicit-def: $vgpr3
	s_and_saveexec_b64 s[92:93], s[20:21]
	s_xor_b64 s[92:93], exec, s[92:93]
	s_cbranch_execz .LBB6_2642
; %bb.2641:                             ;   in Loop: Header=BB6_2438 Depth=2
	v_ffbh_u32_e32 v3, v4
	v_min_u32_e32 v27, 32, v3
	v_subrev_u32_e32 v3, 29, v27
	v_lshlrev_b64 v[2:3], v3, v[2:3]
	v_bfe_u32 v5, v15, 18, 5
	v_and_b32_e32 v2, 3, v2
	v_cmp_eq_u32_e64 s[20:21], 0, v5
	v_sub_u32_e32 v3, 30, v27
	v_cndmask_b32_e64 v2, v4, v2, s[20:21]
	v_lshlrev_b32_e32 v4, 8, v15
	v_cndmask_b32_e64 v3, v5, v3, s[20:21]
	v_and_b32_e32 v4, 0x80000000, v4
	v_lshl_add_u32 v3, v3, 23, v4
	v_lshl_or_b32 v2, v2, 21, v3
	v_add_u32_e32 v3, 0x38000000, v2
                                        ; implicit-def: $vgpr4
                                        ; implicit-def: $vgpr2
.LBB6_2642:                             ;   in Loop: Header=BB6_2438 Depth=2
	s_andn2_saveexec_b64 s[92:93], s[92:93]
; %bb.2643:                             ;   in Loop: Header=BB6_2438 Depth=2
	v_mov_b32_e32 v3, -1
	v_cmp_gt_i16_sdwa s[20:21], sext(v2), v3 src0_sel:BYTE_0 src1_sel:DWORD
	v_mov_b32_e32 v2, 0xff800000
	v_mov_b32_e32 v3, 0x7f800000
	v_cndmask_b32_e64 v2, v2, v3, s[20:21]
	v_cmp_eq_u32_e64 s[20:21], 0, v4
	v_mov_b32_e32 v3, 0x7f800001
	v_cndmask_b32_e64 v3, v3, v2, s[20:21]
; %bb.2644:                             ;   in Loop: Header=BB6_2438 Depth=2
	s_or_b64 exec, exec, s[92:93]
.LBB6_2645:                             ;   in Loop: Header=BB6_2438 Depth=2
	s_or_b64 exec, exec, s[24:25]
.LBB6_2646:                             ;   in Loop: Header=BB6_2438 Depth=2
	s_or_b64 exec, exec, s[22:23]
	v_lshrrev_b32_e32 v2, 16, v11
	v_cmp_gt_i16_sdwa s[22:23], v2, s65 src0_sel:BYTE_0 src1_sel:DWORD
	s_mov_b64 s[20:21], 0
	s_and_saveexec_b64 s[24:25], s[22:23]
	s_xor_b64 s[22:23], exec, s[24:25]
	s_cbranch_execz .LBB6_2969
; %bb.2647:                             ;   in Loop: Header=BB6_2438 Depth=2
	v_cmp_eq_u16_sdwa s[92:93], v2, s55 src0_sel:BYTE_0 src1_sel:DWORD
	s_mov_b64 s[20:21], -1
	s_and_saveexec_b64 s[24:25], s[92:93]
; %bb.2648:                             ;   in Loop: Header=BB6_2438 Depth=2
	s_xor_b64 s[20:21], exec, -1
; %bb.2649:                             ;   in Loop: Header=BB6_2438 Depth=2
	s_or_b64 exec, exec, s[24:25]
	s_and_b64 s[20:21], s[20:21], exec
	s_or_saveexec_b64 s[22:23], s[22:23]
	v_bfrev_b32_e32 v4, 1
	s_xor_b64 exec, exec, s[22:23]
	s_cbranch_execnz .LBB6_2970
.LBB6_2650:                             ;   in Loop: Header=BB6_2438 Depth=2
	s_or_b64 exec, exec, s[22:23]
	s_and_saveexec_b64 s[92:93], s[20:21]
	s_cbranch_execz .LBB6_2652
.LBB6_2651:                             ;   in Loop: Header=BB6_2438 Depth=2
	v_and_b32_e32 v27, 3, v2
	v_and_b32_e32 v4, 0x7c0000, v11
	v_cmp_eq_u32_e64 s[20:21], s66, v4
	v_ffbh_u32_e32 v4, v27
	v_min_u32_e32 v31, 32, v4
	v_subrev_u32_e32 v4, 29, v31
	v_bfe_u32 v30, v11, 18, 5
	v_lshlrev_b64 v[4:5], v4, v[2:3]
	v_cmp_eq_u32_e64 s[22:23], 0, v30
	v_sub_u32_e32 v5, 30, v31
	v_cndmask_b32_e64 v5, v30, v5, s[22:23]
	v_lshlrev_b32_e32 v30, 24, v2
	v_and_b32_e32 v4, 3, v4
	v_and_b32_e32 v30, 0x80000000, v30
	v_cndmask_b32_e64 v4, v27, v4, s[22:23]
	v_lshl_add_u32 v5, v5, 23, v30
	v_lshl_or_b32 v4, v4, 21, v5
	v_mov_b32_e32 v5, -1
	v_cmp_gt_i16_sdwa s[24:25], sext(v2), v5 src0_sel:BYTE_0 src1_sel:DWORD
	v_mov_b32_e32 v2, 0xff800000
	v_mov_b32_e32 v5, 0x7f800000
	v_cmp_eq_u32_e64 s[22:23], 0, v27
	v_cndmask_b32_e64 v2, v2, v5, s[24:25]
	v_mov_b32_e32 v5, 0x7f800001
	v_add_u32_e32 v4, 0x38000000, v4
	v_cndmask_b32_e64 v2, v5, v2, s[22:23]
	v_cndmask_b32_e64 v4, v4, v2, s[20:21]
.LBB6_2652:                             ;   in Loop: Header=BB6_2438 Depth=2
	s_or_b64 exec, exec, s[92:93]
	v_mul_f32_e32 v2, v3, v4
	v_and_b32_e32 v3, 0x7f800000, v2
	v_mov_b32_e32 v4, v28
	v_cmp_ne_u64_e64 s[20:21], s[60:61], v[3:4]
	v_and_b32_e32 v27, 0x7fffff, v2
                                        ; implicit-def: $vgpr30
	s_and_saveexec_b64 s[22:23], s[20:21]
	s_xor_b64 s[24:25], exec, s[22:23]
	s_cbranch_execz .LBB6_2666
; %bb.2653:                             ;   in Loop: Header=BB6_2438 Depth=2
	v_and_b32_e32 v3, 0x7fffffff, v2
	v_mov_b32_e32 v4, v28
	v_cmp_gt_u64_e64 s[20:21], s[62:63], v[3:4]
	v_and_b32_sdwa v5, v2, s55 dst_sel:DWORD dst_unused:UNUSED_PAD src0_sel:BYTE_3 src1_sel:DWORD
                                        ; implicit-def: $vgpr30
	s_and_saveexec_b64 s[22:23], s[20:21]
	s_xor_b64 s[92:93], exec, s[22:23]
	s_cbranch_execz .LBB6_2663
; %bb.2654:                             ;   in Loop: Header=BB6_2438 Depth=2
	v_mov_b32_e32 v30, 0
	v_cmp_ne_u32_e64 s[20:21], 0, v2
	s_and_saveexec_b64 s[94:95], s[20:21]
	s_cbranch_execz .LBB6_2662
; %bb.2655:                             ;   in Loop: Header=BB6_2438 Depth=2
	v_bfe_u32 v30, v2, 23, 8
	v_cmp_gt_u32_e64 s[22:23], s64, v30
	v_sub_u32_e32 v2, 0x71, v30
	v_cmp_eq_u32_e64 s[20:21], 0, v30
	v_cndmask_b32_e64 v2, 0, v2, s[22:23]
	v_mov_b32_e32 v4, 0x70
	v_cndmask_b32_e64 v31, v2, v4, s[20:21]
	v_add_u32_e32 v4, 21, v31
	v_or_b32_e32 v3, 0x800000, v27
	v_lshlrev_b64 v[32:33], v4, -1
	v_cndmask_b32_e64 v2, v3, v27, s[20:21]
	v_mov_b32_e32 v3, v28
	v_add_u32_e32 v4, 20, v31
	v_bfi_b32 v32, v32, 0, v2
	v_lshlrev_b64 v[34:35], v4, 1
	v_lshrrev_b64 v[2:3], v31, v[2:3]
	v_bfi_b32 v33, v33, 0, 0
	v_cmp_eq_u64_e64 s[22:23], v[32:33], v[34:35]
	v_mov_b32_e32 v4, v3
	v_mov_b32_e32 v3, v2
	s_and_saveexec_b64 s[30:31], s[22:23]
; %bb.2656:                             ;   in Loop: Header=BB6_2438 Depth=2
	v_bfe_u32 v3, v2, 21, 1
	v_add_co_u32_e64 v3, s[22:23], v2, v3
	v_add_co_u32_e64 v3, s[22:23], -1, v3
; %bb.2657:                             ;   in Loop: Header=BB6_2438 Depth=2
	s_or_b64 exec, exec, s[30:31]
	v_add_u32_e32 v4, 0xffffff81, v30
	v_mov_b32_e32 v27, 0xffffff82
	v_cndmask_b32_e64 v4, v4, v27, s[20:21]
	v_lshrrev_b32_e32 v27, 23, v2
	v_add3_u32 v31, v31, v4, v27
	v_add_u32_e32 v30, 14, v31
	v_and_b32_e32 v3, 0x1fffff, v3
	v_add_u32_e32 v27, v3, v2
	v_cmp_ne_u32_e64 s[20:21], 0, v30
                                        ; implicit-def: $vgpr2_vgpr3
                                        ; implicit-def: $vgpr4
	s_and_saveexec_b64 s[22:23], s[20:21]
	s_xor_b64 s[22:23], exec, s[22:23]
; %bb.2658:                             ;   in Loop: Header=BB6_2438 Depth=2
	v_cmp_lt_u64_e64 s[20:21], s[72:73], v[27:28]
	v_add_u32_e32 v2, 15, v31
	v_cndmask_b32_e64 v4, v30, v2, s[20:21]
	v_cndmask_b32_e64 v2, 0, 1, s[20:21]
	v_lshrrev_b64 v[2:3], v2, v[27:28]
; %bb.2659:                             ;   in Loop: Header=BB6_2438 Depth=2
	s_andn2_saveexec_b64 s[20:21], s[22:23]
; %bb.2660:                             ;   in Loop: Header=BB6_2438 Depth=2
	v_mov_b32_e32 v2, v27
	v_mov_b32_e32 v3, v28
	v_bfe_u32 v4, v27, 23, 1
; %bb.2661:                             ;   in Loop: Header=BB6_2438 Depth=2
	s_or_b64 exec, exec, s[20:21]
	v_lshrrev_b64 v[2:3], 21, v[2:3]
	v_cmp_gt_i32_e64 s[20:21], 32, v4
	v_cndmask_b32_e64 v3, 0, v3, s[20:21]
	v_cndmask_b32_e64 v2, 3, v2, s[20:21]
	v_cmp_eq_u64_e64 s[22:23], 0, v[2:3]
	v_min_i32_e32 v3, 31, v4
	v_lshlrev_b32_e32 v3, 2, v3
	v_cmp_eq_u32_e64 s[20:21], 0, v4
	v_and_b32_e32 v3, 0xfc, v3
	v_and_or_b32 v2, v2, 3, v3
	s_and_b64 s[20:21], s[20:21], s[22:23]
	v_cndmask_b32_e64 v2, v2, 0, s[20:21]
	v_or_b32_e32 v30, v2, v5
.LBB6_2662:                             ;   in Loop: Header=BB6_2438 Depth=2
	s_or_b64 exec, exec, s[94:95]
                                        ; implicit-def: $vgpr5
.LBB6_2663:                             ;   in Loop: Header=BB6_2438 Depth=2
	s_andn2_saveexec_b64 s[20:21], s[92:93]
; %bb.2664:                             ;   in Loop: Header=BB6_2438 Depth=2
	v_or_b32_e32 v30, 0x7b, v5
; %bb.2665:                             ;   in Loop: Header=BB6_2438 Depth=2
	s_or_b64 exec, exec, s[20:21]
                                        ; implicit-def: $vgpr2
.LBB6_2666:                             ;   in Loop: Header=BB6_2438 Depth=2
	s_andn2_saveexec_b64 s[22:23], s[24:25]
	s_cbranch_execz .LBB6_2672
; %bb.2667:                             ;   in Loop: Header=BB6_2438 Depth=2
	v_cmp_ne_u64_e64 s[20:21], 0, v[27:28]
                                        ; implicit-def: $vgpr30
	s_and_saveexec_b64 s[24:25], s[20:21]
	s_xor_b64 s[20:21], exec, s[24:25]
; %bb.2668:                             ;   in Loop: Header=BB6_2438 Depth=2
	v_or_b32_sdwa v30, v2, s65 dst_sel:DWORD dst_unused:UNUSED_PAD src0_sel:BYTE_3 src1_sel:DWORD
                                        ; implicit-def: $vgpr2
; %bb.2669:                             ;   in Loop: Header=BB6_2438 Depth=2
	s_andn2_saveexec_b64 s[24:25], s[20:21]
; %bb.2670:                             ;   in Loop: Header=BB6_2438 Depth=2
	v_cmp_lt_i32_e64 s[20:21], -1, v2
	v_bfrev_b32_e32 v2, 0.5
	v_mov_b32_e32 v3, 0x7c
	v_cndmask_b32_e64 v30, v2, v3, s[20:21]
; %bb.2671:                             ;   in Loop: Header=BB6_2438 Depth=2
	s_or_b64 exec, exec, s[24:25]
.LBB6_2672:                             ;   in Loop: Header=BB6_2438 Depth=2
	s_or_b64 exec, exec, s[22:23]
	v_cmp_lt_u64_e64 s[20:21], s[58:59], v[14:15]
	v_mov_b32_e32 v3, 0
	s_and_saveexec_b64 s[22:23], s[20:21]
	s_cbranch_execz .LBB6_2680
; %bb.2673:                             ;   in Loop: Header=BB6_2438 Depth=2
	v_lshrrev_b32_e32 v2, 24, v15
	v_cmp_ne_u32_e64 s[20:21], s55, v2
	v_bfrev_b32_e32 v3, 1
	s_and_saveexec_b64 s[24:25], s[20:21]
	s_cbranch_execz .LBB6_2679
; %bb.2674:                             ;   in Loop: Header=BB6_2438 Depth=2
	v_and_b32_e32 v3, 0x7c000000, v15
	v_bfe_u32 v4, v15, 24, 2
	v_cmp_ne_u32_e64 s[20:21], s67, v3
                                        ; implicit-def: $vgpr3
	s_and_saveexec_b64 s[92:93], s[20:21]
	s_xor_b64 s[92:93], exec, s[92:93]
	s_cbranch_execz .LBB6_2676
; %bb.2675:                             ;   in Loop: Header=BB6_2438 Depth=2
	v_ffbh_u32_e32 v3, v4
	v_min_u32_e32 v27, 32, v3
	v_subrev_u32_e32 v3, 29, v27
	v_lshlrev_b64 v[2:3], v3, v[2:3]
	v_bfe_u32 v5, v15, 26, 5
	v_sub_u32_e32 v3, 30, v27
	v_and_b32_e32 v2, 3, v2
	v_cmp_eq_u32_e64 s[20:21], 0, v5
	v_cndmask_b32_e64 v3, v5, v3, s[20:21]
	v_cndmask_b32_e64 v2, v4, v2, s[20:21]
	v_and_b32_e32 v4, 0x80000000, v15
	v_lshl_add_u32 v3, v3, 23, v4
	v_lshl_or_b32 v2, v2, 21, v3
	v_add_u32_e32 v3, 0x38000000, v2
                                        ; implicit-def: $vgpr4
.LBB6_2676:                             ;   in Loop: Header=BB6_2438 Depth=2
	s_andn2_saveexec_b64 s[92:93], s[92:93]
; %bb.2677:                             ;   in Loop: Header=BB6_2438 Depth=2
	v_cmp_lt_i64_e64 s[20:21], -1, v[14:15]
	v_mov_b32_e32 v2, 0xff800000
	v_mov_b32_e32 v3, 0x7f800000
	v_cndmask_b32_e64 v2, v2, v3, s[20:21]
	v_cmp_eq_u32_e64 s[20:21], 0, v4
	v_mov_b32_e32 v3, 0x7f800001
	v_cndmask_b32_e64 v3, v3, v2, s[20:21]
; %bb.2678:                             ;   in Loop: Header=BB6_2438 Depth=2
	s_or_b64 exec, exec, s[92:93]
.LBB6_2679:                             ;   in Loop: Header=BB6_2438 Depth=2
	s_or_b64 exec, exec, s[24:25]
.LBB6_2680:                             ;   in Loop: Header=BB6_2438 Depth=2
	s_or_b64 exec, exec, s[22:23]
	v_bfe_u32 v14, v11, 24, 2
	v_and_b32_e32 v4, 0x7c000000, v11
	v_cmp_eq_u32_e64 s[20:21], s67, v4
	v_ffbh_u32_e32 v4, v14
	v_min_u32_e32 v27, 32, v4
	v_lshrrev_b32_e32 v2, 24, v11
	v_subrev_u32_e32 v4, 29, v27
	v_bfe_u32 v15, v11, 26, 5
	v_lshlrev_b64 v[4:5], v4, v[2:3]
	v_cmp_eq_u32_e64 s[22:23], 0, v15
	v_sub_u32_e32 v5, 30, v27
	v_and_b32_e32 v4, 3, v4
	v_cndmask_b32_e64 v5, v15, v5, s[22:23]
	v_and_b32_e32 v15, 0x80000000, v11
	v_cndmask_b32_e64 v4, v14, v4, s[22:23]
	v_lshl_add_u32 v5, v5, 23, v15
	v_cmp_lt_i64_e64 s[24:25], -1, v[10:11]
	v_lshl_or_b32 v4, v4, 21, v5
	v_cmp_eq_u32_e64 s[22:23], 0, v14
	v_mov_b32_e32 v5, 0xff800000
	v_mov_b32_e32 v14, 0x7f800000
	v_cndmask_b32_e64 v5, v5, v14, s[24:25]
	v_mov_b32_e32 v14, 0x7f800001
	v_add_u32_e32 v4, 0x38000000, v4
	v_cndmask_b32_e64 v5, v14, v5, s[22:23]
	v_cndmask_b32_e64 v4, v4, v5, s[20:21]
	v_cmp_ne_u32_e64 s[20:21], s55, v2
	v_bfrev_b32_e32 v2, 1
	v_cndmask_b32_e64 v2, v2, v4, s[20:21]
	v_cmp_lt_u64_e64 s[20:21], s[58:59], v[10:11]
	v_mov_b32_e32 v4, v28
	v_cndmask_b32_e64 v2, 0, v2, s[20:21]
	v_mul_f32_e32 v2, v2, v3
	v_and_b32_e32 v3, 0x7f800000, v2
	v_cmp_ne_u64_e64 s[20:21], s[60:61], v[3:4]
	v_and_b32_e32 v27, 0x7fffff, v2
                                        ; implicit-def: $vgpr10
	s_and_saveexec_b64 s[22:23], s[20:21]
	s_xor_b64 s[24:25], exec, s[22:23]
	s_cbranch_execz .LBB6_2694
; %bb.2681:                             ;   in Loop: Header=BB6_2438 Depth=2
	v_and_b32_e32 v3, 0x7fffffff, v2
	v_mov_b32_e32 v4, v28
	v_cmp_gt_u64_e64 s[20:21], s[62:63], v[3:4]
	v_and_b32_sdwa v5, v2, s55 dst_sel:DWORD dst_unused:UNUSED_PAD src0_sel:BYTE_3 src1_sel:DWORD
                                        ; implicit-def: $vgpr10
	s_and_saveexec_b64 s[22:23], s[20:21]
	s_xor_b64 s[92:93], exec, s[22:23]
	s_cbranch_execz .LBB6_2691
; %bb.2682:                             ;   in Loop: Header=BB6_2438 Depth=2
	v_mov_b32_e32 v10, 0
	v_cmp_ne_u32_e64 s[20:21], 0, v2
	s_and_saveexec_b64 s[94:95], s[20:21]
	s_cbranch_execz .LBB6_2690
; %bb.2683:                             ;   in Loop: Header=BB6_2438 Depth=2
	v_bfe_u32 v10, v2, 23, 8
	v_cmp_gt_u32_e64 s[22:23], s64, v10
	v_sub_u32_e32 v2, 0x71, v10
	v_cmp_eq_u32_e64 s[20:21], 0, v10
	v_cndmask_b32_e64 v2, 0, v2, s[22:23]
	v_mov_b32_e32 v4, 0x70
	v_cndmask_b32_e64 v11, v2, v4, s[20:21]
	v_add_u32_e32 v4, 21, v11
	v_or_b32_e32 v3, 0x800000, v27
	v_lshlrev_b64 v[14:15], v4, -1
	v_cndmask_b32_e64 v2, v3, v27, s[20:21]
	v_mov_b32_e32 v3, v28
	v_add_u32_e32 v4, 20, v11
	v_bfi_b32 v14, v14, 0, v2
	v_lshlrev_b64 v[31:32], v4, 1
	v_lshrrev_b64 v[2:3], v11, v[2:3]
	v_bfi_b32 v15, v15, 0, 0
	v_cmp_eq_u64_e64 s[22:23], v[14:15], v[31:32]
	v_mov_b32_e32 v4, v3
	v_mov_b32_e32 v3, v2
	s_and_saveexec_b64 s[30:31], s[22:23]
; %bb.2684:                             ;   in Loop: Header=BB6_2438 Depth=2
	v_bfe_u32 v3, v2, 21, 1
	v_add_co_u32_e64 v3, s[22:23], v2, v3
	v_add_co_u32_e64 v3, s[22:23], -1, v3
; %bb.2685:                             ;   in Loop: Header=BB6_2438 Depth=2
	s_or_b64 exec, exec, s[30:31]
	v_add_u32_e32 v4, 0xffffff81, v10
	v_mov_b32_e32 v10, 0xffffff82
	v_cndmask_b32_e64 v4, v4, v10, s[20:21]
	v_lshrrev_b32_e32 v10, 23, v2
	v_add3_u32 v11, v11, v4, v10
	v_add_u32_e32 v10, 14, v11
	v_and_b32_e32 v3, 0x1fffff, v3
	v_add_u32_e32 v27, v3, v2
	v_cmp_ne_u32_e64 s[20:21], 0, v10
                                        ; implicit-def: $vgpr2_vgpr3
                                        ; implicit-def: $vgpr4
	s_and_saveexec_b64 s[22:23], s[20:21]
	s_xor_b64 s[22:23], exec, s[22:23]
; %bb.2686:                             ;   in Loop: Header=BB6_2438 Depth=2
	v_cmp_lt_u64_e64 s[20:21], s[72:73], v[27:28]
	v_add_u32_e32 v2, 15, v11
	v_cndmask_b32_e64 v4, v10, v2, s[20:21]
	v_cndmask_b32_e64 v2, 0, 1, s[20:21]
	v_lshrrev_b64 v[2:3], v2, v[27:28]
; %bb.2687:                             ;   in Loop: Header=BB6_2438 Depth=2
	s_andn2_saveexec_b64 s[20:21], s[22:23]
; %bb.2688:                             ;   in Loop: Header=BB6_2438 Depth=2
	v_mov_b32_e32 v2, v27
	v_mov_b32_e32 v3, v28
	v_bfe_u32 v4, v27, 23, 1
; %bb.2689:                             ;   in Loop: Header=BB6_2438 Depth=2
	s_or_b64 exec, exec, s[20:21]
	v_lshrrev_b64 v[2:3], 21, v[2:3]
	v_cmp_gt_i32_e64 s[20:21], 32, v4
	v_cndmask_b32_e64 v3, 0, v3, s[20:21]
	v_cndmask_b32_e64 v2, 3, v2, s[20:21]
	v_cmp_eq_u64_e64 s[22:23], 0, v[2:3]
	v_min_i32_e32 v3, 31, v4
	v_lshlrev_b32_e32 v3, 2, v3
	v_cmp_eq_u32_e64 s[20:21], 0, v4
	v_and_b32_e32 v3, 0xfc, v3
	v_and_or_b32 v2, v2, 3, v3
	s_and_b64 s[20:21], s[20:21], s[22:23]
	v_cndmask_b32_e64 v2, v2, 0, s[20:21]
	v_or_b32_e32 v10, v2, v5
.LBB6_2690:                             ;   in Loop: Header=BB6_2438 Depth=2
	s_or_b64 exec, exec, s[94:95]
                                        ; implicit-def: $vgpr5
.LBB6_2691:                             ;   in Loop: Header=BB6_2438 Depth=2
	s_andn2_saveexec_b64 s[20:21], s[92:93]
; %bb.2692:                             ;   in Loop: Header=BB6_2438 Depth=2
	v_or_b32_e32 v10, 0x7b, v5
; %bb.2693:                             ;   in Loop: Header=BB6_2438 Depth=2
	s_or_b64 exec, exec, s[20:21]
                                        ; implicit-def: $vgpr2
.LBB6_2694:                             ;   in Loop: Header=BB6_2438 Depth=2
	s_andn2_saveexec_b64 s[22:23], s[24:25]
	s_cbranch_execz .LBB6_2700
; %bb.2695:                             ;   in Loop: Header=BB6_2438 Depth=2
	v_cmp_ne_u64_e64 s[20:21], 0, v[27:28]
                                        ; implicit-def: $vgpr10
	s_and_saveexec_b64 s[24:25], s[20:21]
	s_xor_b64 s[20:21], exec, s[24:25]
; %bb.2696:                             ;   in Loop: Header=BB6_2438 Depth=2
	v_or_b32_sdwa v10, v2, s65 dst_sel:DWORD dst_unused:UNUSED_PAD src0_sel:BYTE_3 src1_sel:DWORD
                                        ; implicit-def: $vgpr2
; %bb.2697:                             ;   in Loop: Header=BB6_2438 Depth=2
	s_andn2_saveexec_b64 s[24:25], s[20:21]
; %bb.2698:                             ;   in Loop: Header=BB6_2438 Depth=2
	v_cmp_lt_i32_e64 s[20:21], -1, v2
	v_bfrev_b32_e32 v2, 0.5
	v_mov_b32_e32 v3, 0x7c
	v_cndmask_b32_e64 v10, v2, v3, s[20:21]
; %bb.2699:                             ;   in Loop: Header=BB6_2438 Depth=2
	s_or_b64 exec, exec, s[24:25]
.LBB6_2700:                             ;   in Loop: Header=BB6_2438 Depth=2
	s_or_b64 exec, exec, s[22:23]
	v_cmp_ne_u16_sdwa s[20:21], v16, v28 src0_sel:BYTE_0 src1_sel:DWORD
	v_mov_b32_e32 v2, 0
	s_and_saveexec_b64 s[22:23], s[20:21]
	s_cbranch_execz .LBB6_2708
; %bb.2701:                             ;   in Loop: Header=BB6_2438 Depth=2
	v_cmp_ne_u16_sdwa s[20:21], sext(v16), s52 src0_sel:BYTE_0 src1_sel:DWORD
	v_bfrev_b32_e32 v2, 1
	s_and_saveexec_b64 s[24:25], s[20:21]
	s_cbranch_execz .LBB6_2707
; %bb.2702:                             ;   in Loop: Header=BB6_2438 Depth=2
	v_and_b32_e32 v2, 0x7c, v16
	v_and_b32_e32 v3, 3, v16
	v_cmp_ne_u32_e64 s[20:21], s53, v2
                                        ; implicit-def: $vgpr2
	s_and_saveexec_b64 s[92:93], s[20:21]
	s_xor_b64 s[92:93], exec, s[92:93]
	s_cbranch_execz .LBB6_2704
; %bb.2703:                             ;   in Loop: Header=BB6_2438 Depth=2
	v_ffbh_u32_e32 v4, v3
	v_min_u32_e32 v11, 32, v4
	v_subrev_u32_e32 v4, 29, v11
	v_lshlrev_b64 v[4:5], v4, v[16:17]
	v_bfe_u32 v2, v16, 2, 5
	v_and_b32_e32 v4, 3, v4
	v_cmp_eq_u32_e64 s[20:21], 0, v2
	v_sub_u32_e32 v5, 30, v11
	v_cndmask_b32_e64 v3, v3, v4, s[20:21]
	v_lshlrev_b32_e32 v4, 24, v16
	v_cndmask_b32_e64 v2, v2, v5, s[20:21]
	v_and_b32_e32 v4, 0x80000000, v4
	v_lshl_add_u32 v2, v2, 23, v4
	v_lshl_or_b32 v2, v3, 21, v2
	v_add_u32_e32 v2, 0x38000000, v2
                                        ; implicit-def: $vgpr3
.LBB6_2704:                             ;   in Loop: Header=BB6_2438 Depth=2
	s_andn2_saveexec_b64 s[92:93], s[92:93]
; %bb.2705:                             ;   in Loop: Header=BB6_2438 Depth=2
	v_mov_b32_e32 v2, -1
	v_cmp_gt_i16_sdwa s[20:21], sext(v16), v2 src0_sel:BYTE_0 src1_sel:DWORD
	v_mov_b32_e32 v2, 0xff800000
	v_mov_b32_e32 v4, 0x7f800000
	v_cndmask_b32_e64 v2, v2, v4, s[20:21]
	v_cmp_eq_u32_e64 s[20:21], 0, v3
	v_mov_b32_e32 v3, 0x7f800001
	v_cndmask_b32_e64 v2, v3, v2, s[20:21]
; %bb.2706:                             ;   in Loop: Header=BB6_2438 Depth=2
	s_or_b64 exec, exec, s[92:93]
.LBB6_2707:                             ;   in Loop: Header=BB6_2438 Depth=2
	s_or_b64 exec, exec, s[24:25]
.LBB6_2708:                             ;   in Loop: Header=BB6_2438 Depth=2
	s_or_b64 exec, exec, s[22:23]
	v_cmp_gt_i16_sdwa s[22:23], v12, s65 src0_sel:BYTE_0 src1_sel:DWORD
	s_mov_b64 s[20:21], 0
	s_and_saveexec_b64 s[24:25], s[22:23]
	s_xor_b64 s[22:23], exec, s[24:25]
	s_cbranch_execz .LBB6_2971
; %bb.2709:                             ;   in Loop: Header=BB6_2438 Depth=2
	v_cmp_eq_u16_sdwa s[92:93], v12, s55 src0_sel:BYTE_0 src1_sel:DWORD
	s_mov_b64 s[20:21], -1
	s_and_saveexec_b64 s[24:25], s[92:93]
; %bb.2710:                             ;   in Loop: Header=BB6_2438 Depth=2
	s_xor_b64 s[20:21], exec, -1
; %bb.2711:                             ;   in Loop: Header=BB6_2438 Depth=2
	s_or_b64 exec, exec, s[24:25]
	s_and_b64 s[20:21], s[20:21], exec
	s_or_saveexec_b64 s[22:23], s[22:23]
	v_bfrev_b32_e32 v3, 1
	s_xor_b64 exec, exec, s[22:23]
	s_cbranch_execnz .LBB6_2972
.LBB6_2712:                             ;   in Loop: Header=BB6_2438 Depth=2
	s_or_b64 exec, exec, s[22:23]
	s_and_saveexec_b64 s[92:93], s[20:21]
	s_cbranch_execz .LBB6_2714
.LBB6_2713:                             ;   in Loop: Header=BB6_2438 Depth=2
	v_and_b32_e32 v5, 3, v12
	v_and_b32_e32 v3, 0x7c, v12
	v_cmp_eq_u32_e64 s[20:21], s53, v3
	v_ffbh_u32_e32 v3, v5
	v_min_u32_e32 v14, 32, v3
	v_subrev_u32_e32 v3, 29, v14
	v_bfe_u32 v11, v12, 2, 5
	v_lshlrev_b64 v[3:4], v3, v[12:13]
	v_cmp_eq_u32_e64 s[22:23], 0, v11
	v_sub_u32_e32 v4, 30, v14
	v_cndmask_b32_e64 v4, v11, v4, s[22:23]
	v_lshlrev_b32_e32 v11, 24, v12
	v_and_b32_e32 v3, 3, v3
	v_and_b32_e32 v11, 0x80000000, v11
	v_cndmask_b32_e64 v3, v5, v3, s[22:23]
	v_lshl_add_u32 v4, v4, 23, v11
	v_lshl_or_b32 v3, v3, 21, v4
	v_mov_b32_e32 v4, -1
	v_cmp_eq_u32_e64 s[22:23], 0, v5
	v_cmp_gt_i16_sdwa s[24:25], sext(v12), v4 src0_sel:BYTE_0 src1_sel:DWORD
	v_mov_b32_e32 v4, 0xff800000
	v_mov_b32_e32 v5, 0x7f800000
	v_cndmask_b32_e64 v4, v4, v5, s[24:25]
	v_mov_b32_e32 v5, 0x7f800001
	v_add_u32_e32 v3, 0x38000000, v3
	v_cndmask_b32_e64 v4, v5, v4, s[22:23]
	v_cndmask_b32_e64 v3, v3, v4, s[20:21]
.LBB6_2714:                             ;   in Loop: Header=BB6_2438 Depth=2
	s_or_b64 exec, exec, s[92:93]
	v_mul_f32_e32 v2, v2, v3
	v_and_b32_e32 v3, 0x7f800000, v2
	v_mov_b32_e32 v4, v28
	v_cmp_ne_u64_e64 s[20:21], s[60:61], v[3:4]
	v_and_b32_e32 v27, 0x7fffff, v2
                                        ; implicit-def: $vgpr11
	s_and_saveexec_b64 s[22:23], s[20:21]
	s_xor_b64 s[24:25], exec, s[22:23]
	s_cbranch_execz .LBB6_2728
; %bb.2715:                             ;   in Loop: Header=BB6_2438 Depth=2
	v_and_b32_e32 v3, 0x7fffffff, v2
	v_mov_b32_e32 v4, v28
	v_cmp_gt_u64_e64 s[20:21], s[62:63], v[3:4]
	v_and_b32_sdwa v5, v2, s55 dst_sel:DWORD dst_unused:UNUSED_PAD src0_sel:BYTE_3 src1_sel:DWORD
                                        ; implicit-def: $vgpr11
	s_and_saveexec_b64 s[22:23], s[20:21]
	s_xor_b64 s[92:93], exec, s[22:23]
	s_cbranch_execz .LBB6_2725
; %bb.2716:                             ;   in Loop: Header=BB6_2438 Depth=2
	v_mov_b32_e32 v11, 0
	v_cmp_ne_u32_e64 s[20:21], 0, v2
	s_and_saveexec_b64 s[94:95], s[20:21]
	s_cbranch_execz .LBB6_2724
; %bb.2717:                             ;   in Loop: Header=BB6_2438 Depth=2
	v_bfe_u32 v11, v2, 23, 8
	v_cmp_gt_u32_e64 s[22:23], s64, v11
	v_sub_u32_e32 v2, 0x71, v11
	v_cmp_eq_u32_e64 s[20:21], 0, v11
	v_cndmask_b32_e64 v2, 0, v2, s[22:23]
	v_mov_b32_e32 v4, 0x70
	v_cndmask_b32_e64 v14, v2, v4, s[20:21]
	v_add_u32_e32 v4, 21, v14
	v_or_b32_e32 v3, 0x800000, v27
	v_lshlrev_b64 v[31:32], v4, -1
	v_cndmask_b32_e64 v2, v3, v27, s[20:21]
	v_mov_b32_e32 v3, v28
	v_add_u32_e32 v4, 20, v14
	v_bfi_b32 v31, v31, 0, v2
	v_lshlrev_b64 v[33:34], v4, 1
	v_lshrrev_b64 v[2:3], v14, v[2:3]
	v_bfi_b32 v32, v32, 0, 0
	v_cmp_eq_u64_e64 s[22:23], v[31:32], v[33:34]
	v_mov_b32_e32 v4, v3
	v_mov_b32_e32 v3, v2
	s_and_saveexec_b64 s[30:31], s[22:23]
; %bb.2718:                             ;   in Loop: Header=BB6_2438 Depth=2
	v_bfe_u32 v3, v2, 21, 1
	v_add_co_u32_e64 v3, s[22:23], v2, v3
	v_add_co_u32_e64 v3, s[22:23], -1, v3
; %bb.2719:                             ;   in Loop: Header=BB6_2438 Depth=2
	s_or_b64 exec, exec, s[30:31]
	v_add_u32_e32 v4, 0xffffff81, v11
	v_mov_b32_e32 v11, 0xffffff82
	v_cndmask_b32_e64 v4, v4, v11, s[20:21]
	v_lshrrev_b32_e32 v11, 23, v2
	v_add3_u32 v14, v14, v4, v11
	v_add_u32_e32 v11, 14, v14
	v_and_b32_e32 v3, 0x1fffff, v3
	v_add_u32_e32 v27, v3, v2
	v_cmp_ne_u32_e64 s[20:21], 0, v11
                                        ; implicit-def: $vgpr2_vgpr3
                                        ; implicit-def: $vgpr4
	s_and_saveexec_b64 s[22:23], s[20:21]
	s_xor_b64 s[22:23], exec, s[22:23]
; %bb.2720:                             ;   in Loop: Header=BB6_2438 Depth=2
	v_cmp_lt_u64_e64 s[20:21], s[72:73], v[27:28]
	v_add_u32_e32 v2, 15, v14
	v_cndmask_b32_e64 v4, v11, v2, s[20:21]
	v_cndmask_b32_e64 v2, 0, 1, s[20:21]
	v_lshrrev_b64 v[2:3], v2, v[27:28]
; %bb.2721:                             ;   in Loop: Header=BB6_2438 Depth=2
	s_andn2_saveexec_b64 s[20:21], s[22:23]
; %bb.2722:                             ;   in Loop: Header=BB6_2438 Depth=2
	v_mov_b32_e32 v2, v27
	v_mov_b32_e32 v3, v28
	v_bfe_u32 v4, v27, 23, 1
; %bb.2723:                             ;   in Loop: Header=BB6_2438 Depth=2
	s_or_b64 exec, exec, s[20:21]
	v_lshrrev_b64 v[2:3], 21, v[2:3]
	v_cmp_gt_i32_e64 s[20:21], 32, v4
	v_cndmask_b32_e64 v3, 0, v3, s[20:21]
	v_cndmask_b32_e64 v2, 3, v2, s[20:21]
	v_cmp_eq_u64_e64 s[22:23], 0, v[2:3]
	v_min_i32_e32 v3, 31, v4
	v_lshlrev_b32_e32 v3, 2, v3
	v_cmp_eq_u32_e64 s[20:21], 0, v4
	v_and_b32_e32 v3, 0xfc, v3
	v_and_or_b32 v2, v2, 3, v3
	s_and_b64 s[20:21], s[20:21], s[22:23]
	v_cndmask_b32_e64 v2, v2, 0, s[20:21]
	v_or_b32_e32 v11, v2, v5
.LBB6_2724:                             ;   in Loop: Header=BB6_2438 Depth=2
	s_or_b64 exec, exec, s[94:95]
                                        ; implicit-def: $vgpr5
.LBB6_2725:                             ;   in Loop: Header=BB6_2438 Depth=2
	s_andn2_saveexec_b64 s[20:21], s[92:93]
; %bb.2726:                             ;   in Loop: Header=BB6_2438 Depth=2
	v_or_b32_e32 v11, 0x7b, v5
; %bb.2727:                             ;   in Loop: Header=BB6_2438 Depth=2
	s_or_b64 exec, exec, s[20:21]
                                        ; implicit-def: $vgpr2
.LBB6_2728:                             ;   in Loop: Header=BB6_2438 Depth=2
	s_andn2_saveexec_b64 s[22:23], s[24:25]
	s_cbranch_execz .LBB6_2734
; %bb.2729:                             ;   in Loop: Header=BB6_2438 Depth=2
	v_cmp_ne_u64_e64 s[20:21], 0, v[27:28]
                                        ; implicit-def: $vgpr11
	s_and_saveexec_b64 s[24:25], s[20:21]
	s_xor_b64 s[20:21], exec, s[24:25]
; %bb.2730:                             ;   in Loop: Header=BB6_2438 Depth=2
	v_or_b32_sdwa v11, v2, s65 dst_sel:DWORD dst_unused:UNUSED_PAD src0_sel:BYTE_3 src1_sel:DWORD
                                        ; implicit-def: $vgpr2
; %bb.2731:                             ;   in Loop: Header=BB6_2438 Depth=2
	s_andn2_saveexec_b64 s[24:25], s[20:21]
; %bb.2732:                             ;   in Loop: Header=BB6_2438 Depth=2
	v_cmp_lt_i32_e64 s[20:21], -1, v2
	v_bfrev_b32_e32 v2, 0.5
	v_mov_b32_e32 v3, 0x7c
	v_cndmask_b32_e64 v11, v2, v3, s[20:21]
; %bb.2733:                             ;   in Loop: Header=BB6_2438 Depth=2
	s_or_b64 exec, exec, s[24:25]
.LBB6_2734:                             ;   in Loop: Header=BB6_2438 Depth=2
	s_or_b64 exec, exec, s[22:23]
	v_lshrrev_b16_e32 v2, 8, v16
	v_cmp_ne_u16_e64 s[20:21], 0, v2
	v_mov_b32_e32 v4, 0
	s_and_saveexec_b64 s[22:23], s[20:21]
	s_cbranch_execz .LBB6_2742
; %bb.2735:                             ;   in Loop: Header=BB6_2438 Depth=2
	v_cmp_ne_u16_e64 s[20:21], s55, v2
	v_bfrev_b32_e32 v4, 1
	s_and_saveexec_b64 s[24:25], s[20:21]
	s_cbranch_execz .LBB6_2741
; %bb.2736:                             ;   in Loop: Header=BB6_2438 Depth=2
	v_and_b32_e32 v3, 0x7c, v2
	v_and_b32_e32 v5, 3, v2
	v_cmp_ne_u32_e64 s[20:21], s53, v3
                                        ; implicit-def: $vgpr4
	s_and_saveexec_b64 s[92:93], s[20:21]
	s_xor_b64 s[92:93], exec, s[92:93]
	s_cbranch_execz .LBB6_2738
; %bb.2737:                             ;   in Loop: Header=BB6_2438 Depth=2
	v_ffbh_u32_e32 v14, v5
	v_min_u32_e32 v14, 32, v14
	v_mov_b32_e32 v3, v28
	v_subrev_u32_e32 v15, 29, v14
	v_bfe_u32 v4, v2, 2, 5
	v_lshlrev_b64 v[2:3], v15, v[2:3]
	v_sub_u32_e32 v3, 30, v14
	v_cmp_eq_u32_e64 s[20:21], 0, v4
	v_cndmask_b32_e64 v3, v4, v3, s[20:21]
	v_lshlrev_b32_e32 v4, 16, v16
	v_and_b32_e32 v2, 3, v2
	v_and_b32_e32 v4, 0x80000000, v4
	v_cndmask_b32_e64 v2, v5, v2, s[20:21]
	v_lshl_add_u32 v3, v3, 23, v4
	v_lshl_or_b32 v2, v2, 21, v3
	v_add_u32_e32 v4, 0x38000000, v2
                                        ; implicit-def: $vgpr5
.LBB6_2738:                             ;   in Loop: Header=BB6_2438 Depth=2
	s_andn2_saveexec_b64 s[92:93], s[92:93]
; %bb.2739:                             ;   in Loop: Header=BB6_2438 Depth=2
	v_cmp_lt_i16_e64 s[20:21], -1, v16
	v_mov_b32_e32 v2, 0xff800000
	v_mov_b32_e32 v3, 0x7f800000
	v_cndmask_b32_e64 v2, v2, v3, s[20:21]
	v_cmp_eq_u32_e64 s[20:21], 0, v5
	v_mov_b32_e32 v3, 0x7f800001
	v_cndmask_b32_e64 v4, v3, v2, s[20:21]
; %bb.2740:                             ;   in Loop: Header=BB6_2438 Depth=2
	s_or_b64 exec, exec, s[92:93]
.LBB6_2741:                             ;   in Loop: Header=BB6_2438 Depth=2
	s_or_b64 exec, exec, s[24:25]
.LBB6_2742:                             ;   in Loop: Header=BB6_2438 Depth=2
	s_or_b64 exec, exec, s[22:23]
	v_lshrrev_b16_e32 v2, 8, v12
	v_cmp_lt_i16_e64 s[20:21], s65, v2
	s_mov_b64 s[22:23], 0
	s_and_saveexec_b64 s[24:25], s[20:21]
	s_xor_b64 s[24:25], exec, s[24:25]
	s_cbranch_execz .LBB6_2973
; %bb.2743:                             ;   in Loop: Header=BB6_2438 Depth=2
	v_cmp_eq_u16_e64 s[20:21], s55, v2
	s_mov_b64 s[22:23], -1
	s_and_saveexec_b64 s[92:93], s[20:21]
; %bb.2744:                             ;   in Loop: Header=BB6_2438 Depth=2
	s_xor_b64 s[22:23], exec, -1
; %bb.2745:                             ;   in Loop: Header=BB6_2438 Depth=2
	s_or_b64 exec, exec, s[92:93]
	s_and_b64 s[22:23], s[22:23], exec
	s_or_saveexec_b64 s[24:25], s[24:25]
	v_bfrev_b32_e32 v3, 1
	s_xor_b64 exec, exec, s[24:25]
	s_cbranch_execnz .LBB6_2974
.LBB6_2746:                             ;   in Loop: Header=BB6_2438 Depth=2
	s_or_b64 exec, exec, s[24:25]
	s_and_saveexec_b64 s[92:93], s[22:23]
	s_cbranch_execz .LBB6_2748
.LBB6_2747:                             ;   in Loop: Header=BB6_2438 Depth=2
	v_and_b32_e32 v5, 3, v2
	v_and_b32_e32 v14, 0x7c, v2
	v_cmp_eq_u32_e64 s[20:21], s53, v14
	v_ffbh_u32_e32 v14, v5
	v_min_u32_e32 v31, 32, v14
	v_mov_b32_e32 v3, v28
	v_subrev_u32_e32 v14, 29, v31
	v_bfe_u32 v27, v2, 2, 5
	v_lshlrev_b64 v[14:15], v14, v[2:3]
	v_cmp_eq_u32_e64 s[22:23], 0, v27
	v_sub_u32_e32 v3, 30, v31
	v_lshlrev_b32_e32 v2, 24, v2
	v_and_b32_e32 v14, 3, v14
	v_cndmask_b32_e64 v3, v27, v3, s[22:23]
	v_and_b32_e32 v2, 0x80000000, v2
	v_cndmask_b32_e64 v14, v5, v14, s[22:23]
	v_lshl_add_u32 v2, v3, 23, v2
	v_cmp_eq_u32_e64 s[22:23], 0, v5
	v_cmp_lt_i16_e64 s[24:25], -1, v12
	v_mov_b32_e32 v3, 0xff800000
	v_mov_b32_e32 v5, 0x7f800000
	v_lshl_or_b32 v2, v14, 21, v2
	v_cndmask_b32_e64 v3, v3, v5, s[24:25]
	v_mov_b32_e32 v5, 0x7f800001
	v_add_u32_e32 v2, 0x38000000, v2
	v_cndmask_b32_e64 v3, v5, v3, s[22:23]
	v_cndmask_b32_e64 v3, v2, v3, s[20:21]
.LBB6_2748:                             ;   in Loop: Header=BB6_2438 Depth=2
	s_or_b64 exec, exec, s[92:93]
	v_mul_f32_e32 v2, v4, v3
	v_and_b32_e32 v3, 0x7f800000, v2
	v_mov_b32_e32 v4, v28
	v_cmp_ne_u64_e64 s[20:21], s[60:61], v[3:4]
	v_and_b32_e32 v27, 0x7fffff, v2
                                        ; implicit-def: $vgpr14
	s_and_saveexec_b64 s[22:23], s[20:21]
	s_xor_b64 s[24:25], exec, s[22:23]
	s_cbranch_execz .LBB6_2762
; %bb.2749:                             ;   in Loop: Header=BB6_2438 Depth=2
	v_and_b32_e32 v3, 0x7fffffff, v2
	v_mov_b32_e32 v4, v28
	v_cmp_gt_u64_e64 s[20:21], s[62:63], v[3:4]
	v_and_b32_sdwa v5, v2, s55 dst_sel:DWORD dst_unused:UNUSED_PAD src0_sel:BYTE_3 src1_sel:DWORD
                                        ; implicit-def: $vgpr14
	s_and_saveexec_b64 s[22:23], s[20:21]
	s_xor_b64 s[92:93], exec, s[22:23]
	s_cbranch_execz .LBB6_2759
; %bb.2750:                             ;   in Loop: Header=BB6_2438 Depth=2
	v_mov_b32_e32 v14, 0
	v_cmp_ne_u32_e64 s[20:21], 0, v2
	s_and_saveexec_b64 s[94:95], s[20:21]
	s_cbranch_execz .LBB6_2758
; %bb.2751:                             ;   in Loop: Header=BB6_2438 Depth=2
	v_bfe_u32 v14, v2, 23, 8
	v_cmp_gt_u32_e64 s[22:23], s64, v14
	v_sub_u32_e32 v2, 0x71, v14
	v_cmp_eq_u32_e64 s[20:21], 0, v14
	v_cndmask_b32_e64 v2, 0, v2, s[22:23]
	v_mov_b32_e32 v4, 0x70
	v_cndmask_b32_e64 v15, v2, v4, s[20:21]
	v_add_u32_e32 v4, 21, v15
	v_or_b32_e32 v3, 0x800000, v27
	v_lshlrev_b64 v[31:32], v4, -1
	v_cndmask_b32_e64 v2, v3, v27, s[20:21]
	v_mov_b32_e32 v3, v28
	v_add_u32_e32 v4, 20, v15
	v_bfi_b32 v31, v31, 0, v2
	v_lshlrev_b64 v[33:34], v4, 1
	v_lshrrev_b64 v[2:3], v15, v[2:3]
	v_bfi_b32 v32, v32, 0, 0
	v_cmp_eq_u64_e64 s[22:23], v[31:32], v[33:34]
	v_mov_b32_e32 v4, v3
	v_mov_b32_e32 v3, v2
	s_and_saveexec_b64 s[30:31], s[22:23]
; %bb.2752:                             ;   in Loop: Header=BB6_2438 Depth=2
	v_bfe_u32 v3, v2, 21, 1
	v_add_co_u32_e64 v3, s[22:23], v2, v3
	v_add_co_u32_e64 v3, s[22:23], -1, v3
; %bb.2753:                             ;   in Loop: Header=BB6_2438 Depth=2
	s_or_b64 exec, exec, s[30:31]
	v_add_u32_e32 v4, 0xffffff81, v14
	v_mov_b32_e32 v14, 0xffffff82
	v_cndmask_b32_e64 v4, v4, v14, s[20:21]
	v_lshrrev_b32_e32 v14, 23, v2
	v_add3_u32 v15, v15, v4, v14
	v_add_u32_e32 v14, 14, v15
	v_and_b32_e32 v3, 0x1fffff, v3
	v_add_u32_e32 v27, v3, v2
	v_cmp_ne_u32_e64 s[20:21], 0, v14
                                        ; implicit-def: $vgpr2_vgpr3
                                        ; implicit-def: $vgpr4
	s_and_saveexec_b64 s[22:23], s[20:21]
	s_xor_b64 s[22:23], exec, s[22:23]
; %bb.2754:                             ;   in Loop: Header=BB6_2438 Depth=2
	v_cmp_lt_u64_e64 s[20:21], s[72:73], v[27:28]
	v_add_u32_e32 v2, 15, v15
	v_cndmask_b32_e64 v4, v14, v2, s[20:21]
	v_cndmask_b32_e64 v2, 0, 1, s[20:21]
	v_lshrrev_b64 v[2:3], v2, v[27:28]
; %bb.2755:                             ;   in Loop: Header=BB6_2438 Depth=2
	s_andn2_saveexec_b64 s[20:21], s[22:23]
; %bb.2756:                             ;   in Loop: Header=BB6_2438 Depth=2
	v_mov_b32_e32 v2, v27
	v_mov_b32_e32 v3, v28
	v_bfe_u32 v4, v27, 23, 1
; %bb.2757:                             ;   in Loop: Header=BB6_2438 Depth=2
	s_or_b64 exec, exec, s[20:21]
	v_lshrrev_b64 v[2:3], 21, v[2:3]
	v_cmp_gt_i32_e64 s[20:21], 32, v4
	v_cndmask_b32_e64 v3, 0, v3, s[20:21]
	v_cndmask_b32_e64 v2, 3, v2, s[20:21]
	v_cmp_eq_u64_e64 s[22:23], 0, v[2:3]
	v_min_i32_e32 v3, 31, v4
	v_lshlrev_b32_e32 v3, 2, v3
	v_cmp_eq_u32_e64 s[20:21], 0, v4
	v_and_b32_e32 v3, 0xfc, v3
	v_and_or_b32 v2, v2, 3, v3
	s_and_b64 s[20:21], s[20:21], s[22:23]
	v_cndmask_b32_e64 v2, v2, 0, s[20:21]
	v_or_b32_e32 v14, v2, v5
.LBB6_2758:                             ;   in Loop: Header=BB6_2438 Depth=2
	s_or_b64 exec, exec, s[94:95]
                                        ; implicit-def: $vgpr5
.LBB6_2759:                             ;   in Loop: Header=BB6_2438 Depth=2
	s_andn2_saveexec_b64 s[20:21], s[92:93]
; %bb.2760:                             ;   in Loop: Header=BB6_2438 Depth=2
	v_or_b32_e32 v14, 0x7b, v5
; %bb.2761:                             ;   in Loop: Header=BB6_2438 Depth=2
	s_or_b64 exec, exec, s[20:21]
                                        ; implicit-def: $vgpr2
.LBB6_2762:                             ;   in Loop: Header=BB6_2438 Depth=2
	s_andn2_saveexec_b64 s[22:23], s[24:25]
	s_cbranch_execz .LBB6_2768
; %bb.2763:                             ;   in Loop: Header=BB6_2438 Depth=2
	v_cmp_ne_u64_e64 s[20:21], 0, v[27:28]
                                        ; implicit-def: $vgpr14
	s_and_saveexec_b64 s[24:25], s[20:21]
	s_xor_b64 s[20:21], exec, s[24:25]
; %bb.2764:                             ;   in Loop: Header=BB6_2438 Depth=2
	v_or_b32_sdwa v14, v2, s65 dst_sel:DWORD dst_unused:UNUSED_PAD src0_sel:BYTE_3 src1_sel:DWORD
                                        ; implicit-def: $vgpr2
; %bb.2765:                             ;   in Loop: Header=BB6_2438 Depth=2
	s_andn2_saveexec_b64 s[24:25], s[20:21]
; %bb.2766:                             ;   in Loop: Header=BB6_2438 Depth=2
	v_cmp_lt_i32_e64 s[20:21], -1, v2
	v_bfrev_b32_e32 v2, 0.5
	v_mov_b32_e32 v3, 0x7c
	v_cndmask_b32_e64 v14, v2, v3, s[20:21]
; %bb.2767:                             ;   in Loop: Header=BB6_2438 Depth=2
	s_or_b64 exec, exec, s[24:25]
.LBB6_2768:                             ;   in Loop: Header=BB6_2438 Depth=2
	s_or_b64 exec, exec, s[22:23]
	v_lshrrev_b32_e32 v2, 16, v16
	v_cmp_ne_u16_sdwa s[20:21], v2, v28 src0_sel:BYTE_0 src1_sel:DWORD
	v_mov_b32_e32 v3, 0
	s_and_saveexec_b64 s[22:23], s[20:21]
	s_cbranch_execz .LBB6_2776
; %bb.2769:                             ;   in Loop: Header=BB6_2438 Depth=2
	v_cmp_ne_u16_sdwa s[20:21], v2, s55 src0_sel:BYTE_0 src1_sel:DWORD
	v_bfrev_b32_e32 v3, 1
	s_and_saveexec_b64 s[24:25], s[20:21]
	s_cbranch_execz .LBB6_2775
; %bb.2770:                             ;   in Loop: Header=BB6_2438 Depth=2
	v_and_b32_e32 v3, 0x7c0000, v16
	v_bfe_u32 v4, v16, 16, 2
	v_cmp_ne_u32_e64 s[20:21], s66, v3
                                        ; implicit-def: $vgpr3
	s_and_saveexec_b64 s[92:93], s[20:21]
	s_xor_b64 s[92:93], exec, s[92:93]
	s_cbranch_execz .LBB6_2772
; %bb.2771:                             ;   in Loop: Header=BB6_2438 Depth=2
	v_ffbh_u32_e32 v3, v4
	v_min_u32_e32 v15, 32, v3
	v_subrev_u32_e32 v3, 29, v15
	v_lshlrev_b64 v[2:3], v3, v[2:3]
	v_bfe_u32 v5, v16, 18, 5
	v_and_b32_e32 v2, 3, v2
	v_cmp_eq_u32_e64 s[20:21], 0, v5
	v_sub_u32_e32 v3, 30, v15
	v_cndmask_b32_e64 v2, v4, v2, s[20:21]
	v_lshlrev_b32_e32 v4, 8, v16
	v_cndmask_b32_e64 v3, v5, v3, s[20:21]
	v_and_b32_e32 v4, 0x80000000, v4
	v_lshl_add_u32 v3, v3, 23, v4
	v_lshl_or_b32 v2, v2, 21, v3
	v_add_u32_e32 v3, 0x38000000, v2
                                        ; implicit-def: $vgpr4
                                        ; implicit-def: $vgpr2
.LBB6_2772:                             ;   in Loop: Header=BB6_2438 Depth=2
	s_andn2_saveexec_b64 s[92:93], s[92:93]
; %bb.2773:                             ;   in Loop: Header=BB6_2438 Depth=2
	v_mov_b32_e32 v3, -1
	v_cmp_gt_i16_sdwa s[20:21], sext(v2), v3 src0_sel:BYTE_0 src1_sel:DWORD
	v_mov_b32_e32 v2, 0xff800000
	v_mov_b32_e32 v3, 0x7f800000
	v_cndmask_b32_e64 v2, v2, v3, s[20:21]
	v_cmp_eq_u32_e64 s[20:21], 0, v4
	v_mov_b32_e32 v3, 0x7f800001
	v_cndmask_b32_e64 v3, v3, v2, s[20:21]
; %bb.2774:                             ;   in Loop: Header=BB6_2438 Depth=2
	s_or_b64 exec, exec, s[92:93]
.LBB6_2775:                             ;   in Loop: Header=BB6_2438 Depth=2
	s_or_b64 exec, exec, s[24:25]
.LBB6_2776:                             ;   in Loop: Header=BB6_2438 Depth=2
	s_or_b64 exec, exec, s[22:23]
	v_lshrrev_b32_e32 v2, 16, v12
	v_cmp_gt_i16_sdwa s[22:23], v2, s65 src0_sel:BYTE_0 src1_sel:DWORD
	s_mov_b64 s[20:21], 0
	s_and_saveexec_b64 s[24:25], s[22:23]
	s_xor_b64 s[22:23], exec, s[24:25]
	s_cbranch_execz .LBB6_2975
; %bb.2777:                             ;   in Loop: Header=BB6_2438 Depth=2
	v_cmp_eq_u16_sdwa s[92:93], v2, s55 src0_sel:BYTE_0 src1_sel:DWORD
	s_mov_b64 s[20:21], -1
	s_and_saveexec_b64 s[24:25], s[92:93]
; %bb.2778:                             ;   in Loop: Header=BB6_2438 Depth=2
	s_xor_b64 s[20:21], exec, -1
; %bb.2779:                             ;   in Loop: Header=BB6_2438 Depth=2
	s_or_b64 exec, exec, s[24:25]
	s_and_b64 s[20:21], s[20:21], exec
	s_or_saveexec_b64 s[22:23], s[22:23]
	v_bfrev_b32_e32 v4, 1
	s_xor_b64 exec, exec, s[22:23]
	s_cbranch_execnz .LBB6_2976
.LBB6_2780:                             ;   in Loop: Header=BB6_2438 Depth=2
	s_or_b64 exec, exec, s[22:23]
	s_and_saveexec_b64 s[92:93], s[20:21]
	s_cbranch_execz .LBB6_2782
.LBB6_2781:                             ;   in Loop: Header=BB6_2438 Depth=2
	v_and_b32_e32 v15, 3, v2
	v_and_b32_e32 v4, 0x7c0000, v12
	v_cmp_eq_u32_e64 s[20:21], s66, v4
	v_ffbh_u32_e32 v4, v15
	v_min_u32_e32 v31, 32, v4
	v_subrev_u32_e32 v4, 29, v31
	v_bfe_u32 v27, v12, 18, 5
	v_lshlrev_b64 v[4:5], v4, v[2:3]
	v_cmp_eq_u32_e64 s[22:23], 0, v27
	v_sub_u32_e32 v5, 30, v31
	v_cndmask_b32_e64 v5, v27, v5, s[22:23]
	v_lshlrev_b32_e32 v27, 24, v2
	v_and_b32_e32 v4, 3, v4
	v_and_b32_e32 v27, 0x80000000, v27
	v_cndmask_b32_e64 v4, v15, v4, s[22:23]
	v_lshl_add_u32 v5, v5, 23, v27
	v_lshl_or_b32 v4, v4, 21, v5
	v_mov_b32_e32 v5, -1
	v_cmp_gt_i16_sdwa s[24:25], sext(v2), v5 src0_sel:BYTE_0 src1_sel:DWORD
	v_mov_b32_e32 v2, 0xff800000
	v_mov_b32_e32 v5, 0x7f800000
	v_cmp_eq_u32_e64 s[22:23], 0, v15
	v_cndmask_b32_e64 v2, v2, v5, s[24:25]
	v_mov_b32_e32 v5, 0x7f800001
	v_add_u32_e32 v4, 0x38000000, v4
	v_cndmask_b32_e64 v2, v5, v2, s[22:23]
	v_cndmask_b32_e64 v4, v4, v2, s[20:21]
.LBB6_2782:                             ;   in Loop: Header=BB6_2438 Depth=2
	s_or_b64 exec, exec, s[92:93]
	v_mul_f32_e32 v2, v3, v4
	v_and_b32_e32 v3, 0x7f800000, v2
	v_mov_b32_e32 v4, v28
	v_cmp_ne_u64_e64 s[20:21], s[60:61], v[3:4]
	v_and_b32_e32 v27, 0x7fffff, v2
                                        ; implicit-def: $vgpr15
	s_and_saveexec_b64 s[22:23], s[20:21]
	s_xor_b64 s[24:25], exec, s[22:23]
	s_cbranch_execz .LBB6_2796
; %bb.2783:                             ;   in Loop: Header=BB6_2438 Depth=2
	v_and_b32_e32 v3, 0x7fffffff, v2
	v_mov_b32_e32 v4, v28
	v_cmp_gt_u64_e64 s[20:21], s[62:63], v[3:4]
	v_and_b32_sdwa v5, v2, s55 dst_sel:DWORD dst_unused:UNUSED_PAD src0_sel:BYTE_3 src1_sel:DWORD
                                        ; implicit-def: $vgpr15
	s_and_saveexec_b64 s[22:23], s[20:21]
	s_xor_b64 s[92:93], exec, s[22:23]
	s_cbranch_execz .LBB6_2793
; %bb.2784:                             ;   in Loop: Header=BB6_2438 Depth=2
	v_mov_b32_e32 v15, 0
	v_cmp_ne_u32_e64 s[20:21], 0, v2
	s_and_saveexec_b64 s[94:95], s[20:21]
	s_cbranch_execz .LBB6_2792
; %bb.2785:                             ;   in Loop: Header=BB6_2438 Depth=2
	v_bfe_u32 v15, v2, 23, 8
	v_cmp_gt_u32_e64 s[22:23], s64, v15
	v_sub_u32_e32 v2, 0x71, v15
	v_cmp_eq_u32_e64 s[20:21], 0, v15
	v_cndmask_b32_e64 v2, 0, v2, s[22:23]
	v_mov_b32_e32 v4, 0x70
	v_cndmask_b32_e64 v31, v2, v4, s[20:21]
	v_add_u32_e32 v4, 21, v31
	v_or_b32_e32 v3, 0x800000, v27
	v_lshlrev_b64 v[32:33], v4, -1
	v_cndmask_b32_e64 v2, v3, v27, s[20:21]
	v_mov_b32_e32 v3, v28
	v_add_u32_e32 v4, 20, v31
	v_bfi_b32 v32, v32, 0, v2
	v_lshlrev_b64 v[34:35], v4, 1
	v_lshrrev_b64 v[2:3], v31, v[2:3]
	v_bfi_b32 v33, v33, 0, 0
	v_cmp_eq_u64_e64 s[22:23], v[32:33], v[34:35]
	v_mov_b32_e32 v4, v3
	v_mov_b32_e32 v3, v2
	s_and_saveexec_b64 s[30:31], s[22:23]
; %bb.2786:                             ;   in Loop: Header=BB6_2438 Depth=2
	v_bfe_u32 v3, v2, 21, 1
	v_add_co_u32_e64 v3, s[22:23], v2, v3
	v_add_co_u32_e64 v3, s[22:23], -1, v3
; %bb.2787:                             ;   in Loop: Header=BB6_2438 Depth=2
	s_or_b64 exec, exec, s[30:31]
	v_add_u32_e32 v4, 0xffffff81, v15
	v_mov_b32_e32 v15, 0xffffff82
	v_cndmask_b32_e64 v4, v4, v15, s[20:21]
	v_lshrrev_b32_e32 v15, 23, v2
	v_add3_u32 v31, v31, v4, v15
	v_add_u32_e32 v15, 14, v31
	v_and_b32_e32 v3, 0x1fffff, v3
	v_add_u32_e32 v27, v3, v2
	v_cmp_ne_u32_e64 s[20:21], 0, v15
                                        ; implicit-def: $vgpr2_vgpr3
                                        ; implicit-def: $vgpr4
	s_and_saveexec_b64 s[22:23], s[20:21]
	s_xor_b64 s[22:23], exec, s[22:23]
; %bb.2788:                             ;   in Loop: Header=BB6_2438 Depth=2
	v_cmp_lt_u64_e64 s[20:21], s[72:73], v[27:28]
	v_add_u32_e32 v2, 15, v31
	v_cndmask_b32_e64 v4, v15, v2, s[20:21]
	v_cndmask_b32_e64 v2, 0, 1, s[20:21]
	v_lshrrev_b64 v[2:3], v2, v[27:28]
; %bb.2789:                             ;   in Loop: Header=BB6_2438 Depth=2
	s_andn2_saveexec_b64 s[20:21], s[22:23]
; %bb.2790:                             ;   in Loop: Header=BB6_2438 Depth=2
	v_mov_b32_e32 v2, v27
	v_mov_b32_e32 v3, v28
	v_bfe_u32 v4, v27, 23, 1
; %bb.2791:                             ;   in Loop: Header=BB6_2438 Depth=2
	s_or_b64 exec, exec, s[20:21]
	v_lshrrev_b64 v[2:3], 21, v[2:3]
	v_cmp_gt_i32_e64 s[20:21], 32, v4
	v_cndmask_b32_e64 v3, 0, v3, s[20:21]
	v_cndmask_b32_e64 v2, 3, v2, s[20:21]
	v_cmp_eq_u64_e64 s[22:23], 0, v[2:3]
	v_min_i32_e32 v3, 31, v4
	v_lshlrev_b32_e32 v3, 2, v3
	v_cmp_eq_u32_e64 s[20:21], 0, v4
	v_and_b32_e32 v3, 0xfc, v3
	v_and_or_b32 v2, v2, 3, v3
	s_and_b64 s[20:21], s[20:21], s[22:23]
	v_cndmask_b32_e64 v2, v2, 0, s[20:21]
	v_or_b32_e32 v15, v2, v5
.LBB6_2792:                             ;   in Loop: Header=BB6_2438 Depth=2
	s_or_b64 exec, exec, s[94:95]
                                        ; implicit-def: $vgpr5
.LBB6_2793:                             ;   in Loop: Header=BB6_2438 Depth=2
	s_andn2_saveexec_b64 s[20:21], s[92:93]
; %bb.2794:                             ;   in Loop: Header=BB6_2438 Depth=2
	v_or_b32_e32 v15, 0x7b, v5
; %bb.2795:                             ;   in Loop: Header=BB6_2438 Depth=2
	s_or_b64 exec, exec, s[20:21]
                                        ; implicit-def: $vgpr2
.LBB6_2796:                             ;   in Loop: Header=BB6_2438 Depth=2
	s_andn2_saveexec_b64 s[22:23], s[24:25]
	s_cbranch_execz .LBB6_2802
; %bb.2797:                             ;   in Loop: Header=BB6_2438 Depth=2
	v_cmp_ne_u64_e64 s[20:21], 0, v[27:28]
                                        ; implicit-def: $vgpr15
	s_and_saveexec_b64 s[24:25], s[20:21]
	s_xor_b64 s[20:21], exec, s[24:25]
; %bb.2798:                             ;   in Loop: Header=BB6_2438 Depth=2
	v_or_b32_sdwa v15, v2, s65 dst_sel:DWORD dst_unused:UNUSED_PAD src0_sel:BYTE_3 src1_sel:DWORD
                                        ; implicit-def: $vgpr2
; %bb.2799:                             ;   in Loop: Header=BB6_2438 Depth=2
	s_andn2_saveexec_b64 s[24:25], s[20:21]
; %bb.2800:                             ;   in Loop: Header=BB6_2438 Depth=2
	v_cmp_lt_i32_e64 s[20:21], -1, v2
	v_bfrev_b32_e32 v2, 0.5
	v_mov_b32_e32 v3, 0x7c
	v_cndmask_b32_e64 v15, v2, v3, s[20:21]
; %bb.2801:                             ;   in Loop: Header=BB6_2438 Depth=2
	s_or_b64 exec, exec, s[24:25]
.LBB6_2802:                             ;   in Loop: Header=BB6_2438 Depth=2
	s_or_b64 exec, exec, s[22:23]
	v_cmp_lt_u32_e64 s[20:21], s59, v16
	v_mov_b32_e32 v3, 0
	s_and_saveexec_b64 s[22:23], s[20:21]
	s_cbranch_execz .LBB6_2810
; %bb.2803:                             ;   in Loop: Header=BB6_2438 Depth=2
	v_lshrrev_b32_e32 v2, 24, v16
	v_cmp_ne_u32_e64 s[20:21], s55, v2
	v_bfrev_b32_e32 v3, 1
	s_and_saveexec_b64 s[24:25], s[20:21]
	s_cbranch_execz .LBB6_2809
; %bb.2804:                             ;   in Loop: Header=BB6_2438 Depth=2
	v_and_b32_e32 v3, 0x7c000000, v16
	v_bfe_u32 v4, v16, 24, 2
	v_cmp_ne_u32_e64 s[20:21], s67, v3
                                        ; implicit-def: $vgpr3
	s_and_saveexec_b64 s[92:93], s[20:21]
	s_xor_b64 s[92:93], exec, s[92:93]
	s_cbranch_execz .LBB6_2806
; %bb.2805:                             ;   in Loop: Header=BB6_2438 Depth=2
	v_ffbh_u32_e32 v3, v4
	v_min_u32_e32 v27, 32, v3
	v_subrev_u32_e32 v3, 29, v27
	v_lshlrev_b64 v[2:3], v3, v[2:3]
	v_bfe_u32 v5, v16, 26, 5
	v_sub_u32_e32 v3, 30, v27
	v_and_b32_e32 v2, 3, v2
	v_cmp_eq_u32_e64 s[20:21], 0, v5
	v_cndmask_b32_e64 v3, v5, v3, s[20:21]
	v_cndmask_b32_e64 v2, v4, v2, s[20:21]
	v_and_b32_e32 v4, 0x80000000, v16
	v_lshl_add_u32 v3, v3, 23, v4
	v_lshl_or_b32 v2, v2, 21, v3
	v_add_u32_e32 v3, 0x38000000, v2
                                        ; implicit-def: $vgpr4
.LBB6_2806:                             ;   in Loop: Header=BB6_2438 Depth=2
	s_andn2_saveexec_b64 s[92:93], s[92:93]
; %bb.2807:                             ;   in Loop: Header=BB6_2438 Depth=2
	v_cmp_lt_i32_e64 s[20:21], -1, v16
	v_mov_b32_e32 v2, 0xff800000
	v_mov_b32_e32 v3, 0x7f800000
	v_cndmask_b32_e64 v2, v2, v3, s[20:21]
	v_cmp_eq_u32_e64 s[20:21], 0, v4
	v_mov_b32_e32 v3, 0x7f800001
	v_cndmask_b32_e64 v3, v3, v2, s[20:21]
; %bb.2808:                             ;   in Loop: Header=BB6_2438 Depth=2
	s_or_b64 exec, exec, s[92:93]
.LBB6_2809:                             ;   in Loop: Header=BB6_2438 Depth=2
	s_or_b64 exec, exec, s[24:25]
.LBB6_2810:                             ;   in Loop: Header=BB6_2438 Depth=2
	s_or_b64 exec, exec, s[22:23]
	v_bfe_u32 v27, v12, 24, 2
	v_and_b32_e32 v4, 0x7c000000, v12
	v_cmp_eq_u32_e64 s[20:21], s67, v4
	v_ffbh_u32_e32 v4, v27
	v_min_u32_e32 v32, 32, v4
	v_lshrrev_b32_e32 v2, 24, v12
	v_subrev_u32_e32 v4, 29, v32
	v_bfe_u32 v31, v12, 26, 5
	v_lshlrev_b64 v[4:5], v4, v[2:3]
	v_cmp_eq_u32_e64 s[22:23], 0, v31
	v_sub_u32_e32 v5, 30, v32
	v_and_b32_e32 v4, 3, v4
	v_cndmask_b32_e64 v5, v31, v5, s[22:23]
	v_and_b32_e32 v31, 0x80000000, v12
	v_cndmask_b32_e64 v4, v27, v4, s[22:23]
	v_lshl_add_u32 v5, v5, 23, v31
	v_lshl_or_b32 v4, v4, 21, v5
	v_cmp_eq_u32_e64 s[22:23], 0, v27
	v_cmp_lt_i32_e64 s[24:25], -1, v12
	v_mov_b32_e32 v5, 0xff800000
	v_mov_b32_e32 v27, 0x7f800000
	v_cndmask_b32_e64 v5, v5, v27, s[24:25]
	v_mov_b32_e32 v27, 0x7f800001
	v_add_u32_e32 v4, 0x38000000, v4
	v_cndmask_b32_e64 v5, v27, v5, s[22:23]
	v_cndmask_b32_e64 v4, v4, v5, s[20:21]
	v_cmp_ne_u32_e64 s[20:21], s55, v2
	v_bfrev_b32_e32 v2, 1
	v_cndmask_b32_e64 v2, v2, v4, s[20:21]
	v_cmp_lt_u32_e64 s[20:21], s59, v12
	v_cndmask_b32_e64 v2, 0, v2, s[20:21]
	v_mul_f32_e32 v2, v2, v3
	v_and_b32_e32 v3, 0x7f800000, v2
	v_mov_b32_e32 v4, v28
	v_cmp_ne_u64_e64 s[20:21], s[60:61], v[3:4]
	v_and_b32_e32 v27, 0x7fffff, v2
                                        ; implicit-def: $vgpr31
	s_and_saveexec_b64 s[22:23], s[20:21]
	s_xor_b64 s[24:25], exec, s[22:23]
	s_cbranch_execz .LBB6_2824
; %bb.2811:                             ;   in Loop: Header=BB6_2438 Depth=2
	v_and_b32_e32 v3, 0x7fffffff, v2
	v_mov_b32_e32 v4, v28
	v_cmp_gt_u64_e64 s[20:21], s[62:63], v[3:4]
	v_and_b32_sdwa v5, v2, s55 dst_sel:DWORD dst_unused:UNUSED_PAD src0_sel:BYTE_3 src1_sel:DWORD
                                        ; implicit-def: $vgpr31
	s_and_saveexec_b64 s[22:23], s[20:21]
	s_xor_b64 s[92:93], exec, s[22:23]
	s_cbranch_execz .LBB6_2821
; %bb.2812:                             ;   in Loop: Header=BB6_2438 Depth=2
	v_mov_b32_e32 v31, 0
	v_cmp_ne_u32_e64 s[20:21], 0, v2
	s_and_saveexec_b64 s[94:95], s[20:21]
	s_cbranch_execz .LBB6_2820
; %bb.2813:                             ;   in Loop: Header=BB6_2438 Depth=2
	v_bfe_u32 v31, v2, 23, 8
	v_cmp_gt_u32_e64 s[22:23], s64, v31
	v_sub_u32_e32 v2, 0x71, v31
	v_cmp_eq_u32_e64 s[20:21], 0, v31
	v_cndmask_b32_e64 v2, 0, v2, s[22:23]
	v_mov_b32_e32 v4, 0x70
	v_cndmask_b32_e64 v32, v2, v4, s[20:21]
	v_add_u32_e32 v4, 21, v32
	v_or_b32_e32 v3, 0x800000, v27
	v_lshlrev_b64 v[33:34], v4, -1
	v_cndmask_b32_e64 v2, v3, v27, s[20:21]
	v_mov_b32_e32 v3, v28
	v_add_u32_e32 v4, 20, v32
	v_bfi_b32 v33, v33, 0, v2
	v_lshlrev_b64 v[35:36], v4, 1
	v_lshrrev_b64 v[2:3], v32, v[2:3]
	v_bfi_b32 v34, v34, 0, 0
	v_cmp_eq_u64_e64 s[22:23], v[33:34], v[35:36]
	v_mov_b32_e32 v4, v3
	v_mov_b32_e32 v3, v2
	s_and_saveexec_b64 s[30:31], s[22:23]
; %bb.2814:                             ;   in Loop: Header=BB6_2438 Depth=2
	v_bfe_u32 v3, v2, 21, 1
	v_add_co_u32_e64 v3, s[22:23], v2, v3
	v_add_co_u32_e64 v3, s[22:23], -1, v3
; %bb.2815:                             ;   in Loop: Header=BB6_2438 Depth=2
	s_or_b64 exec, exec, s[30:31]
	v_add_u32_e32 v4, 0xffffff81, v31
	v_mov_b32_e32 v27, 0xffffff82
	v_cndmask_b32_e64 v4, v4, v27, s[20:21]
	v_lshrrev_b32_e32 v27, 23, v2
	v_add3_u32 v32, v32, v4, v27
	v_add_u32_e32 v31, 14, v32
	v_and_b32_e32 v3, 0x1fffff, v3
	v_add_u32_e32 v27, v3, v2
	v_cmp_ne_u32_e64 s[20:21], 0, v31
                                        ; implicit-def: $vgpr2_vgpr3
                                        ; implicit-def: $vgpr4
	s_and_saveexec_b64 s[22:23], s[20:21]
	s_xor_b64 s[22:23], exec, s[22:23]
; %bb.2816:                             ;   in Loop: Header=BB6_2438 Depth=2
	v_cmp_lt_u64_e64 s[20:21], s[72:73], v[27:28]
	v_add_u32_e32 v2, 15, v32
	v_cndmask_b32_e64 v4, v31, v2, s[20:21]
	v_cndmask_b32_e64 v2, 0, 1, s[20:21]
	v_lshrrev_b64 v[2:3], v2, v[27:28]
; %bb.2817:                             ;   in Loop: Header=BB6_2438 Depth=2
	s_andn2_saveexec_b64 s[20:21], s[22:23]
; %bb.2818:                             ;   in Loop: Header=BB6_2438 Depth=2
	v_mov_b32_e32 v2, v27
	v_mov_b32_e32 v3, v28
	v_bfe_u32 v4, v27, 23, 1
; %bb.2819:                             ;   in Loop: Header=BB6_2438 Depth=2
	s_or_b64 exec, exec, s[20:21]
	v_lshrrev_b64 v[2:3], 21, v[2:3]
	v_cmp_gt_i32_e64 s[20:21], 32, v4
	v_cndmask_b32_e64 v3, 0, v3, s[20:21]
	v_cndmask_b32_e64 v2, 3, v2, s[20:21]
	v_cmp_eq_u64_e64 s[22:23], 0, v[2:3]
	v_min_i32_e32 v3, 31, v4
	v_lshlrev_b32_e32 v3, 2, v3
	v_cmp_eq_u32_e64 s[20:21], 0, v4
	v_and_b32_e32 v3, 0xfc, v3
	v_and_or_b32 v2, v2, 3, v3
	s_and_b64 s[20:21], s[20:21], s[22:23]
	v_cndmask_b32_e64 v2, v2, 0, s[20:21]
	v_or_b32_e32 v31, v2, v5
.LBB6_2820:                             ;   in Loop: Header=BB6_2438 Depth=2
	s_or_b64 exec, exec, s[94:95]
                                        ; implicit-def: $vgpr5
.LBB6_2821:                             ;   in Loop: Header=BB6_2438 Depth=2
	s_andn2_saveexec_b64 s[20:21], s[92:93]
; %bb.2822:                             ;   in Loop: Header=BB6_2438 Depth=2
	v_or_b32_e32 v31, 0x7b, v5
; %bb.2823:                             ;   in Loop: Header=BB6_2438 Depth=2
	s_or_b64 exec, exec, s[20:21]
                                        ; implicit-def: $vgpr2
.LBB6_2824:                             ;   in Loop: Header=BB6_2438 Depth=2
	s_andn2_saveexec_b64 s[22:23], s[24:25]
	s_cbranch_execz .LBB6_2830
; %bb.2825:                             ;   in Loop: Header=BB6_2438 Depth=2
	v_cmp_ne_u64_e64 s[20:21], 0, v[27:28]
                                        ; implicit-def: $vgpr31
	s_and_saveexec_b64 s[24:25], s[20:21]
	s_xor_b64 s[20:21], exec, s[24:25]
; %bb.2826:                             ;   in Loop: Header=BB6_2438 Depth=2
	v_or_b32_sdwa v31, v2, s65 dst_sel:DWORD dst_unused:UNUSED_PAD src0_sel:BYTE_3 src1_sel:DWORD
                                        ; implicit-def: $vgpr2
; %bb.2827:                             ;   in Loop: Header=BB6_2438 Depth=2
	s_andn2_saveexec_b64 s[24:25], s[20:21]
; %bb.2828:                             ;   in Loop: Header=BB6_2438 Depth=2
	v_cmp_lt_i32_e64 s[20:21], -1, v2
	v_bfrev_b32_e32 v2, 0.5
	v_mov_b32_e32 v3, 0x7c
	v_cndmask_b32_e64 v31, v2, v3, s[20:21]
; %bb.2829:                             ;   in Loop: Header=BB6_2438 Depth=2
	s_or_b64 exec, exec, s[24:25]
.LBB6_2830:                             ;   in Loop: Header=BB6_2438 Depth=2
	s_or_b64 exec, exec, s[22:23]
	v_mov_b32_e32 v27, v17
	v_cmp_ne_u16_sdwa s[20:21], v17, v28 src0_sel:BYTE_0 src1_sel:DWORD
	v_mov_b32_e32 v4, 0
	s_and_saveexec_b64 s[22:23], s[20:21]
	s_cbranch_execz .LBB6_2838
; %bb.2831:                             ;   in Loop: Header=BB6_2438 Depth=2
	v_cmp_ne_u16_sdwa s[20:21], v17, s55 src0_sel:BYTE_0 src1_sel:DWORD
	v_bfrev_b32_e32 v4, 1
	s_and_saveexec_b64 s[24:25], s[20:21]
	s_cbranch_execz .LBB6_2837
; %bb.2832:                             ;   in Loop: Header=BB6_2438 Depth=2
	v_and_b32_e32 v3, 0x7c, v17
	v_and_b32_e32 v2, 3, v17
	v_cmp_ne_u32_e64 s[20:21], s53, v3
                                        ; implicit-def: $vgpr4
	s_and_saveexec_b64 s[92:93], s[20:21]
	s_xor_b64 s[92:93], exec, s[92:93]
	s_cbranch_execz .LBB6_2834
; %bb.2833:                             ;   in Loop: Header=BB6_2438 Depth=2
	v_ffbh_u32_e32 v3, v2
	v_min_u32_e32 v32, 32, v3
	v_subrev_u32_e32 v3, 29, v32
	v_lshlrev_b64 v[3:4], v3, v[27:28]
	v_bfe_u32 v5, v17, 2, 5
	v_and_b32_e32 v3, 3, v3
	v_cmp_eq_u32_e64 s[20:21], 0, v5
	v_sub_u32_e32 v4, 30, v32
	v_cndmask_b32_e64 v2, v2, v3, s[20:21]
	v_lshlrev_b32_e32 v3, 24, v17
	v_cndmask_b32_e64 v4, v5, v4, s[20:21]
	v_and_b32_e32 v3, 0x80000000, v3
	v_lshl_add_u32 v3, v4, 23, v3
	v_lshl_or_b32 v2, v2, 21, v3
	v_add_u32_e32 v4, 0x38000000, v2
                                        ; implicit-def: $vgpr2
.LBB6_2834:                             ;   in Loop: Header=BB6_2438 Depth=2
	s_andn2_saveexec_b64 s[92:93], s[92:93]
; %bb.2835:                             ;   in Loop: Header=BB6_2438 Depth=2
	v_mov_b32_e32 v3, -1
	v_cmp_gt_i16_sdwa s[20:21], sext(v17), v3 src0_sel:BYTE_0 src1_sel:DWORD
	v_mov_b32_e32 v3, 0xff800000
	v_mov_b32_e32 v4, 0x7f800000
	v_cndmask_b32_e64 v3, v3, v4, s[20:21]
	v_cmp_eq_u32_e64 s[20:21], 0, v2
	v_mov_b32_e32 v2, 0x7f800001
	v_cndmask_b32_e64 v4, v2, v3, s[20:21]
; %bb.2836:                             ;   in Loop: Header=BB6_2438 Depth=2
	s_or_b64 exec, exec, s[92:93]
.LBB6_2837:                             ;   in Loop: Header=BB6_2438 Depth=2
	s_or_b64 exec, exec, s[24:25]
.LBB6_2838:                             ;   in Loop: Header=BB6_2438 Depth=2
	s_or_b64 exec, exec, s[22:23]
	v_cmp_gt_i16_sdwa s[22:23], v13, s65 src0_sel:BYTE_0 src1_sel:DWORD
	s_mov_b64 s[20:21], 0
	s_and_saveexec_b64 s[24:25], s[22:23]
	s_xor_b64 s[22:23], exec, s[24:25]
	s_cbranch_execz .LBB6_2842
; %bb.2839:                             ;   in Loop: Header=BB6_2438 Depth=2
	v_cmp_eq_u16_sdwa s[92:93], v13, s55 src0_sel:BYTE_0 src1_sel:DWORD
	s_mov_b64 s[20:21], -1
	s_and_saveexec_b64 s[24:25], s[92:93]
; %bb.2840:                             ;   in Loop: Header=BB6_2438 Depth=2
	s_xor_b64 s[20:21], exec, -1
; %bb.2841:                             ;   in Loop: Header=BB6_2438 Depth=2
	s_or_b64 exec, exec, s[24:25]
	s_and_b64 s[20:21], s[20:21], exec
.LBB6_2842:                             ;   in Loop: Header=BB6_2438 Depth=2
	s_or_saveexec_b64 s[22:23], s[22:23]
	v_bfrev_b32_e32 v5, 1
	s_xor_b64 exec, exec, s[22:23]
; %bb.2843:                             ;   in Loop: Header=BB6_2438 Depth=2
	v_cmp_ne_u16_sdwa s[24:25], v13, v28 src0_sel:BYTE_0 src1_sel:DWORD
	s_andn2_b64 s[20:21], s[20:21], exec
	s_and_b64 s[24:25], s[24:25], exec
	v_mov_b32_e32 v5, 0
	s_or_b64 s[20:21], s[20:21], s[24:25]
; %bb.2844:                             ;   in Loop: Header=BB6_2438 Depth=2
	s_or_b64 exec, exec, s[22:23]
	v_mov_b32_e32 v2, v13
	v_mov_b32_e32 v3, v28
	s_and_saveexec_b64 s[92:93], s[20:21]
	s_cbranch_execz .LBB6_2846
; %bb.2845:                             ;   in Loop: Header=BB6_2438 Depth=2
	v_and_b32_e32 v5, 3, v13
	v_and_b32_e32 v32, 0x7c, v13
	v_cmp_eq_u32_e64 s[20:21], s53, v32
	v_ffbh_u32_e32 v32, v5
	v_min_u32_e32 v35, 32, v32
	v_subrev_u32_e32 v32, 29, v35
	v_bfe_u32 v34, v13, 2, 5
	v_lshlrev_b64 v[32:33], v32, v[2:3]
	v_cmp_eq_u32_e64 s[22:23], 0, v34
	v_sub_u32_e32 v3, 30, v35
	v_lshlrev_b32_e32 v33, 24, v13
	v_and_b32_e32 v32, 3, v32
	v_cndmask_b32_e64 v3, v34, v3, s[22:23]
	v_and_b32_e32 v33, 0x80000000, v33
	v_cndmask_b32_e64 v32, v5, v32, s[22:23]
	v_lshl_add_u32 v3, v3, 23, v33
	v_cmp_eq_u32_e64 s[22:23], 0, v5
	v_mov_b32_e32 v5, -1
	v_lshl_or_b32 v3, v32, 21, v3
	v_cmp_gt_i16_sdwa s[24:25], sext(v13), v5 src0_sel:BYTE_0 src1_sel:DWORD
	v_mov_b32_e32 v5, 0xff800000
	v_mov_b32_e32 v32, 0x7f800000
	v_cndmask_b32_e64 v5, v5, v32, s[24:25]
	v_mov_b32_e32 v32, 0x7f800001
	v_add_u32_e32 v3, 0x38000000, v3
	v_cndmask_b32_e64 v5, v32, v5, s[22:23]
	v_cndmask_b32_e64 v5, v3, v5, s[20:21]
.LBB6_2846:                             ;   in Loop: Header=BB6_2438 Depth=2
	s_or_b64 exec, exec, s[92:93]
	v_mul_f32_e32 v33, v4, v5
	v_and_b32_e32 v4, 0x7f800000, v33
	v_mov_b32_e32 v5, v28
	v_cmp_ne_u64_e64 s[20:21], s[60:61], v[4:5]
	v_and_b32_e32 v3, 0x7fffff, v33
	v_mov_b32_e32 v4, v28
                                        ; implicit-def: $vgpr5
	s_and_saveexec_b64 s[22:23], s[20:21]
	s_xor_b64 s[24:25], exec, s[22:23]
	s_cbranch_execz .LBB6_2860
; %bb.2847:                             ;   in Loop: Header=BB6_2438 Depth=2
	v_and_b32_e32 v34, 0x7fffffff, v33
	v_mov_b32_e32 v35, v28
	v_cmp_gt_u64_e64 s[20:21], s[62:63], v[34:35]
	v_and_b32_sdwa v32, v33, s55 dst_sel:DWORD dst_unused:UNUSED_PAD src0_sel:BYTE_3 src1_sel:DWORD
                                        ; implicit-def: $vgpr5
	s_and_saveexec_b64 s[22:23], s[20:21]
	s_xor_b64 s[92:93], exec, s[22:23]
	s_cbranch_execz .LBB6_2857
; %bb.2848:                             ;   in Loop: Header=BB6_2438 Depth=2
	v_mov_b32_e32 v5, 0
	v_cmp_ne_u32_e64 s[20:21], 0, v33
	s_and_saveexec_b64 s[94:95], s[20:21]
	s_cbranch_execz .LBB6_2856
; %bb.2849:                             ;   in Loop: Header=BB6_2438 Depth=2
	v_bfe_u32 v33, v33, 23, 8
	v_cmp_gt_u32_e64 s[22:23], s64, v33
	v_sub_u32_e32 v5, 0x71, v33
	v_cmp_eq_u32_e64 s[20:21], 0, v33
	v_cndmask_b32_e64 v5, 0, v5, s[22:23]
	v_mov_b32_e32 v34, 0x70
	v_cndmask_b32_e64 v34, v5, v34, s[20:21]
	v_or_b32_e32 v35, 0x800000, v3
	v_add_u32_e32 v5, 21, v34
	v_cndmask_b32_e64 v3, v35, v3, s[20:21]
	v_lshlrev_b64 v[35:36], v5, -1
	v_add_u32_e32 v5, 20, v34
	v_bfi_b32 v35, v35, 0, v3
	v_lshlrev_b64 v[37:38], v5, 1
	v_lshrrev_b64 v[3:4], v34, v[3:4]
	v_bfi_b32 v36, v36, 0, 0
	v_cmp_eq_u64_e64 s[22:23], v[35:36], v[37:38]
	v_mov_b32_e32 v5, v4
	v_mov_b32_e32 v4, v3
	s_and_saveexec_b64 s[30:31], s[22:23]
; %bb.2850:                             ;   in Loop: Header=BB6_2438 Depth=2
	v_bfe_u32 v4, v3, 21, 1
	v_add_co_u32_e64 v4, s[22:23], v3, v4
	v_add_co_u32_e64 v4, s[22:23], -1, v4
; %bb.2851:                             ;   in Loop: Header=BB6_2438 Depth=2
	s_or_b64 exec, exec, s[30:31]
	v_add_u32_e32 v5, 0xffffff81, v33
	v_mov_b32_e32 v33, 0xffffff82
	v_cndmask_b32_e64 v5, v5, v33, s[20:21]
	v_lshrrev_b32_e32 v33, 23, v3
	v_add3_u32 v34, v34, v5, v33
	v_add_u32_e32 v33, 14, v34
	v_and_b32_e32 v4, 0x1fffff, v4
	v_add_u32_e32 v3, v4, v3
	v_mov_b32_e32 v4, v28
	v_cmp_ne_u32_e64 s[20:21], 0, v33
                                        ; implicit-def: $vgpr5
	s_and_saveexec_b64 s[22:23], s[20:21]
	s_xor_b64 s[22:23], exec, s[22:23]
; %bb.2852:                             ;   in Loop: Header=BB6_2438 Depth=2
	v_cmp_lt_u64_e64 s[20:21], s[72:73], v[3:4]
	v_add_u32_e32 v5, 15, v34
	v_cndmask_b32_e64 v5, v33, v5, s[20:21]
	v_cndmask_b32_e64 v33, 0, 1, s[20:21]
	v_lshrrev_b64 v[3:4], v33, v[3:4]
; %bb.2853:                             ;   in Loop: Header=BB6_2438 Depth=2
	s_andn2_saveexec_b64 s[20:21], s[22:23]
; %bb.2854:                             ;   in Loop: Header=BB6_2438 Depth=2
	v_bfe_u32 v5, v3, 23, 1
; %bb.2855:                             ;   in Loop: Header=BB6_2438 Depth=2
	s_or_b64 exec, exec, s[20:21]
	v_lshrrev_b64 v[3:4], 21, v[3:4]
	v_cmp_gt_i32_e64 s[20:21], 32, v5
	v_cndmask_b32_e64 v4, 0, v4, s[20:21]
	v_cndmask_b32_e64 v3, 3, v3, s[20:21]
	v_cmp_eq_u64_e64 s[22:23], 0, v[3:4]
	v_min_i32_e32 v4, 31, v5
	v_lshlrev_b32_e32 v4, 2, v4
	v_cmp_eq_u32_e64 s[20:21], 0, v5
	v_and_b32_e32 v4, 0xfc, v4
	v_and_or_b32 v3, v3, 3, v4
	s_and_b64 s[20:21], s[20:21], s[22:23]
	v_cndmask_b32_e64 v3, v3, 0, s[20:21]
	v_or_b32_e32 v5, v3, v32
.LBB6_2856:                             ;   in Loop: Header=BB6_2438 Depth=2
	s_or_b64 exec, exec, s[94:95]
                                        ; implicit-def: $vgpr32
.LBB6_2857:                             ;   in Loop: Header=BB6_2438 Depth=2
	s_andn2_saveexec_b64 s[20:21], s[92:93]
; %bb.2858:                             ;   in Loop: Header=BB6_2438 Depth=2
	v_or_b32_e32 v5, 0x7b, v32
; %bb.2859:                             ;   in Loop: Header=BB6_2438 Depth=2
	s_or_b64 exec, exec, s[20:21]
                                        ; implicit-def: $vgpr33
                                        ; implicit-def: $vgpr3_vgpr4
.LBB6_2860:                             ;   in Loop: Header=BB6_2438 Depth=2
	s_andn2_saveexec_b64 s[22:23], s[24:25]
	s_cbranch_execz .LBB6_2866
; %bb.2861:                             ;   in Loop: Header=BB6_2438 Depth=2
	v_cmp_ne_u64_e64 s[20:21], 0, v[3:4]
                                        ; implicit-def: $vgpr5
	s_and_saveexec_b64 s[24:25], s[20:21]
	s_xor_b64 s[20:21], exec, s[24:25]
; %bb.2862:                             ;   in Loop: Header=BB6_2438 Depth=2
	v_or_b32_sdwa v5, v33, s65 dst_sel:DWORD dst_unused:UNUSED_PAD src0_sel:BYTE_3 src1_sel:DWORD
                                        ; implicit-def: $vgpr33
; %bb.2863:                             ;   in Loop: Header=BB6_2438 Depth=2
	s_andn2_saveexec_b64 s[24:25], s[20:21]
; %bb.2864:                             ;   in Loop: Header=BB6_2438 Depth=2
	v_cmp_lt_i32_e64 s[20:21], -1, v33
	v_bfrev_b32_e32 v3, 0.5
	v_mov_b32_e32 v4, 0x7c
	v_cndmask_b32_e64 v5, v3, v4, s[20:21]
; %bb.2865:                             ;   in Loop: Header=BB6_2438 Depth=2
	s_or_b64 exec, exec, s[24:25]
.LBB6_2866:                             ;   in Loop: Header=BB6_2438 Depth=2
	s_or_b64 exec, exec, s[22:23]
	v_lshrrev_b16_e32 v3, 8, v27
	v_cmp_ne_u16_e64 s[20:21], 0, v3
	v_mov_b32_e32 v32, 0
	s_and_saveexec_b64 s[22:23], s[20:21]
	s_cbranch_execz .LBB6_2874
; %bb.2867:                             ;   in Loop: Header=BB6_2438 Depth=2
	v_cmp_ne_u16_e64 s[20:21], s55, v3
	v_bfrev_b32_e32 v32, 1
	s_and_saveexec_b64 s[24:25], s[20:21]
	s_cbranch_execz .LBB6_2873
; %bb.2868:                             ;   in Loop: Header=BB6_2438 Depth=2
	v_and_b32_e32 v4, 0x7c, v3
	v_and_b32_e32 v33, 3, v3
	v_cmp_ne_u32_e64 s[20:21], s53, v4
                                        ; implicit-def: $vgpr32
	s_and_saveexec_b64 s[92:93], s[20:21]
	s_xor_b64 s[92:93], exec, s[92:93]
	s_cbranch_execz .LBB6_2870
; %bb.2869:                             ;   in Loop: Header=BB6_2438 Depth=2
	v_ffbh_u32_e32 v34, v33
	v_min_u32_e32 v34, 32, v34
	v_mov_b32_e32 v4, v28
	v_subrev_u32_e32 v35, 29, v34
	v_bfe_u32 v32, v3, 2, 5
	v_lshlrev_b64 v[3:4], v35, v[3:4]
	v_sub_u32_e32 v4, 30, v34
	v_cmp_eq_u32_e64 s[20:21], 0, v32
	v_lshlrev_b32_e32 v27, 16, v27
	v_and_b32_e32 v3, 3, v3
	v_cndmask_b32_e64 v4, v32, v4, s[20:21]
	v_and_b32_e32 v27, 0x80000000, v27
	v_cndmask_b32_e64 v3, v33, v3, s[20:21]
	v_lshl_add_u32 v4, v4, 23, v27
	v_lshl_or_b32 v3, v3, 21, v4
	v_add_u32_e32 v32, 0x38000000, v3
                                        ; implicit-def: $vgpr33
.LBB6_2870:                             ;   in Loop: Header=BB6_2438 Depth=2
	s_andn2_saveexec_b64 s[92:93], s[92:93]
; %bb.2871:                             ;   in Loop: Header=BB6_2438 Depth=2
	v_cmp_lt_i16_e64 s[20:21], -1, v27
	v_mov_b32_e32 v3, 0xff800000
	v_mov_b32_e32 v4, 0x7f800000
	v_cndmask_b32_e64 v3, v3, v4, s[20:21]
	v_cmp_eq_u32_e64 s[20:21], 0, v33
	v_mov_b32_e32 v4, 0x7f800001
	v_cndmask_b32_e64 v32, v4, v3, s[20:21]
; %bb.2872:                             ;   in Loop: Header=BB6_2438 Depth=2
	s_or_b64 exec, exec, s[92:93]
.LBB6_2873:                             ;   in Loop: Header=BB6_2438 Depth=2
	s_or_b64 exec, exec, s[24:25]
.LBB6_2874:                             ;   in Loop: Header=BB6_2438 Depth=2
	s_or_b64 exec, exec, s[22:23]
	v_lshrrev_b16_e32 v3, 8, v2
	v_cmp_lt_i16_e64 s[20:21], s65, v3
	s_mov_b64 s[22:23], 0
	s_and_saveexec_b64 s[24:25], s[20:21]
	s_xor_b64 s[24:25], exec, s[24:25]
	s_cbranch_execz .LBB6_2977
; %bb.2875:                             ;   in Loop: Header=BB6_2438 Depth=2
	v_cmp_eq_u16_e64 s[20:21], s55, v3
	s_mov_b64 s[22:23], -1
	s_and_saveexec_b64 s[92:93], s[20:21]
; %bb.2876:                             ;   in Loop: Header=BB6_2438 Depth=2
	s_xor_b64 s[22:23], exec, -1
; %bb.2877:                             ;   in Loop: Header=BB6_2438 Depth=2
	s_or_b64 exec, exec, s[92:93]
	s_and_b64 s[22:23], s[22:23], exec
	s_or_saveexec_b64 s[24:25], s[24:25]
	v_bfrev_b32_e32 v4, 1
	s_xor_b64 exec, exec, s[24:25]
	s_cbranch_execnz .LBB6_2978
.LBB6_2878:                             ;   in Loop: Header=BB6_2438 Depth=2
	s_or_b64 exec, exec, s[24:25]
	s_and_saveexec_b64 s[92:93], s[22:23]
	s_cbranch_execz .LBB6_2880
.LBB6_2879:                             ;   in Loop: Header=BB6_2438 Depth=2
	v_and_b32_e32 v27, 3, v3
	v_and_b32_e32 v33, 0x7c, v3
	v_cmp_eq_u32_e64 s[20:21], s53, v33
	v_ffbh_u32_e32 v33, v27
	v_min_u32_e32 v36, 32, v33
	v_mov_b32_e32 v4, v28
	v_subrev_u32_e32 v33, 29, v36
	v_bfe_u32 v35, v3, 2, 5
	v_lshlrev_b64 v[33:34], v33, v[3:4]
	v_cmp_eq_u32_e64 s[22:23], 0, v35
	v_sub_u32_e32 v4, 30, v36
	v_lshlrev_b32_e32 v3, 24, v3
	v_and_b32_e32 v33, 3, v33
	v_cndmask_b32_e64 v4, v35, v4, s[22:23]
	v_and_b32_e32 v3, 0x80000000, v3
	v_cndmask_b32_e64 v33, v27, v33, s[22:23]
	v_lshl_add_u32 v3, v4, 23, v3
	v_cmp_lt_i16_e64 s[24:25], -1, v2
	v_mov_b32_e32 v2, 0xff800000
	v_mov_b32_e32 v4, 0x7f800000
	v_lshl_or_b32 v3, v33, 21, v3
	v_cmp_eq_u32_e64 s[22:23], 0, v27
	v_cndmask_b32_e64 v2, v2, v4, s[24:25]
	v_mov_b32_e32 v4, 0x7f800001
	v_add_u32_e32 v3, 0x38000000, v3
	v_cndmask_b32_e64 v2, v4, v2, s[22:23]
	v_cndmask_b32_e64 v4, v3, v2, s[20:21]
.LBB6_2880:                             ;   in Loop: Header=BB6_2438 Depth=2
	s_or_b64 exec, exec, s[92:93]
	v_mul_f32_e32 v2, v32, v4
	v_and_b32_e32 v3, 0x7f800000, v2
	v_mov_b32_e32 v4, v28
	v_cmp_ne_u64_e64 s[20:21], s[60:61], v[3:4]
	v_and_b32_e32 v27, 0x7fffff, v2
                                        ; implicit-def: $vgpr32
	s_and_saveexec_b64 s[22:23], s[20:21]
	s_xor_b64 s[24:25], exec, s[22:23]
	s_cbranch_execz .LBB6_2894
; %bb.2881:                             ;   in Loop: Header=BB6_2438 Depth=2
	v_and_b32_e32 v3, 0x7fffffff, v2
	v_mov_b32_e32 v4, v28
	v_cmp_gt_u64_e64 s[20:21], s[62:63], v[3:4]
	v_and_b32_sdwa v33, v2, s55 dst_sel:DWORD dst_unused:UNUSED_PAD src0_sel:BYTE_3 src1_sel:DWORD
                                        ; implicit-def: $vgpr32
	s_and_saveexec_b64 s[22:23], s[20:21]
	s_xor_b64 s[92:93], exec, s[22:23]
	s_cbranch_execz .LBB6_2891
; %bb.2882:                             ;   in Loop: Header=BB6_2438 Depth=2
	v_mov_b32_e32 v32, 0
	v_cmp_ne_u32_e64 s[20:21], 0, v2
	s_and_saveexec_b64 s[94:95], s[20:21]
	s_cbranch_execz .LBB6_2890
; %bb.2883:                             ;   in Loop: Header=BB6_2438 Depth=2
	v_bfe_u32 v32, v2, 23, 8
	v_cmp_gt_u32_e64 s[22:23], s64, v32
	v_sub_u32_e32 v2, 0x71, v32
	v_cmp_eq_u32_e64 s[20:21], 0, v32
	v_cndmask_b32_e64 v2, 0, v2, s[22:23]
	v_mov_b32_e32 v4, 0x70
	v_cndmask_b32_e64 v34, v2, v4, s[20:21]
	v_add_u32_e32 v4, 21, v34
	v_or_b32_e32 v3, 0x800000, v27
	v_lshlrev_b64 v[35:36], v4, -1
	v_cndmask_b32_e64 v2, v3, v27, s[20:21]
	v_mov_b32_e32 v3, v28
	v_add_u32_e32 v4, 20, v34
	v_bfi_b32 v35, v35, 0, v2
	v_lshlrev_b64 v[37:38], v4, 1
	v_lshrrev_b64 v[2:3], v34, v[2:3]
	v_bfi_b32 v36, v36, 0, 0
	v_cmp_eq_u64_e64 s[22:23], v[35:36], v[37:38]
	v_mov_b32_e32 v4, v3
	v_mov_b32_e32 v3, v2
	s_and_saveexec_b64 s[30:31], s[22:23]
; %bb.2884:                             ;   in Loop: Header=BB6_2438 Depth=2
	v_bfe_u32 v3, v2, 21, 1
	v_add_co_u32_e64 v3, s[22:23], v2, v3
	v_add_co_u32_e64 v3, s[22:23], -1, v3
; %bb.2885:                             ;   in Loop: Header=BB6_2438 Depth=2
	s_or_b64 exec, exec, s[30:31]
	v_add_u32_e32 v4, 0xffffff81, v32
	v_mov_b32_e32 v27, 0xffffff82
	v_cndmask_b32_e64 v4, v4, v27, s[20:21]
	v_lshrrev_b32_e32 v27, 23, v2
	v_add3_u32 v34, v34, v4, v27
	v_add_u32_e32 v32, 14, v34
	v_and_b32_e32 v3, 0x1fffff, v3
	v_add_u32_e32 v27, v3, v2
	v_cmp_ne_u32_e64 s[20:21], 0, v32
                                        ; implicit-def: $vgpr2_vgpr3
                                        ; implicit-def: $vgpr4
	s_and_saveexec_b64 s[22:23], s[20:21]
	s_xor_b64 s[22:23], exec, s[22:23]
; %bb.2886:                             ;   in Loop: Header=BB6_2438 Depth=2
	v_cmp_lt_u64_e64 s[20:21], s[72:73], v[27:28]
	v_add_u32_e32 v2, 15, v34
	v_cndmask_b32_e64 v4, v32, v2, s[20:21]
	v_cndmask_b32_e64 v2, 0, 1, s[20:21]
	v_lshrrev_b64 v[2:3], v2, v[27:28]
; %bb.2887:                             ;   in Loop: Header=BB6_2438 Depth=2
	s_andn2_saveexec_b64 s[20:21], s[22:23]
; %bb.2888:                             ;   in Loop: Header=BB6_2438 Depth=2
	v_mov_b32_e32 v2, v27
	v_mov_b32_e32 v3, v28
	v_bfe_u32 v4, v27, 23, 1
; %bb.2889:                             ;   in Loop: Header=BB6_2438 Depth=2
	s_or_b64 exec, exec, s[20:21]
	v_lshrrev_b64 v[2:3], 21, v[2:3]
	v_cmp_gt_i32_e64 s[20:21], 32, v4
	v_cndmask_b32_e64 v3, 0, v3, s[20:21]
	v_cndmask_b32_e64 v2, 3, v2, s[20:21]
	v_cmp_eq_u64_e64 s[22:23], 0, v[2:3]
	v_min_i32_e32 v3, 31, v4
	v_lshlrev_b32_e32 v3, 2, v3
	v_cmp_eq_u32_e64 s[20:21], 0, v4
	v_and_b32_e32 v3, 0xfc, v3
	v_and_or_b32 v2, v2, 3, v3
	s_and_b64 s[20:21], s[20:21], s[22:23]
	v_cndmask_b32_e64 v2, v2, 0, s[20:21]
	v_or_b32_e32 v32, v2, v33
.LBB6_2890:                             ;   in Loop: Header=BB6_2438 Depth=2
	s_or_b64 exec, exec, s[94:95]
                                        ; implicit-def: $vgpr33
.LBB6_2891:                             ;   in Loop: Header=BB6_2438 Depth=2
	s_andn2_saveexec_b64 s[20:21], s[92:93]
; %bb.2892:                             ;   in Loop: Header=BB6_2438 Depth=2
	v_or_b32_e32 v32, 0x7b, v33
; %bb.2893:                             ;   in Loop: Header=BB6_2438 Depth=2
	s_or_b64 exec, exec, s[20:21]
                                        ; implicit-def: $vgpr2
.LBB6_2894:                             ;   in Loop: Header=BB6_2438 Depth=2
	s_andn2_saveexec_b64 s[22:23], s[24:25]
	s_cbranch_execz .LBB6_2900
; %bb.2895:                             ;   in Loop: Header=BB6_2438 Depth=2
	v_cmp_ne_u64_e64 s[20:21], 0, v[27:28]
                                        ; implicit-def: $vgpr32
	s_and_saveexec_b64 s[24:25], s[20:21]
	s_xor_b64 s[20:21], exec, s[24:25]
; %bb.2896:                             ;   in Loop: Header=BB6_2438 Depth=2
	v_or_b32_sdwa v32, v2, s65 dst_sel:DWORD dst_unused:UNUSED_PAD src0_sel:BYTE_3 src1_sel:DWORD
                                        ; implicit-def: $vgpr2
; %bb.2897:                             ;   in Loop: Header=BB6_2438 Depth=2
	s_andn2_saveexec_b64 s[24:25], s[20:21]
; %bb.2898:                             ;   in Loop: Header=BB6_2438 Depth=2
	v_cmp_lt_i32_e64 s[20:21], -1, v2
	v_bfrev_b32_e32 v2, 0.5
	v_mov_b32_e32 v3, 0x7c
	v_cndmask_b32_e64 v32, v2, v3, s[20:21]
; %bb.2899:                             ;   in Loop: Header=BB6_2438 Depth=2
	s_or_b64 exec, exec, s[24:25]
.LBB6_2900:                             ;   in Loop: Header=BB6_2438 Depth=2
	s_or_b64 exec, exec, s[22:23]
	v_lshrrev_b32_e32 v2, 16, v17
	v_cmp_ne_u16_sdwa s[20:21], v2, v28 src0_sel:BYTE_0 src1_sel:DWORD
	v_mov_b32_e32 v3, 0
	s_and_saveexec_b64 s[22:23], s[20:21]
	s_cbranch_execz .LBB6_2908
; %bb.2901:                             ;   in Loop: Header=BB6_2438 Depth=2
	v_cmp_ne_u16_sdwa s[20:21], v2, s55 src0_sel:BYTE_0 src1_sel:DWORD
	v_bfrev_b32_e32 v3, 1
	s_and_saveexec_b64 s[24:25], s[20:21]
	s_cbranch_execz .LBB6_2907
; %bb.2902:                             ;   in Loop: Header=BB6_2438 Depth=2
	v_and_b32_e32 v3, 0x7c0000, v17
	v_bfe_u32 v4, v17, 16, 2
	v_cmp_ne_u32_e64 s[20:21], s66, v3
                                        ; implicit-def: $vgpr3
	s_and_saveexec_b64 s[92:93], s[20:21]
	s_xor_b64 s[92:93], exec, s[92:93]
	s_cbranch_execz .LBB6_2904
; %bb.2903:                             ;   in Loop: Header=BB6_2438 Depth=2
	v_ffbh_u32_e32 v3, v4
	v_min_u32_e32 v33, 32, v3
	v_subrev_u32_e32 v3, 29, v33
	v_lshlrev_b64 v[2:3], v3, v[2:3]
	v_bfe_u32 v27, v17, 18, 5
	v_and_b32_e32 v2, 3, v2
	v_cmp_eq_u32_e64 s[20:21], 0, v27
	v_sub_u32_e32 v3, 30, v33
	v_cndmask_b32_e64 v2, v4, v2, s[20:21]
	v_lshlrev_b32_e32 v4, 8, v17
	v_cndmask_b32_e64 v3, v27, v3, s[20:21]
	v_and_b32_e32 v4, 0x80000000, v4
	v_lshl_add_u32 v3, v3, 23, v4
	v_lshl_or_b32 v2, v2, 21, v3
	v_add_u32_e32 v3, 0x38000000, v2
                                        ; implicit-def: $vgpr4
                                        ; implicit-def: $vgpr2
.LBB6_2904:                             ;   in Loop: Header=BB6_2438 Depth=2
	s_andn2_saveexec_b64 s[92:93], s[92:93]
; %bb.2905:                             ;   in Loop: Header=BB6_2438 Depth=2
	v_mov_b32_e32 v3, -1
	v_cmp_gt_i16_sdwa s[20:21], sext(v2), v3 src0_sel:BYTE_0 src1_sel:DWORD
	v_mov_b32_e32 v2, 0xff800000
	v_mov_b32_e32 v3, 0x7f800000
	v_cndmask_b32_e64 v2, v2, v3, s[20:21]
	v_cmp_eq_u32_e64 s[20:21], 0, v4
	v_mov_b32_e32 v3, 0x7f800001
	v_cndmask_b32_e64 v3, v3, v2, s[20:21]
; %bb.2906:                             ;   in Loop: Header=BB6_2438 Depth=2
	s_or_b64 exec, exec, s[92:93]
.LBB6_2907:                             ;   in Loop: Header=BB6_2438 Depth=2
	s_or_b64 exec, exec, s[24:25]
.LBB6_2908:                             ;   in Loop: Header=BB6_2438 Depth=2
	s_or_b64 exec, exec, s[22:23]
	v_lshrrev_b32_e32 v2, 16, v13
	v_cmp_gt_i16_sdwa s[22:23], v2, s65 src0_sel:BYTE_0 src1_sel:DWORD
	s_mov_b64 s[20:21], 0
	s_and_saveexec_b64 s[24:25], s[22:23]
	s_xor_b64 s[22:23], exec, s[24:25]
	s_cbranch_execz .LBB6_2979
; %bb.2909:                             ;   in Loop: Header=BB6_2438 Depth=2
	v_cmp_eq_u16_sdwa s[92:93], v2, s55 src0_sel:BYTE_0 src1_sel:DWORD
	s_mov_b64 s[20:21], -1
	s_and_saveexec_b64 s[24:25], s[92:93]
; %bb.2910:                             ;   in Loop: Header=BB6_2438 Depth=2
	s_xor_b64 s[20:21], exec, -1
; %bb.2911:                             ;   in Loop: Header=BB6_2438 Depth=2
	s_or_b64 exec, exec, s[24:25]
	s_and_b64 s[20:21], s[20:21], exec
	s_or_saveexec_b64 s[22:23], s[22:23]
	v_bfrev_b32_e32 v4, 1
	s_xor_b64 exec, exec, s[22:23]
	s_cbranch_execnz .LBB6_2980
.LBB6_2912:                             ;   in Loop: Header=BB6_2438 Depth=2
	s_or_b64 exec, exec, s[22:23]
	s_and_saveexec_b64 s[92:93], s[20:21]
	s_cbranch_execz .LBB6_2914
.LBB6_2913:                             ;   in Loop: Header=BB6_2438 Depth=2
	v_and_b32_e32 v4, 3, v2
	v_and_b32_e32 v33, 0x7c0000, v13
	v_cmp_eq_u32_e64 s[20:21], s66, v33
	v_ffbh_u32_e32 v33, v4
	v_min_u32_e32 v35, 32, v33
	v_subrev_u32_e32 v33, 29, v35
	v_bfe_u32 v27, v13, 18, 5
	v_lshlrev_b64 v[33:34], v33, v[2:3]
	v_cmp_eq_u32_e64 s[22:23], 0, v27
	v_sub_u32_e32 v34, 30, v35
	v_and_b32_e32 v33, 3, v33
	v_cndmask_b32_e64 v27, v27, v34, s[22:23]
	v_lshlrev_b32_e32 v34, 24, v2
	v_cndmask_b32_e64 v33, v4, v33, s[22:23]
	v_and_b32_e32 v34, 0x80000000, v34
	v_cmp_eq_u32_e64 s[22:23], 0, v4
	v_mov_b32_e32 v4, -1
	v_lshl_add_u32 v27, v27, 23, v34
	v_cmp_gt_i16_sdwa s[24:25], sext(v2), v4 src0_sel:BYTE_0 src1_sel:DWORD
	v_mov_b32_e32 v2, 0xff800000
	v_mov_b32_e32 v4, 0x7f800000
	v_lshl_or_b32 v27, v33, 21, v27
	v_cndmask_b32_e64 v2, v2, v4, s[24:25]
	v_mov_b32_e32 v4, 0x7f800001
	v_add_u32_e32 v27, 0x38000000, v27
	v_cndmask_b32_e64 v2, v4, v2, s[22:23]
	v_cndmask_b32_e64 v4, v27, v2, s[20:21]
.LBB6_2914:                             ;   in Loop: Header=BB6_2438 Depth=2
	s_or_b64 exec, exec, s[92:93]
	v_mul_f32_e32 v2, v3, v4
	v_and_b32_e32 v3, 0x7f800000, v2
	v_mov_b32_e32 v4, v28
	v_cmp_ne_u64_e64 s[20:21], s[60:61], v[3:4]
	v_and_b32_e32 v27, 0x7fffff, v2
                                        ; implicit-def: $vgpr33
	s_and_saveexec_b64 s[22:23], s[20:21]
	s_xor_b64 s[24:25], exec, s[22:23]
	s_cbranch_execz .LBB6_2928
; %bb.2915:                             ;   in Loop: Header=BB6_2438 Depth=2
	v_and_b32_e32 v3, 0x7fffffff, v2
	v_mov_b32_e32 v4, v28
	v_cmp_gt_u64_e64 s[20:21], s[62:63], v[3:4]
	v_and_b32_sdwa v34, v2, s55 dst_sel:DWORD dst_unused:UNUSED_PAD src0_sel:BYTE_3 src1_sel:DWORD
                                        ; implicit-def: $vgpr33
	s_and_saveexec_b64 s[22:23], s[20:21]
	s_xor_b64 s[92:93], exec, s[22:23]
	s_cbranch_execz .LBB6_2925
; %bb.2916:                             ;   in Loop: Header=BB6_2438 Depth=2
	v_mov_b32_e32 v33, 0
	v_cmp_ne_u32_e64 s[20:21], 0, v2
	s_and_saveexec_b64 s[94:95], s[20:21]
	s_cbranch_execz .LBB6_2924
; %bb.2917:                             ;   in Loop: Header=BB6_2438 Depth=2
	v_bfe_u32 v33, v2, 23, 8
	v_cmp_gt_u32_e64 s[22:23], s64, v33
	v_sub_u32_e32 v2, 0x71, v33
	v_cmp_eq_u32_e64 s[20:21], 0, v33
	v_cndmask_b32_e64 v2, 0, v2, s[22:23]
	v_mov_b32_e32 v4, 0x70
	v_cndmask_b32_e64 v35, v2, v4, s[20:21]
	v_add_u32_e32 v4, 21, v35
	v_or_b32_e32 v3, 0x800000, v27
	v_lshlrev_b64 v[36:37], v4, -1
	v_cndmask_b32_e64 v2, v3, v27, s[20:21]
	v_mov_b32_e32 v3, v28
	v_add_u32_e32 v4, 20, v35
	v_bfi_b32 v36, v36, 0, v2
	v_lshlrev_b64 v[38:39], v4, 1
	v_lshrrev_b64 v[2:3], v35, v[2:3]
	v_bfi_b32 v37, v37, 0, 0
	v_cmp_eq_u64_e64 s[22:23], v[36:37], v[38:39]
	v_mov_b32_e32 v4, v3
	v_mov_b32_e32 v3, v2
	s_and_saveexec_b64 s[30:31], s[22:23]
; %bb.2918:                             ;   in Loop: Header=BB6_2438 Depth=2
	v_bfe_u32 v3, v2, 21, 1
	v_add_co_u32_e64 v3, s[22:23], v2, v3
	v_add_co_u32_e64 v3, s[22:23], -1, v3
; %bb.2919:                             ;   in Loop: Header=BB6_2438 Depth=2
	s_or_b64 exec, exec, s[30:31]
	v_add_u32_e32 v4, 0xffffff81, v33
	v_mov_b32_e32 v27, 0xffffff82
	v_cndmask_b32_e64 v4, v4, v27, s[20:21]
	v_lshrrev_b32_e32 v27, 23, v2
	v_add3_u32 v35, v35, v4, v27
	v_add_u32_e32 v33, 14, v35
	v_and_b32_e32 v3, 0x1fffff, v3
	v_add_u32_e32 v27, v3, v2
	v_cmp_ne_u32_e64 s[20:21], 0, v33
                                        ; implicit-def: $vgpr2_vgpr3
                                        ; implicit-def: $vgpr4
	s_and_saveexec_b64 s[22:23], s[20:21]
	s_xor_b64 s[22:23], exec, s[22:23]
; %bb.2920:                             ;   in Loop: Header=BB6_2438 Depth=2
	v_cmp_lt_u64_e64 s[20:21], s[72:73], v[27:28]
	v_add_u32_e32 v2, 15, v35
	v_cndmask_b32_e64 v4, v33, v2, s[20:21]
	v_cndmask_b32_e64 v2, 0, 1, s[20:21]
	v_lshrrev_b64 v[2:3], v2, v[27:28]
; %bb.2921:                             ;   in Loop: Header=BB6_2438 Depth=2
	s_andn2_saveexec_b64 s[20:21], s[22:23]
; %bb.2922:                             ;   in Loop: Header=BB6_2438 Depth=2
	v_mov_b32_e32 v2, v27
	v_mov_b32_e32 v3, v28
	v_bfe_u32 v4, v27, 23, 1
; %bb.2923:                             ;   in Loop: Header=BB6_2438 Depth=2
	s_or_b64 exec, exec, s[20:21]
	v_lshrrev_b64 v[2:3], 21, v[2:3]
	v_cmp_gt_i32_e64 s[20:21], 32, v4
	v_cndmask_b32_e64 v3, 0, v3, s[20:21]
	v_cndmask_b32_e64 v2, 3, v2, s[20:21]
	v_cmp_eq_u64_e64 s[22:23], 0, v[2:3]
	v_min_i32_e32 v3, 31, v4
	v_lshlrev_b32_e32 v3, 2, v3
	v_cmp_eq_u32_e64 s[20:21], 0, v4
	v_and_b32_e32 v3, 0xfc, v3
	v_and_or_b32 v2, v2, 3, v3
	s_and_b64 s[20:21], s[20:21], s[22:23]
	v_cndmask_b32_e64 v2, v2, 0, s[20:21]
	v_or_b32_e32 v33, v2, v34
.LBB6_2924:                             ;   in Loop: Header=BB6_2438 Depth=2
	s_or_b64 exec, exec, s[94:95]
                                        ; implicit-def: $vgpr34
.LBB6_2925:                             ;   in Loop: Header=BB6_2438 Depth=2
	s_andn2_saveexec_b64 s[20:21], s[92:93]
; %bb.2926:                             ;   in Loop: Header=BB6_2438 Depth=2
	v_or_b32_e32 v33, 0x7b, v34
; %bb.2927:                             ;   in Loop: Header=BB6_2438 Depth=2
	s_or_b64 exec, exec, s[20:21]
                                        ; implicit-def: $vgpr2
.LBB6_2928:                             ;   in Loop: Header=BB6_2438 Depth=2
	s_andn2_saveexec_b64 s[22:23], s[24:25]
	s_cbranch_execz .LBB6_2934
; %bb.2929:                             ;   in Loop: Header=BB6_2438 Depth=2
	v_cmp_ne_u64_e64 s[20:21], 0, v[27:28]
                                        ; implicit-def: $vgpr33
	s_and_saveexec_b64 s[24:25], s[20:21]
	s_xor_b64 s[20:21], exec, s[24:25]
; %bb.2930:                             ;   in Loop: Header=BB6_2438 Depth=2
	v_or_b32_sdwa v33, v2, s65 dst_sel:DWORD dst_unused:UNUSED_PAD src0_sel:BYTE_3 src1_sel:DWORD
                                        ; implicit-def: $vgpr2
; %bb.2931:                             ;   in Loop: Header=BB6_2438 Depth=2
	s_andn2_saveexec_b64 s[24:25], s[20:21]
; %bb.2932:                             ;   in Loop: Header=BB6_2438 Depth=2
	v_cmp_lt_i32_e64 s[20:21], -1, v2
	v_bfrev_b32_e32 v2, 0.5
	v_mov_b32_e32 v3, 0x7c
	v_cndmask_b32_e64 v33, v2, v3, s[20:21]
; %bb.2933:                             ;   in Loop: Header=BB6_2438 Depth=2
	s_or_b64 exec, exec, s[24:25]
.LBB6_2934:                             ;   in Loop: Header=BB6_2438 Depth=2
	s_or_b64 exec, exec, s[22:23]
	v_cmp_lt_u64_e64 s[20:21], s[58:59], v[16:17]
	v_mov_b32_e32 v3, 0
	s_and_saveexec_b64 s[22:23], s[20:21]
	s_cbranch_execz .LBB6_2942
; %bb.2935:                             ;   in Loop: Header=BB6_2438 Depth=2
	v_lshrrev_b32_e32 v2, 24, v17
	v_cmp_ne_u32_e64 s[20:21], s55, v2
	v_bfrev_b32_e32 v3, 1
	s_and_saveexec_b64 s[24:25], s[20:21]
	s_cbranch_execz .LBB6_2941
; %bb.2936:                             ;   in Loop: Header=BB6_2438 Depth=2
	v_and_b32_e32 v3, 0x7c000000, v17
	v_bfe_u32 v4, v17, 24, 2
	v_cmp_ne_u32_e64 s[20:21], s67, v3
                                        ; implicit-def: $vgpr3
	s_and_saveexec_b64 s[92:93], s[20:21]
	s_xor_b64 s[92:93], exec, s[92:93]
	s_cbranch_execz .LBB6_2938
; %bb.2937:                             ;   in Loop: Header=BB6_2438 Depth=2
	v_ffbh_u32_e32 v3, v4
	v_min_u32_e32 v27, 32, v3
	v_subrev_u32_e32 v3, 29, v27
	v_lshlrev_b64 v[2:3], v3, v[2:3]
	v_bfe_u32 v16, v17, 26, 5
	v_sub_u32_e32 v3, 30, v27
	v_and_b32_e32 v2, 3, v2
	v_cmp_eq_u32_e64 s[20:21], 0, v16
	v_cndmask_b32_e64 v3, v16, v3, s[20:21]
	v_cndmask_b32_e64 v2, v4, v2, s[20:21]
	v_and_b32_e32 v4, 0x80000000, v17
	v_lshl_add_u32 v3, v3, 23, v4
	v_lshl_or_b32 v2, v2, 21, v3
	v_add_u32_e32 v3, 0x38000000, v2
                                        ; implicit-def: $vgpr4
                                        ; implicit-def: $vgpr16_vgpr17
.LBB6_2938:                             ;   in Loop: Header=BB6_2438 Depth=2
	s_andn2_saveexec_b64 s[92:93], s[92:93]
; %bb.2939:                             ;   in Loop: Header=BB6_2438 Depth=2
	v_cmp_lt_i64_e64 s[20:21], -1, v[16:17]
	v_mov_b32_e32 v2, 0xff800000
	v_mov_b32_e32 v3, 0x7f800000
	v_cndmask_b32_e64 v2, v2, v3, s[20:21]
	v_cmp_eq_u32_e64 s[20:21], 0, v4
	v_mov_b32_e32 v3, 0x7f800001
	v_cndmask_b32_e64 v3, v3, v2, s[20:21]
; %bb.2940:                             ;   in Loop: Header=BB6_2438 Depth=2
	s_or_b64 exec, exec, s[92:93]
.LBB6_2941:                             ;   in Loop: Header=BB6_2438 Depth=2
	s_or_b64 exec, exec, s[24:25]
.LBB6_2942:                             ;   in Loop: Header=BB6_2438 Depth=2
	s_or_b64 exec, exec, s[22:23]
	v_bfe_u32 v4, v13, 24, 2
	v_and_b32_e32 v16, 0x7c000000, v13
	v_cmp_eq_u32_e64 s[20:21], s67, v16
	v_ffbh_u32_e32 v16, v4
	v_min_u32_e32 v34, 32, v16
	v_lshrrev_b32_e32 v2, 24, v13
	v_subrev_u32_e32 v16, 29, v34
	v_bfe_u32 v27, v13, 26, 5
	v_lshlrev_b64 v[16:17], v16, v[2:3]
	v_cmp_eq_u32_e64 s[22:23], 0, v27
	v_sub_u32_e32 v17, 30, v34
	v_and_b32_e32 v16, 3, v16
	v_cndmask_b32_e64 v17, v27, v17, s[22:23]
	v_and_b32_e32 v27, 0x80000000, v13
	v_cndmask_b32_e64 v16, v4, v16, s[22:23]
	v_lshl_add_u32 v17, v17, 23, v27
	v_cmp_lt_i64_e64 s[24:25], -1, v[12:13]
	v_lshl_or_b32 v16, v16, 21, v17
	v_cmp_eq_u32_e64 s[22:23], 0, v4
	v_mov_b32_e32 v4, 0xff800000
	v_mov_b32_e32 v17, 0x7f800000
	v_cndmask_b32_e64 v4, v4, v17, s[24:25]
	v_mov_b32_e32 v17, 0x7f800001
	v_add_u32_e32 v16, 0x38000000, v16
	v_cndmask_b32_e64 v4, v17, v4, s[22:23]
	v_cndmask_b32_e64 v4, v16, v4, s[20:21]
	v_cmp_ne_u32_e64 s[20:21], s55, v2
	v_bfrev_b32_e32 v2, 1
	v_cndmask_b32_e64 v2, v2, v4, s[20:21]
	v_cmp_lt_u64_e64 s[20:21], s[58:59], v[12:13]
	v_mov_b32_e32 v13, v28
	v_cndmask_b32_e64 v2, 0, v2, s[20:21]
	v_mul_f32_e32 v3, v2, v3
	v_and_b32_e32 v12, 0x7f800000, v3
	v_cmp_ne_u64_e64 s[20:21], s[60:61], v[12:13]
	v_and_b32_e32 v27, 0x7fffff, v3
                                        ; implicit-def: $vgpr2
	s_and_saveexec_b64 s[22:23], s[20:21]
	s_xor_b64 s[24:25], exec, s[22:23]
	s_cbranch_execz .LBB6_2956
; %bb.2943:                             ;   in Loop: Header=BB6_2438 Depth=2
	v_and_b32_e32 v12, 0x7fffffff, v3
	v_mov_b32_e32 v13, v28
	v_cmp_gt_u64_e64 s[20:21], s[62:63], v[12:13]
	v_and_b32_sdwa v12, v3, s55 dst_sel:DWORD dst_unused:UNUSED_PAD src0_sel:BYTE_3 src1_sel:DWORD
                                        ; implicit-def: $vgpr2
	s_and_saveexec_b64 s[22:23], s[20:21]
	s_xor_b64 s[92:93], exec, s[22:23]
	s_cbranch_execz .LBB6_2953
; %bb.2944:                             ;   in Loop: Header=BB6_2438 Depth=2
	v_mov_b32_e32 v2, 0
	v_cmp_ne_u32_e64 s[20:21], 0, v3
	s_and_saveexec_b64 s[94:95], s[20:21]
	s_cbranch_execz .LBB6_2952
; %bb.2945:                             ;   in Loop: Header=BB6_2438 Depth=2
	v_bfe_u32 v13, v3, 23, 8
	v_cmp_gt_u32_e64 s[22:23], s64, v13
	v_sub_u32_e32 v2, 0x71, v13
	v_cmp_eq_u32_e64 s[20:21], 0, v13
	v_cndmask_b32_e64 v2, 0, v2, s[22:23]
	v_mov_b32_e32 v4, 0x70
	v_cndmask_b32_e64 v16, v2, v4, s[20:21]
	v_add_u32_e32 v4, 21, v16
	v_or_b32_e32 v3, 0x800000, v27
	v_lshlrev_b64 v[34:35], v4, -1
	v_cndmask_b32_e64 v2, v3, v27, s[20:21]
	v_mov_b32_e32 v3, v28
	v_add_u32_e32 v4, 20, v16
	v_bfi_b32 v34, v34, 0, v2
	v_lshlrev_b64 v[36:37], v4, 1
	v_lshrrev_b64 v[2:3], v16, v[2:3]
	v_bfi_b32 v35, v35, 0, 0
	v_cmp_eq_u64_e64 s[22:23], v[34:35], v[36:37]
	v_mov_b32_e32 v4, v3
	v_mov_b32_e32 v3, v2
	s_and_saveexec_b64 s[30:31], s[22:23]
; %bb.2946:                             ;   in Loop: Header=BB6_2438 Depth=2
	v_bfe_u32 v3, v2, 21, 1
	v_add_co_u32_e64 v3, s[22:23], v2, v3
	v_add_co_u32_e64 v3, s[22:23], -1, v3
; %bb.2947:                             ;   in Loop: Header=BB6_2438 Depth=2
	s_or_b64 exec, exec, s[30:31]
	v_add_u32_e32 v4, 0xffffff81, v13
	v_mov_b32_e32 v13, 0xffffff82
	v_cndmask_b32_e64 v4, v4, v13, s[20:21]
	v_lshrrev_b32_e32 v13, 23, v2
	v_add3_u32 v16, v16, v4, v13
	v_add_u32_e32 v13, 14, v16
	v_and_b32_e32 v3, 0x1fffff, v3
	v_add_u32_e32 v27, v3, v2
	v_cmp_ne_u32_e64 s[20:21], 0, v13
                                        ; implicit-def: $vgpr2_vgpr3
                                        ; implicit-def: $vgpr4
	s_and_saveexec_b64 s[22:23], s[20:21]
	s_xor_b64 s[22:23], exec, s[22:23]
; %bb.2948:                             ;   in Loop: Header=BB6_2438 Depth=2
	v_cmp_lt_u64_e64 s[20:21], s[72:73], v[27:28]
	v_add_u32_e32 v2, 15, v16
	v_cndmask_b32_e64 v4, v13, v2, s[20:21]
	v_cndmask_b32_e64 v2, 0, 1, s[20:21]
	v_lshrrev_b64 v[2:3], v2, v[27:28]
; %bb.2949:                             ;   in Loop: Header=BB6_2438 Depth=2
	s_andn2_saveexec_b64 s[20:21], s[22:23]
; %bb.2950:                             ;   in Loop: Header=BB6_2438 Depth=2
	v_mov_b32_e32 v2, v27
	v_mov_b32_e32 v3, v28
	v_bfe_u32 v4, v27, 23, 1
; %bb.2951:                             ;   in Loop: Header=BB6_2438 Depth=2
	s_or_b64 exec, exec, s[20:21]
	v_lshrrev_b64 v[2:3], 21, v[2:3]
	v_cmp_gt_i32_e64 s[20:21], 32, v4
	v_cndmask_b32_e64 v3, 0, v3, s[20:21]
	v_cndmask_b32_e64 v2, 3, v2, s[20:21]
	v_cmp_eq_u64_e64 s[22:23], 0, v[2:3]
	v_min_i32_e32 v3, 31, v4
	v_lshlrev_b32_e32 v3, 2, v3
	v_cmp_eq_u32_e64 s[20:21], 0, v4
	v_and_b32_e32 v3, 0xfc, v3
	v_and_or_b32 v2, v2, 3, v3
	s_and_b64 s[20:21], s[20:21], s[22:23]
	v_cndmask_b32_e64 v2, v2, 0, s[20:21]
	v_or_b32_e32 v2, v2, v12
.LBB6_2952:                             ;   in Loop: Header=BB6_2438 Depth=2
	s_or_b64 exec, exec, s[94:95]
                                        ; implicit-def: $vgpr12
.LBB6_2953:                             ;   in Loop: Header=BB6_2438 Depth=2
	s_andn2_saveexec_b64 s[20:21], s[92:93]
; %bb.2954:                             ;   in Loop: Header=BB6_2438 Depth=2
	v_or_b32_e32 v2, 0x7b, v12
; %bb.2955:                             ;   in Loop: Header=BB6_2438 Depth=2
	s_or_b64 exec, exec, s[20:21]
                                        ; implicit-def: $vgpr3
.LBB6_2956:                             ;   in Loop: Header=BB6_2438 Depth=2
	s_andn2_saveexec_b64 s[22:23], s[24:25]
	s_cbranch_execz .LBB6_2437
; %bb.2957:                             ;   in Loop: Header=BB6_2438 Depth=2
	v_cmp_ne_u64_e64 s[20:21], 0, v[27:28]
                                        ; implicit-def: $vgpr2
	s_and_saveexec_b64 s[24:25], s[20:21]
	s_xor_b64 s[20:21], exec, s[24:25]
; %bb.2958:                             ;   in Loop: Header=BB6_2438 Depth=2
	v_or_b32_sdwa v2, v3, s65 dst_sel:DWORD dst_unused:UNUSED_PAD src0_sel:BYTE_3 src1_sel:DWORD
                                        ; implicit-def: $vgpr3
; %bb.2959:                             ;   in Loop: Header=BB6_2438 Depth=2
	s_andn2_saveexec_b64 s[24:25], s[20:21]
	s_cbranch_execz .LBB6_2436
; %bb.2960:                             ;   in Loop: Header=BB6_2438 Depth=2
	v_cmp_lt_i32_e64 s[20:21], -1, v3
	v_bfrev_b32_e32 v2, 0.5
	v_mov_b32_e32 v3, 0x7c
	v_cndmask_b32_e64 v2, v2, v3, s[20:21]
	s_branch .LBB6_2436
.LBB6_2961:                             ;   in Loop: Header=BB6_2438 Depth=2
	s_or_saveexec_b64 s[22:23], s[22:23]
	v_bfrev_b32_e32 v3, 1
	s_xor_b64 exec, exec, s[22:23]
	s_cbranch_execz .LBB6_2450
.LBB6_2962:                             ;   in Loop: Header=BB6_2438 Depth=2
	v_cmp_ne_u16_sdwa s[24:25], v10, v28 src0_sel:BYTE_0 src1_sel:DWORD
	s_andn2_b64 s[20:21], s[20:21], exec
	s_and_b64 s[24:25], s[24:25], exec
	v_mov_b32_e32 v3, 0
	s_or_b64 s[20:21], s[20:21], s[24:25]
	s_or_b64 exec, exec, s[22:23]
	s_and_saveexec_b64 s[92:93], s[20:21]
	s_cbranch_execnz .LBB6_2451
	s_branch .LBB6_2452
.LBB6_2963:                             ;   in Loop: Header=BB6_2438 Depth=2
	s_or_saveexec_b64 s[24:25], s[24:25]
	v_bfrev_b32_e32 v3, 1
	s_xor_b64 exec, exec, s[24:25]
	s_cbranch_execz .LBB6_2484
.LBB6_2964:                             ;   in Loop: Header=BB6_2438 Depth=2
	v_cmp_ne_u16_e64 s[20:21], 0, v2
	s_andn2_b64 s[22:23], s[22:23], exec
	s_and_b64 s[20:21], s[20:21], exec
	v_mov_b32_e32 v3, 0
	s_or_b64 s[22:23], s[22:23], s[20:21]
	s_or_b64 exec, exec, s[24:25]
	s_and_saveexec_b64 s[92:93], s[22:23]
	s_cbranch_execnz .LBB6_2485
	s_branch .LBB6_2486
.LBB6_2965:                             ;   in Loop: Header=BB6_2438 Depth=2
	s_or_saveexec_b64 s[22:23], s[22:23]
	v_bfrev_b32_e32 v4, 1
	s_xor_b64 exec, exec, s[22:23]
	s_cbranch_execz .LBB6_2518
.LBB6_2966:                             ;   in Loop: Header=BB6_2438 Depth=2
	v_cmp_ne_u16_sdwa s[24:25], v2, v28 src0_sel:BYTE_0 src1_sel:DWORD
	s_andn2_b64 s[20:21], s[20:21], exec
	s_and_b64 s[24:25], s[24:25], exec
	v_mov_b32_e32 v4, 0
	s_or_b64 s[20:21], s[20:21], s[24:25]
	s_or_b64 exec, exec, s[22:23]
	s_and_saveexec_b64 s[92:93], s[20:21]
	s_cbranch_execnz .LBB6_2519
	s_branch .LBB6_2520
.LBB6_2967:                             ;   in Loop: Header=BB6_2438 Depth=2
	s_or_saveexec_b64 s[24:25], s[24:25]
	v_bfrev_b32_e32 v4, 1
	s_xor_b64 exec, exec, s[24:25]
	s_cbranch_execz .LBB6_2616
.LBB6_2968:                             ;   in Loop: Header=BB6_2438 Depth=2
	v_cmp_ne_u16_e64 s[20:21], 0, v3
	s_andn2_b64 s[22:23], s[22:23], exec
	s_and_b64 s[20:21], s[20:21], exec
	v_mov_b32_e32 v4, 0
	s_or_b64 s[22:23], s[22:23], s[20:21]
	s_or_b64 exec, exec, s[24:25]
	s_and_saveexec_b64 s[92:93], s[22:23]
	s_cbranch_execnz .LBB6_2617
	s_branch .LBB6_2618
.LBB6_2969:                             ;   in Loop: Header=BB6_2438 Depth=2
	s_or_saveexec_b64 s[22:23], s[22:23]
	v_bfrev_b32_e32 v4, 1
	s_xor_b64 exec, exec, s[22:23]
	s_cbranch_execz .LBB6_2650
.LBB6_2970:                             ;   in Loop: Header=BB6_2438 Depth=2
	v_cmp_ne_u16_sdwa s[24:25], v2, v28 src0_sel:BYTE_0 src1_sel:DWORD
	s_andn2_b64 s[20:21], s[20:21], exec
	s_and_b64 s[24:25], s[24:25], exec
	v_mov_b32_e32 v4, 0
	s_or_b64 s[20:21], s[20:21], s[24:25]
	s_or_b64 exec, exec, s[22:23]
	s_and_saveexec_b64 s[92:93], s[20:21]
	s_cbranch_execnz .LBB6_2651
	s_branch .LBB6_2652
.LBB6_2971:                             ;   in Loop: Header=BB6_2438 Depth=2
	s_or_saveexec_b64 s[22:23], s[22:23]
	v_bfrev_b32_e32 v3, 1
	s_xor_b64 exec, exec, s[22:23]
	s_cbranch_execz .LBB6_2712
.LBB6_2972:                             ;   in Loop: Header=BB6_2438 Depth=2
	v_cmp_ne_u16_sdwa s[24:25], v12, v28 src0_sel:BYTE_0 src1_sel:DWORD
	s_andn2_b64 s[20:21], s[20:21], exec
	s_and_b64 s[24:25], s[24:25], exec
	v_mov_b32_e32 v3, 0
	s_or_b64 s[20:21], s[20:21], s[24:25]
	s_or_b64 exec, exec, s[22:23]
	s_and_saveexec_b64 s[92:93], s[20:21]
	s_cbranch_execnz .LBB6_2713
	s_branch .LBB6_2714
.LBB6_2973:                             ;   in Loop: Header=BB6_2438 Depth=2
	s_or_saveexec_b64 s[24:25], s[24:25]
	v_bfrev_b32_e32 v3, 1
	s_xor_b64 exec, exec, s[24:25]
	s_cbranch_execz .LBB6_2746
.LBB6_2974:                             ;   in Loop: Header=BB6_2438 Depth=2
	v_cmp_ne_u16_e64 s[20:21], 0, v2
	s_andn2_b64 s[22:23], s[22:23], exec
	s_and_b64 s[20:21], s[20:21], exec
	v_mov_b32_e32 v3, 0
	s_or_b64 s[22:23], s[22:23], s[20:21]
	s_or_b64 exec, exec, s[24:25]
	s_and_saveexec_b64 s[92:93], s[22:23]
	s_cbranch_execnz .LBB6_2747
	s_branch .LBB6_2748
.LBB6_2975:                             ;   in Loop: Header=BB6_2438 Depth=2
	s_or_saveexec_b64 s[22:23], s[22:23]
	v_bfrev_b32_e32 v4, 1
	s_xor_b64 exec, exec, s[22:23]
	s_cbranch_execz .LBB6_2780
.LBB6_2976:                             ;   in Loop: Header=BB6_2438 Depth=2
	v_cmp_ne_u16_sdwa s[24:25], v2, v28 src0_sel:BYTE_0 src1_sel:DWORD
	s_andn2_b64 s[20:21], s[20:21], exec
	s_and_b64 s[24:25], s[24:25], exec
	v_mov_b32_e32 v4, 0
	s_or_b64 s[20:21], s[20:21], s[24:25]
	s_or_b64 exec, exec, s[22:23]
	s_and_saveexec_b64 s[92:93], s[20:21]
	s_cbranch_execnz .LBB6_2781
	s_branch .LBB6_2782
.LBB6_2977:                             ;   in Loop: Header=BB6_2438 Depth=2
	s_or_saveexec_b64 s[24:25], s[24:25]
	v_bfrev_b32_e32 v4, 1
	s_xor_b64 exec, exec, s[24:25]
	s_cbranch_execz .LBB6_2878
.LBB6_2978:                             ;   in Loop: Header=BB6_2438 Depth=2
	v_cmp_ne_u16_e64 s[20:21], 0, v3
	s_andn2_b64 s[22:23], s[22:23], exec
	s_and_b64 s[20:21], s[20:21], exec
	v_mov_b32_e32 v4, 0
	s_or_b64 s[22:23], s[22:23], s[20:21]
	s_or_b64 exec, exec, s[24:25]
	s_and_saveexec_b64 s[92:93], s[22:23]
	s_cbranch_execnz .LBB6_2879
	s_branch .LBB6_2880
.LBB6_2979:                             ;   in Loop: Header=BB6_2438 Depth=2
	s_or_saveexec_b64 s[22:23], s[22:23]
	v_bfrev_b32_e32 v4, 1
	s_xor_b64 exec, exec, s[22:23]
	s_cbranch_execz .LBB6_2912
.LBB6_2980:                             ;   in Loop: Header=BB6_2438 Depth=2
	v_cmp_ne_u16_sdwa s[24:25], v2, v28 src0_sel:BYTE_0 src1_sel:DWORD
	s_andn2_b64 s[20:21], s[20:21], exec
	s_and_b64 s[24:25], s[24:25], exec
	v_mov_b32_e32 v4, 0
	s_or_b64 s[20:21], s[20:21], s[24:25]
	s_or_b64 exec, exec, s[22:23]
	s_and_saveexec_b64 s[92:93], s[20:21]
	s_cbranch_execnz .LBB6_2913
	s_branch .LBB6_2914
.LBB6_2981:                             ;   in Loop: Header=BB6_49 Depth=1
	s_or_b64 exec, exec, s[90:91]
.LBB6_2982:                             ;   in Loop: Header=BB6_49 Depth=1
	s_or_b64 exec, exec, s[88:89]
	buffer_load_dword v0, off, s[0:3], s33 offset:336 ; 4-byte Folded Reload
	v_mov_b32_e32 v3, 0
	s_mov_b64 s[24:25], 0
                                        ; implicit-def: $vgpr2
	s_waitcnt vmcnt(0)
	v_and_b32_e32 v0, 15, v0
	v_cndmask_b32_e32 v4, v8, v0, vcc
	v_cmp_ne_u32_e64 s[20:21], 0, v4
                                        ; implicit-def: $vgpr0
	s_and_saveexec_b64 s[22:23], s[20:21]
	s_cbranch_execz .LBB6_2984
; %bb.2983:                             ;   in Loop: Header=BB6_49 Depth=1
	buffer_load_dword v1, off, s[0:3], s33 offset:336 ; 4-byte Folded Reload
	s_mov_b64 s[24:25], exec
	s_waitcnt vmcnt(0)
	v_and_b32_e32 v0, 0x3f0, v1
	v_cndmask_b32_e32 v0, 0, v0, vcc
	v_and_or_b32 v3, v1, s68, v0
	buffer_load_dword v0, off, s[0:3], s33 offset:236 ; 4-byte Folded Reload
	v_cmp_lt_i32_e32 vcc, 0, v7
	s_waitcnt vmcnt(0)
	v_cndmask_b32_e32 v0, 0, v0, vcc
	v_sub_u32_e32 v0, v0, v7
	v_lshl_add_u32 v2, v0, 6, v6
	v_ashrrev_i32_e32 v0, 31, v2
	v_lshrrev_b32_e32 v0, 26, v0
	v_add_u32_e32 v0, v2, v0
	v_ashrrev_i32_e32 v0, 6, v0
.LBB6_2984:                             ;   in Loop: Header=BB6_49 Depth=1
	s_or_b64 exec, exec, s[22:23]
	s_and_b64 s[20:21], s[24:25], exec
.LBB6_2985:                             ;   in Loop: Header=BB6_49 Depth=1
	s_or_b64 exec, exec, s[78:79]
	buffer_load_dword v6, off, s[0:3], s33 offset:380 ; 4-byte Folded Reload
	buffer_load_dword v7, off, s[0:3], s33 offset:384 ; 4-byte Folded Reload
	;; [unrolled: 1-line block ×4, first 2 shown]
	s_and_saveexec_b64 s[22:23], s[20:21]
	s_cbranch_execz .LBB6_4314
.LBB6_2986:                             ;   in Loop: Header=BB6_49 Depth=1
	v_lshrrev_b32_e32 v1, 11, v4
	v_sub_u32_e32 v32, v1, v0
	v_ashrrev_i32_e32 v1, 31, v2
	v_cmp_lt_i32_e32 vcc, 0, v32
	v_lshrrev_b32_e32 v1, 26, v1
	s_and_saveexec_b64 s[24:25], vcc
	s_cbranch_execz .LBB6_4270
; %bb.2987:                             ;   in Loop: Header=BB6_49 Depth=1
	buffer_store_dword v4, off, s[0:3], s33 offset:260 ; 4-byte Folded Spill
	buffer_store_dword v59, off, s[0:3], s33 offset:396 ; 4-byte Folded Spill
	s_nop 0
	buffer_store_dword v60, off, s[0:3], s33 offset:400 ; 4-byte Folded Spill
	buffer_store_dword v52, off, s[0:3], s33 offset:320 ; 4-byte Folded Spill
	s_nop 0
	buffer_store_dword v53, off, s[0:3], s33 offset:324 ; 4-byte Folded Spill
	buffer_store_dword v54, off, s[0:3], s33 offset:328 ; 4-byte Folded Spill
	;; [unrolled: 1-line block ×5, first 2 shown]
	v_add_u32_e32 v1, v2, v1
	v_and_b32_e32 v1, 0xffffffc0, v1
	v_sub_u32_e32 v1, v2, v1
	v_lshlrev_b32_e32 v0, 11, v0
	buffer_store_dword v2, off, s[0:3], s33 offset:380 ; 4-byte Folded Spill
	buffer_store_dword v3, off, s[0:3], s33 offset:256 ; 4-byte Folded Spill
	v_add3_u32 v4, v3, v1, v0
	s_trap 2
	ds_read_b64 v[2:3], v0
	v_ashrrev_i32_e32 v5, 31, v4
	s_waitcnt vmcnt(12)
	v_add_co_u32_e32 v0, vcc, v4, v8
	s_waitcnt vmcnt(11)
	v_addc_co_u32_e32 v1, vcc, v5, v9, vcc
	s_waitcnt lgkmcnt(0)
	v_add_co_u32_e32 v10, vcc, v2, v4
	v_addc_co_u32_e32 v11, vcc, v3, v5, vcc
	v_add_co_u32_e32 v2, vcc, 0x7c0, v6
	v_addc_co_u32_e32 v3, vcc, 0, v7, vcc
	;; [unrolled: 2-line block ×3, first 2 shown]
	s_mov_b64 s[78:79], 0
	s_branch .LBB6_2990
.LBB6_2988:                             ;   in Loop: Header=BB6_2990 Depth=2
	s_or_b64 exec, exec, s[88:89]
.LBB6_2989:                             ;   in Loop: Header=BB6_2990 Depth=2
	s_or_b64 exec, exec, s[20:21]
	v_add_co_u32_e32 v50, vcc, 0xfffff840, v12
	s_waitcnt vmcnt(0)
	v_addc_co_u32_e32 v51, vcc, -1, v13, vcc
	flat_store_byte v[50:51], v61 glc slc
	v_add_co_u32_e32 v50, vcc, 0xfffff880, v12
	v_addc_co_u32_e32 v51, vcc, -1, v13, vcc
	flat_store_byte v[50:51], v31 glc slc
	v_add_co_u32_e32 v50, vcc, 0xfffff8c0, v12
	;; [unrolled: 3-line block ×8, first 2 shown]
	v_addc_co_u32_e32 v24, vcc, -1, v13, vcc
	v_add_co_u32_e32 v17, vcc, 0xfffffa80, v12
	flat_store_byte v[23:24], v18 glc slc
	v_addc_co_u32_e32 v18, vcc, -1, v13, vcc
	flat_store_byte v[17:18], v15 glc slc
	v_add_co_u32_e32 v17, vcc, 0xfffffac0, v12
	v_addc_co_u32_e32 v18, vcc, -1, v13, vcc
	flat_store_byte v[17:18], v9 glc slc
	v_add_co_u32_e32 v17, vcc, 0xfffffb00, v12
	;; [unrolled: 3-line block ×4, first 2 shown]
	v_addc_co_u32_e32 v7, vcc, -1, v13, vcc
	v_add_co_u32_e32 v4, vcc, 0xfffffbc0, v12
	flat_store_byte v[6:7], v5 glc slc
	v_addc_co_u32_e32 v5, vcc, -1, v13, vcc
	flat_store_byte v[4:5], v8 glc slc
	v_add_co_u32_e32 v4, vcc, 0xfffffc00, v12
	v_addc_co_u32_e32 v5, vcc, -1, v13, vcc
	flat_store_byte v[4:5], v14 glc slc
	v_add_co_u32_e32 v4, vcc, 0xfffffc40, v12
	;; [unrolled: 3-line block ×16, first 2 shown]
	v_addc_co_u32_e32 v5, vcc, -1, v13, vcc
	flat_store_byte v[4:5], v49 glc slc
	flat_store_byte v[12:13], v3 glc slc
	buffer_load_dword v3, off, s[0:3], s33 offset:280 ; 4-byte Folded Reload
	s_nop 0
	buffer_load_dword v2, off, s[0:3], s33 offset:236 ; 4-byte Folded Reload
	s_waitcnt vmcnt(0)
	v_add_co_u32_e32 v0, vcc, v0, v3
	v_addc_co_u32_e32 v1, vcc, 0, v1, vcc
	v_add_co_u32_e32 v10, vcc, v10, v3
	v_addc_co_u32_e32 v11, vcc, 0, v11, vcc
	v_sub_u32_e32 v32, v32, v2
	v_cmp_gt_i32_e32 vcc, 1, v32
	s_or_b64 s[78:79], vcc, s[78:79]
	v_add_co_u32_e32 v12, vcc, v12, v3
	v_addc_co_u32_e32 v13, vcc, 0, v13, vcc
	s_andn2_b64 exec, exec, s[78:79]
	s_cbranch_execz .LBB6_4269
.LBB6_2990:                             ;   Parent Loop BB6_49 Depth=1
                                        ; =>  This Inner Loop Header: Depth=2
	flat_load_sbyte v61, v[0:1] glc slc
	flat_load_sbyte v30, v[0:1] offset:64 glc slc
	flat_load_sbyte v25, v[0:1] offset:128 glc slc
	;; [unrolled: 1-line block ×22, first 2 shown]
	v_mov_b32_e32 v9, 0
	s_waitcnt vmcnt(0) lgkmcnt(0)
	buffer_store_dword v3, off, s[0:3], s33 offset:228 ; 4-byte Folded Spill
	s_nop 0
	buffer_store_dword v4, off, s[0:3], s33 offset:232 ; 4-byte Folded Spill
	flat_load_sbyte v3, v[0:1] offset:1472 glc slc
	v_cmp_ne_u16_e32 vcc, 0, v61
	s_waitcnt vmcnt(0) lgkmcnt(0)
	buffer_store_dword v3, off, s[0:3], s33 offset:212 ; 4-byte Folded Spill
	s_nop 0
	buffer_store_dword v4, off, s[0:3], s33 offset:216 ; 4-byte Folded Spill
	flat_load_sbyte v4, v[0:1] offset:1536 glc slc
	v_mov_b32_e32 v3, 0
	s_waitcnt vmcnt(0) lgkmcnt(0)
	buffer_store_dword v4, off, s[0:3], s33 offset:196 ; 4-byte Folded Spill
	s_nop 0
	buffer_store_dword v5, off, s[0:3], s33 offset:200 ; 4-byte Folded Spill
	flat_load_sbyte v4, v[0:1] offset:1600 glc slc
	s_waitcnt vmcnt(0) lgkmcnt(0)
	buffer_store_dword v4, off, s[0:3], s33 offset:180 ; 4-byte Folded Spill
	s_nop 0
	buffer_store_dword v5, off, s[0:3], s33 offset:184 ; 4-byte Folded Spill
	flat_load_sbyte v4, v[0:1] offset:1664 glc slc
	;; [unrolled: 5-line block ×7, first 2 shown]
	s_waitcnt vmcnt(0) lgkmcnt(0)
	buffer_store_dword v4, off, s[0:3], s33 offset:84 ; 4-byte Folded Spill
	s_nop 0
	buffer_store_dword v5, off, s[0:3], s33 offset:88 ; 4-byte Folded Spill
	flat_load_sbyte v60, v[10:11] glc slc
	flat_load_sbyte v26, v[10:11] offset:64 glc slc
	flat_load_sbyte v24, v[10:11] offset:128 glc slc
	flat_load_sbyte v22, v[10:11] offset:192 glc slc
	flat_load_sbyte v46, v[10:11] offset:256 glc slc
	flat_load_sbyte v20, v[10:11] offset:320 glc slc
	flat_load_sbyte v18, v[10:11] offset:384 glc slc
	flat_load_sbyte v16, v[10:11] offset:448 glc slc
	flat_load_sbyte v14, v[10:11] offset:512 glc slc
	flat_load_sbyte v39, v[10:11] offset:576 glc slc
	flat_load_sbyte v8, v[10:11] offset:640 glc slc
	flat_load_sbyte v6, v[10:11] offset:704 glc slc
	flat_load_sbyte v44, v[10:11] offset:768 glc slc
	flat_load_sbyte v4, v[10:11] offset:832 glc slc
	flat_load_sbyte v55, v[10:11] offset:896 glc slc
	flat_load_sbyte v53, v[10:11] offset:960 glc slc
	flat_load_sbyte v42, v[10:11] offset:1024 glc slc
	flat_load_sbyte v58, v[10:11] offset:1088 glc slc
	flat_load_sbyte v51, v[10:11] offset:1152 glc slc
	flat_load_sbyte v49, v[10:11] offset:1216 glc slc
	flat_load_sbyte v38, v[10:11] offset:1280 glc slc
	flat_load_sbyte v35, v[10:11] offset:1344 glc slc
	flat_load_sbyte v27, v[10:11] offset:1408 glc slc
	s_waitcnt vmcnt(0) lgkmcnt(0)
	buffer_store_dword v27, off, s[0:3], s33 offset:220 ; 4-byte Folded Spill
	s_nop 0
	buffer_store_dword v28, off, s[0:3], s33 offset:224 ; 4-byte Folded Spill
	flat_load_sbyte v27, v[10:11] offset:1472 glc slc
	s_waitcnt vmcnt(0) lgkmcnt(0)
	buffer_store_dword v27, off, s[0:3], s33 offset:204 ; 4-byte Folded Spill
	s_nop 0
	buffer_store_dword v28, off, s[0:3], s33 offset:208 ; 4-byte Folded Spill
	flat_load_sbyte v27, v[10:11] offset:1536 glc slc
	;; [unrolled: 5-line block ×9, first 2 shown]
	s_waitcnt vmcnt(0) lgkmcnt(0)
	buffer_store_dword v27, off, s[0:3], s33 offset:76 ; 4-byte Folded Spill
	s_nop 0
	buffer_store_dword v28, off, s[0:3], s33 offset:80 ; 4-byte Folded Spill
	s_and_saveexec_b64 s[20:21], vcc
	s_cbranch_execz .LBB6_2998
; %bb.2991:                             ;   in Loop: Header=BB6_2990 Depth=2
	v_cmp_ne_u16_e32 vcc, s52, v61
	v_bfrev_b32_e32 v9, 1
	s_and_saveexec_b64 s[88:89], vcc
	s_cbranch_execz .LBB6_2997
; %bb.2992:                             ;   in Loop: Header=BB6_2990 Depth=2
	v_and_b32_e32 v9, 0x7c, v61
	v_and_b32_e32 v27, 3, v61
	v_cmp_ne_u32_e32 vcc, s53, v9
                                        ; implicit-def: $vgpr9
	s_and_saveexec_b64 s[90:91], vcc
	s_xor_b64 s[90:91], exec, s[90:91]
	s_cbranch_execz .LBB6_2994
; %bb.2993:                             ;   in Loop: Header=BB6_2990 Depth=2
	v_ffbh_u32_e32 v31, v27
	v_min_u32_e32 v31, 32, v31
	v_and_b32_e32 v9, 0xff, v61
	v_mov_b32_e32 v62, v28
	v_subrev_u32_e32 v33, 29, v31
	v_bfe_u32 v9, v9, 2, 5
	v_lshlrev_b64 v[33:34], v33, v[61:62]
	v_sub_u32_e32 v31, 30, v31
	v_cmp_eq_u32_e32 vcc, 0, v9
	v_and_b32_e32 v33, 3, v33
	v_cndmask_b32_e32 v9, v9, v31, vcc
	v_and_b32_sdwa v31, sext(v61), s54 dst_sel:DWORD dst_unused:UNUSED_PAD src0_sel:WORD_0 src1_sel:DWORD
	v_cndmask_b32_e32 v27, v27, v33, vcc
	v_lshl_add_u32 v9, v9, 23, v31
	v_lshl_or_b32 v9, v27, 21, v9
	v_add_u32_e32 v9, 0x38000000, v9
                                        ; implicit-def: $vgpr27
                                        ; implicit-def: $vgpr61
.LBB6_2994:                             ;   in Loop: Header=BB6_2990 Depth=2
	s_andn2_saveexec_b64 s[90:91], s[90:91]
; %bb.2995:                             ;   in Loop: Header=BB6_2990 Depth=2
	v_cmp_lt_i16_e32 vcc, -1, v61
	v_mov_b32_e32 v9, 0xff800000
	v_mov_b32_e32 v31, 0x7f800000
	v_cndmask_b32_e32 v9, v9, v31, vcc
	v_cmp_eq_u32_e32 vcc, 0, v27
	v_mov_b32_e32 v27, 0x7f800001
	v_cndmask_b32_e32 v9, v27, v9, vcc
; %bb.2996:                             ;   in Loop: Header=BB6_2990 Depth=2
	s_or_b64 exec, exec, s[90:91]
.LBB6_2997:                             ;   in Loop: Header=BB6_2990 Depth=2
	s_or_b64 exec, exec, s[88:89]
.LBB6_2998:                             ;   in Loop: Header=BB6_2990 Depth=2
	s_or_b64 exec, exec, s[20:21]
	v_cmp_ne_u16_e32 vcc, 0, v60
	s_and_saveexec_b64 s[20:21], vcc
	s_cbranch_execz .LBB6_3006
; %bb.2999:                             ;   in Loop: Header=BB6_2990 Depth=2
	v_cmp_ne_u16_e32 vcc, s52, v60
	v_bfrev_b32_e32 v3, 1
	s_and_saveexec_b64 s[88:89], vcc
	s_cbranch_execz .LBB6_3005
; %bb.3000:                             ;   in Loop: Header=BB6_2990 Depth=2
	v_and_b32_e32 v3, 0x7c, v60
	v_and_b32_e32 v27, 3, v60
	v_cmp_ne_u32_e32 vcc, s53, v3
                                        ; implicit-def: $vgpr3
	s_and_saveexec_b64 s[90:91], vcc
	s_xor_b64 s[90:91], exec, s[90:91]
	s_cbranch_execz .LBB6_3002
; %bb.3001:                             ;   in Loop: Header=BB6_2990 Depth=2
	v_ffbh_u32_e32 v31, v27
	v_min_u32_e32 v31, 32, v31
	v_and_b32_e32 v3, 0xff, v60
	v_mov_b32_e32 v61, v28
	v_subrev_u32_e32 v33, 29, v31
	v_bfe_u32 v3, v3, 2, 5
	v_lshlrev_b64 v[33:34], v33, v[60:61]
	v_sub_u32_e32 v31, 30, v31
	v_cmp_eq_u32_e32 vcc, 0, v3
	v_and_b32_e32 v33, 3, v33
	v_cndmask_b32_e32 v3, v3, v31, vcc
	v_and_b32_sdwa v31, sext(v60), s54 dst_sel:DWORD dst_unused:UNUSED_PAD src0_sel:WORD_0 src1_sel:DWORD
	v_cndmask_b32_e32 v27, v27, v33, vcc
	v_lshl_add_u32 v3, v3, 23, v31
	v_lshl_or_b32 v3, v27, 21, v3
	v_add_u32_e32 v3, 0x38000000, v3
                                        ; implicit-def: $vgpr27
                                        ; implicit-def: $vgpr60
.LBB6_3002:                             ;   in Loop: Header=BB6_2990 Depth=2
	s_andn2_saveexec_b64 s[90:91], s[90:91]
; %bb.3003:                             ;   in Loop: Header=BB6_2990 Depth=2
	v_cmp_lt_i16_e32 vcc, -1, v60
	v_mov_b32_e32 v3, 0xff800000
	v_mov_b32_e32 v31, 0x7f800000
	v_cndmask_b32_e32 v3, v3, v31, vcc
	v_cmp_eq_u32_e32 vcc, 0, v27
	v_mov_b32_e32 v27, 0x7f800001
	v_cndmask_b32_e32 v3, v27, v3, vcc
; %bb.3004:                             ;   in Loop: Header=BB6_2990 Depth=2
	s_or_b64 exec, exec, s[90:91]
.LBB6_3005:                             ;   in Loop: Header=BB6_2990 Depth=2
	s_or_b64 exec, exec, s[88:89]
.LBB6_3006:                             ;   in Loop: Header=BB6_2990 Depth=2
	s_or_b64 exec, exec, s[20:21]
	v_mul_f32_e32 v9, v9, v3
	v_and_b32_e32 v33, 0x7f800000, v9
	v_mov_b32_e32 v34, v28
	v_cmp_ne_u64_e32 vcc, s[60:61], v[33:34]
	v_and_b32_e32 v27, 0x7fffff, v9
                                        ; implicit-def: $vgpr61
	s_and_saveexec_b64 s[20:21], vcc
	s_xor_b64 s[88:89], exec, s[20:21]
	s_cbranch_execz .LBB6_3024
; %bb.3007:                             ;   in Loop: Header=BB6_2990 Depth=2
	v_and_b32_e32 v33, 0x7fffffff, v9
	v_mov_b32_e32 v34, v28
	v_cmp_gt_u64_e32 vcc, s[62:63], v[33:34]
	v_and_b32_sdwa v3, v9, s55 dst_sel:DWORD dst_unused:UNUSED_PAD src0_sel:BYTE_3 src1_sel:DWORD
                                        ; implicit-def: $vgpr61
	s_and_saveexec_b64 s[20:21], vcc
	s_xor_b64 s[90:91], exec, s[20:21]
	s_cbranch_execz .LBB6_3021
; %bb.3008:                             ;   in Loop: Header=BB6_2990 Depth=2
	v_cmp_ne_u32_e32 vcc, 0, v9
	v_mov_b32_e32 v61, 0
	s_and_saveexec_b64 s[92:93], vcc
	s_cbranch_execz .LBB6_3020
; %bb.3009:                             ;   in Loop: Header=BB6_2990 Depth=2
	v_bfe_u32 v9, v9, 23, 8
	v_cmp_gt_u32_e64 s[20:21], s64, v9
	v_sub_u32_e32 v31, 0x71, v9
	v_cmp_eq_u32_e32 vcc, 0, v9
	v_cndmask_b32_e64 v31, 0, v31, s[20:21]
	v_mov_b32_e32 v34, 0x70
	v_or_b32_e32 v33, 0x800000, v27
	v_cndmask_b32_e32 v31, v31, v34, vcc
	v_cndmask_b32_e32 v33, v33, v27, vcc
	v_add_u32_e32 v27, 21, v31
	v_lshlrev_b64 v[60:61], v27, -1
	v_add_u32_e32 v27, 20, v31
	v_mov_b32_e32 v47, v35
	v_lshlrev_b64 v[35:36], v27, 1
	v_mov_b32_e32 v34, v28
	v_bfi_b32 v61, v61, 0, 0
	v_bfi_b32 v60, v60, 0, v33
	v_cmp_eq_u64_e64 s[20:21], v[60:61], v[35:36]
	v_lshrrev_b64 v[60:61], v31, v[33:34]
	v_mov_b32_e32 v62, v61
	v_mov_b32_e32 v61, v60
	s_and_saveexec_b64 s[94:95], s[20:21]
; %bb.3010:                             ;   in Loop: Header=BB6_2990 Depth=2
	v_bfe_u32 v27, v60, 21, 1
	v_add_co_u32_e64 v27, s[20:21], v60, v27
	v_add_co_u32_e64 v61, s[20:21], -1, v27
; %bb.3011:                             ;   in Loop: Header=BB6_2990 Depth=2
	s_or_b64 exec, exec, s[94:95]
	v_add_u32_e32 v9, 0xffffff81, v9
	v_mov_b32_e32 v27, 0xffffff82
	v_cndmask_b32_e32 v9, v9, v27, vcc
	v_lshrrev_b32_e32 v27, 23, v60
	v_add3_u32 v41, v31, v9, v27
	v_add_u32_e32 v31, 14, v41
	v_and_b32_e32 v9, 0x1fffff, v61
	v_add_u32_e32 v27, v9, v60
	v_cmp_ne_u32_e32 vcc, 0, v31
                                        ; implicit-def: $vgpr60_vgpr61
                                        ; implicit-def: $vgpr9
	s_and_saveexec_b64 s[20:21], vcc
	s_xor_b64 s[20:21], exec, s[20:21]
; %bb.3012:                             ;   in Loop: Header=BB6_2990 Depth=2
	v_cmp_lt_u64_e32 vcc, s[72:73], v[27:28]
	v_add_u32_e32 v9, 15, v41
	v_cndmask_b32_e32 v9, v31, v9, vcc
	v_cndmask_b32_e64 v31, 0, 1, vcc
	v_lshrrev_b64 v[60:61], v31, v[27:28]
; %bb.3013:                             ;   in Loop: Header=BB6_2990 Depth=2
	s_or_saveexec_b64 s[20:21], s[20:21]
	v_mov_b32_e32 v35, v47
	s_xor_b64 exec, exec, s[20:21]
; %bb.3014:                             ;   in Loop: Header=BB6_2990 Depth=2
	v_mov_b32_e32 v61, v28
	v_mov_b32_e32 v60, v27
	v_bfe_u32 v9, v27, 23, 1
; %bb.3015:                             ;   in Loop: Header=BB6_2990 Depth=2
	s_or_b64 exec, exec, s[20:21]
	v_lshrrev_b64 v[33:34], 21, v[60:61]
	v_cmp_gt_i32_e32 vcc, 32, v9
	v_cndmask_b32_e32 v61, 0, v34, vcc
	v_cndmask_b32_e32 v60, 3, v33, vcc
	v_cmp_ne_u64_e32 vcc, 0, v[60:61]
	v_cmp_ne_u32_e64 s[20:21], 0, v9
	s_or_b64 s[20:21], s[20:21], vcc
                                        ; implicit-def: $vgpr61
	s_and_saveexec_b64 s[94:95], s[20:21]
	s_xor_b64 s[20:21], exec, s[94:95]
; %bb.3016:                             ;   in Loop: Header=BB6_2990 Depth=2
	v_min_i32_e32 v9, 31, v9
	v_lshl_or_b32 v3, v9, 2, v3
	v_and_or_b32 v61, v60, 3, v3
                                        ; implicit-def: $vgpr3
; %bb.3017:                             ;   in Loop: Header=BB6_2990 Depth=2
	s_andn2_saveexec_b64 s[20:21], s[20:21]
; %bb.3018:                             ;   in Loop: Header=BB6_2990 Depth=2
	v_mov_b32_e32 v61, v3
; %bb.3019:                             ;   in Loop: Header=BB6_2990 Depth=2
	s_or_b64 exec, exec, s[20:21]
.LBB6_3020:                             ;   in Loop: Header=BB6_2990 Depth=2
	s_or_b64 exec, exec, s[92:93]
                                        ; implicit-def: $vgpr3
.LBB6_3021:                             ;   in Loop: Header=BB6_2990 Depth=2
	s_andn2_saveexec_b64 s[20:21], s[90:91]
; %bb.3022:                             ;   in Loop: Header=BB6_2990 Depth=2
	v_or_b32_e32 v61, 0x7b, v3
; %bb.3023:                             ;   in Loop: Header=BB6_2990 Depth=2
	s_or_b64 exec, exec, s[20:21]
                                        ; implicit-def: $vgpr9
.LBB6_3024:                             ;   in Loop: Header=BB6_2990 Depth=2
	s_andn2_saveexec_b64 s[20:21], s[88:89]
	s_cbranch_execz .LBB6_3030
; %bb.3025:                             ;   in Loop: Header=BB6_2990 Depth=2
	v_cmp_ne_u64_e32 vcc, 0, v[27:28]
                                        ; implicit-def: $vgpr61
	s_and_saveexec_b64 s[88:89], vcc
	s_xor_b64 s[88:89], exec, s[88:89]
; %bb.3026:                             ;   in Loop: Header=BB6_2990 Depth=2
	v_or_b32_sdwa v61, v9, s65 dst_sel:DWORD dst_unused:UNUSED_PAD src0_sel:BYTE_3 src1_sel:DWORD
                                        ; implicit-def: $vgpr9
; %bb.3027:                             ;   in Loop: Header=BB6_2990 Depth=2
	s_andn2_saveexec_b64 s[88:89], s[88:89]
; %bb.3028:                             ;   in Loop: Header=BB6_2990 Depth=2
	v_cmp_lt_i32_e32 vcc, -1, v9
	v_mov_b32_e32 v3, 0x7c
	v_cndmask_b32_e32 v61, -4, v3, vcc
; %bb.3029:                             ;   in Loop: Header=BB6_2990 Depth=2
	s_or_b64 exec, exec, s[88:89]
.LBB6_3030:                             ;   in Loop: Header=BB6_2990 Depth=2
	s_or_b64 exec, exec, s[20:21]
	v_cmp_ne_u16_e32 vcc, 0, v30
	v_mov_b32_e32 v3, 0
	v_mov_b32_e32 v9, 0
	s_and_saveexec_b64 s[20:21], vcc
	s_cbranch_execz .LBB6_3038
; %bb.3031:                             ;   in Loop: Header=BB6_2990 Depth=2
	v_cmp_ne_u16_e32 vcc, s52, v30
	v_bfrev_b32_e32 v9, 1
	s_and_saveexec_b64 s[88:89], vcc
	s_cbranch_execz .LBB6_3037
; %bb.3032:                             ;   in Loop: Header=BB6_2990 Depth=2
	v_and_b32_e32 v9, 0x7c, v30
	v_and_b32_e32 v27, 3, v30
	v_cmp_ne_u32_e32 vcc, s53, v9
                                        ; implicit-def: $vgpr9
	s_and_saveexec_b64 s[90:91], vcc
	s_xor_b64 s[90:91], exec, s[90:91]
	s_cbranch_execz .LBB6_3034
; %bb.3033:                             ;   in Loop: Header=BB6_2990 Depth=2
	v_ffbh_u32_e32 v33, v27
	v_mov_b32_e32 v36, v35
	v_min_u32_e32 v35, 32, v33
	v_and_b32_e32 v9, 0xff, v30
	v_mov_b32_e32 v31, v28
	v_subrev_u32_e32 v33, 29, v35
	v_bfe_u32 v9, v9, 2, 5
	v_lshlrev_b64 v[33:34], v33, v[30:31]
	v_sub_u32_e32 v31, 30, v35
	v_cmp_eq_u32_e32 vcc, 0, v9
	v_and_b32_e32 v33, 3, v33
	v_cndmask_b32_e32 v9, v9, v31, vcc
	v_and_b32_sdwa v30, sext(v30), s54 dst_sel:DWORD dst_unused:UNUSED_PAD src0_sel:WORD_0 src1_sel:DWORD
	v_cndmask_b32_e32 v27, v27, v33, vcc
	v_lshl_add_u32 v9, v9, 23, v30
	v_lshl_or_b32 v9, v27, 21, v9
	v_mov_b32_e32 v35, v36
	v_add_u32_e32 v9, 0x38000000, v9
                                        ; implicit-def: $vgpr27
                                        ; implicit-def: $vgpr30
.LBB6_3034:                             ;   in Loop: Header=BB6_2990 Depth=2
	s_andn2_saveexec_b64 s[90:91], s[90:91]
; %bb.3035:                             ;   in Loop: Header=BB6_2990 Depth=2
	v_cmp_lt_i16_e32 vcc, -1, v30
	v_mov_b32_e32 v9, 0xff800000
	v_mov_b32_e32 v30, 0x7f800000
	v_cndmask_b32_e32 v9, v9, v30, vcc
	v_cmp_eq_u32_e32 vcc, 0, v27
	v_mov_b32_e32 v27, 0x7f800001
	v_cndmask_b32_e32 v9, v27, v9, vcc
; %bb.3036:                             ;   in Loop: Header=BB6_2990 Depth=2
	s_or_b64 exec, exec, s[90:91]
.LBB6_3037:                             ;   in Loop: Header=BB6_2990 Depth=2
	s_or_b64 exec, exec, s[88:89]
.LBB6_3038:                             ;   in Loop: Header=BB6_2990 Depth=2
	s_or_b64 exec, exec, s[20:21]
	v_cmp_ne_u16_e32 vcc, 0, v26
	s_and_saveexec_b64 s[20:21], vcc
	s_cbranch_execz .LBB6_3046
; %bb.3039:                             ;   in Loop: Header=BB6_2990 Depth=2
	v_cmp_ne_u16_e32 vcc, s52, v26
	v_bfrev_b32_e32 v3, 1
	s_and_saveexec_b64 s[88:89], vcc
	s_cbranch_execz .LBB6_3045
; %bb.3040:                             ;   in Loop: Header=BB6_2990 Depth=2
	v_and_b32_e32 v3, 0x7c, v26
	v_and_b32_e32 v30, 3, v26
	v_cmp_ne_u32_e32 vcc, s53, v3
                                        ; implicit-def: $vgpr3
	s_and_saveexec_b64 s[90:91], vcc
	s_xor_b64 s[90:91], exec, s[90:91]
	s_cbranch_execz .LBB6_3042
; %bb.3041:                             ;   in Loop: Header=BB6_2990 Depth=2
	v_ffbh_u32_e32 v31, v30
	v_min_u32_e32 v31, 32, v31
	v_and_b32_e32 v3, 0xff, v26
	v_mov_b32_e32 v27, v28
	v_subrev_u32_e32 v33, 29, v31
	v_bfe_u32 v3, v3, 2, 5
	v_lshlrev_b64 v[33:34], v33, v[26:27]
	v_sub_u32_e32 v27, 30, v31
	v_cmp_eq_u32_e32 vcc, 0, v3
	v_and_b32_e32 v31, 3, v33
	v_cndmask_b32_e32 v3, v3, v27, vcc
	v_and_b32_sdwa v26, sext(v26), s54 dst_sel:DWORD dst_unused:UNUSED_PAD src0_sel:WORD_0 src1_sel:DWORD
	v_cndmask_b32_e32 v27, v30, v31, vcc
	v_lshl_add_u32 v3, v3, 23, v26
	v_lshl_or_b32 v3, v27, 21, v3
	v_add_u32_e32 v3, 0x38000000, v3
                                        ; implicit-def: $vgpr30
                                        ; implicit-def: $vgpr26
.LBB6_3042:                             ;   in Loop: Header=BB6_2990 Depth=2
	s_andn2_saveexec_b64 s[90:91], s[90:91]
; %bb.3043:                             ;   in Loop: Header=BB6_2990 Depth=2
	v_cmp_lt_i16_e32 vcc, -1, v26
	v_mov_b32_e32 v3, 0xff800000
	v_mov_b32_e32 v26, 0x7f800000
	v_cndmask_b32_e32 v3, v3, v26, vcc
	v_cmp_eq_u32_e32 vcc, 0, v30
	v_mov_b32_e32 v26, 0x7f800001
	v_cndmask_b32_e32 v3, v26, v3, vcc
; %bb.3044:                             ;   in Loop: Header=BB6_2990 Depth=2
	s_or_b64 exec, exec, s[90:91]
.LBB6_3045:                             ;   in Loop: Header=BB6_2990 Depth=2
	s_or_b64 exec, exec, s[88:89]
.LBB6_3046:                             ;   in Loop: Header=BB6_2990 Depth=2
	s_or_b64 exec, exec, s[20:21]
	v_mul_f32_e32 v9, v9, v3
	v_and_b32_e32 v26, 0x7f800000, v9
	v_mov_b32_e32 v27, v28
	v_cmp_ne_u64_e32 vcc, s[60:61], v[26:27]
	v_and_b32_e32 v27, 0x7fffff, v9
                                        ; implicit-def: $vgpr31
	s_and_saveexec_b64 s[20:21], vcc
	s_xor_b64 s[88:89], exec, s[20:21]
	s_cbranch_execz .LBB6_3064
; %bb.3047:                             ;   in Loop: Header=BB6_2990 Depth=2
	v_and_b32_e32 v30, 0x7fffffff, v9
	v_mov_b32_e32 v31, v28
	v_cmp_gt_u64_e32 vcc, s[62:63], v[30:31]
	v_and_b32_sdwa v3, v9, s55 dst_sel:DWORD dst_unused:UNUSED_PAD src0_sel:BYTE_3 src1_sel:DWORD
                                        ; implicit-def: $vgpr31
	s_and_saveexec_b64 s[20:21], vcc
	s_xor_b64 s[90:91], exec, s[20:21]
	s_cbranch_execz .LBB6_3061
; %bb.3048:                             ;   in Loop: Header=BB6_2990 Depth=2
	v_cmp_ne_u32_e32 vcc, 0, v9
	v_mov_b32_e32 v31, 0
	s_and_saveexec_b64 s[92:93], vcc
	s_cbranch_execz .LBB6_3060
; %bb.3049:                             ;   in Loop: Header=BB6_2990 Depth=2
	v_bfe_u32 v9, v9, 23, 8
	v_cmp_gt_u32_e64 s[20:21], s64, v9
	v_sub_u32_e32 v26, 0x71, v9
	v_cmp_eq_u32_e32 vcc, 0, v9
	v_cndmask_b32_e64 v26, 0, v26, s[20:21]
	v_mov_b32_e32 v31, 0x70
	v_or_b32_e32 v30, 0x800000, v27
	v_cndmask_b32_e32 v41, v26, v31, vcc
	v_cndmask_b32_e32 v26, v30, v27, vcc
	v_add_u32_e32 v30, 21, v41
	v_lshlrev_b64 v[30:31], v30, -1
	v_mov_b32_e32 v27, v28
	v_add_u32_e32 v33, 20, v41
	v_bfi_b32 v30, v30, 0, v26
	v_lshlrev_b64 v[33:34], v33, 1
	v_lshrrev_b64 v[26:27], v41, v[26:27]
	v_bfi_b32 v31, v31, 0, 0
	v_cmp_eq_u64_e64 s[20:21], v[30:31], v[33:34]
	v_mov_b32_e32 v31, v27
	v_mov_b32_e32 v30, v26
	s_and_saveexec_b64 s[94:95], s[20:21]
; %bb.3050:                             ;   in Loop: Header=BB6_2990 Depth=2
	v_bfe_u32 v27, v26, 21, 1
	v_add_co_u32_e64 v27, s[20:21], v26, v27
	v_add_co_u32_e64 v30, s[20:21], -1, v27
; %bb.3051:                             ;   in Loop: Header=BB6_2990 Depth=2
	s_or_b64 exec, exec, s[94:95]
	v_add_u32_e32 v9, 0xffffff81, v9
	v_mov_b32_e32 v27, 0xffffff82
	v_cndmask_b32_e32 v9, v9, v27, vcc
	v_lshrrev_b32_e32 v27, 23, v26
	v_add3_u32 v47, v41, v9, v27
	v_add_u32_e32 v41, 14, v47
	v_and_b32_e32 v9, 0x1fffff, v30
	v_add_u32_e32 v27, v9, v26
	v_cmp_ne_u32_e32 vcc, 0, v41
                                        ; implicit-def: $vgpr30_vgpr31
                                        ; implicit-def: $vgpr9
	s_and_saveexec_b64 s[20:21], vcc
	s_xor_b64 s[20:21], exec, s[20:21]
; %bb.3052:                             ;   in Loop: Header=BB6_2990 Depth=2
	v_cmp_lt_u64_e32 vcc, s[72:73], v[27:28]
	v_add_u32_e32 v9, 15, v47
	v_cndmask_b32_e64 v26, 0, 1, vcc
	v_lshrrev_b64 v[30:31], v26, v[27:28]
	v_cndmask_b32_e32 v9, v41, v9, vcc
; %bb.3053:                             ;   in Loop: Header=BB6_2990 Depth=2
	s_andn2_saveexec_b64 s[20:21], s[20:21]
; %bb.3054:                             ;   in Loop: Header=BB6_2990 Depth=2
	v_mov_b32_e32 v31, v28
	v_mov_b32_e32 v30, v27
	v_bfe_u32 v9, v27, 23, 1
; %bb.3055:                             ;   in Loop: Header=BB6_2990 Depth=2
	s_or_b64 exec, exec, s[20:21]
	v_lshrrev_b64 v[26:27], 21, v[30:31]
	v_cmp_gt_i32_e32 vcc, 32, v9
	v_cndmask_b32_e32 v27, 0, v27, vcc
	v_cndmask_b32_e32 v26, 3, v26, vcc
	v_cmp_ne_u64_e32 vcc, 0, v[26:27]
	v_cmp_ne_u32_e64 s[20:21], 0, v9
	s_or_b64 s[20:21], s[20:21], vcc
                                        ; implicit-def: $vgpr31
	s_and_saveexec_b64 s[94:95], s[20:21]
	s_xor_b64 s[20:21], exec, s[94:95]
; %bb.3056:                             ;   in Loop: Header=BB6_2990 Depth=2
	v_min_i32_e32 v9, 31, v9
	v_lshl_or_b32 v3, v9, 2, v3
	v_and_or_b32 v31, v26, 3, v3
                                        ; implicit-def: $vgpr3
; %bb.3057:                             ;   in Loop: Header=BB6_2990 Depth=2
	s_andn2_saveexec_b64 s[20:21], s[20:21]
; %bb.3058:                             ;   in Loop: Header=BB6_2990 Depth=2
	v_mov_b32_e32 v31, v3
; %bb.3059:                             ;   in Loop: Header=BB6_2990 Depth=2
	s_or_b64 exec, exec, s[20:21]
.LBB6_3060:                             ;   in Loop: Header=BB6_2990 Depth=2
	s_or_b64 exec, exec, s[92:93]
                                        ; implicit-def: $vgpr3
.LBB6_3061:                             ;   in Loop: Header=BB6_2990 Depth=2
	s_andn2_saveexec_b64 s[20:21], s[90:91]
; %bb.3062:                             ;   in Loop: Header=BB6_2990 Depth=2
	v_or_b32_e32 v31, 0x7b, v3
; %bb.3063:                             ;   in Loop: Header=BB6_2990 Depth=2
	s_or_b64 exec, exec, s[20:21]
                                        ; implicit-def: $vgpr9
.LBB6_3064:                             ;   in Loop: Header=BB6_2990 Depth=2
	s_andn2_saveexec_b64 s[20:21], s[88:89]
	s_cbranch_execz .LBB6_3070
; %bb.3065:                             ;   in Loop: Header=BB6_2990 Depth=2
	v_cmp_ne_u64_e32 vcc, 0, v[27:28]
                                        ; implicit-def: $vgpr31
	s_and_saveexec_b64 s[88:89], vcc
	s_xor_b64 s[88:89], exec, s[88:89]
; %bb.3066:                             ;   in Loop: Header=BB6_2990 Depth=2
	v_or_b32_sdwa v31, v9, s65 dst_sel:DWORD dst_unused:UNUSED_PAD src0_sel:BYTE_3 src1_sel:DWORD
                                        ; implicit-def: $vgpr9
; %bb.3067:                             ;   in Loop: Header=BB6_2990 Depth=2
	s_andn2_saveexec_b64 s[88:89], s[88:89]
; %bb.3068:                             ;   in Loop: Header=BB6_2990 Depth=2
	v_cmp_lt_i32_e32 vcc, -1, v9
	v_mov_b32_e32 v3, 0x7c
	v_cndmask_b32_e32 v31, -4, v3, vcc
; %bb.3069:                             ;   in Loop: Header=BB6_2990 Depth=2
	s_or_b64 exec, exec, s[88:89]
.LBB6_3070:                             ;   in Loop: Header=BB6_2990 Depth=2
	s_or_b64 exec, exec, s[20:21]
	v_cmp_ne_u16_e32 vcc, 0, v25
	v_mov_b32_e32 v3, 0
	v_mov_b32_e32 v9, 0
	s_and_saveexec_b64 s[20:21], vcc
	s_cbranch_execz .LBB6_3078
; %bb.3071:                             ;   in Loop: Header=BB6_2990 Depth=2
	v_cmp_ne_u16_e32 vcc, s52, v25
	v_bfrev_b32_e32 v9, 1
	s_and_saveexec_b64 s[88:89], vcc
	s_cbranch_execz .LBB6_3077
; %bb.3072:                             ;   in Loop: Header=BB6_2990 Depth=2
	v_and_b32_e32 v9, 0x7c, v25
	v_and_b32_e32 v27, 3, v25
	v_cmp_ne_u32_e32 vcc, s53, v9
                                        ; implicit-def: $vgpr9
	s_and_saveexec_b64 s[90:91], vcc
	s_xor_b64 s[90:91], exec, s[90:91]
	s_cbranch_execz .LBB6_3074
; %bb.3073:                             ;   in Loop: Header=BB6_2990 Depth=2
	v_ffbh_u32_e32 v30, v27
	v_min_u32_e32 v30, 32, v30
	v_and_b32_e32 v9, 0xff, v25
	v_mov_b32_e32 v26, v28
	v_subrev_u32_e32 v33, 29, v30
	v_bfe_u32 v9, v9, 2, 5
	v_lshlrev_b64 v[33:34], v33, v[25:26]
	v_sub_u32_e32 v26, 30, v30
	v_cmp_eq_u32_e32 vcc, 0, v9
	v_and_b32_e32 v30, 3, v33
	v_cndmask_b32_e32 v9, v9, v26, vcc
	v_and_b32_sdwa v25, sext(v25), s54 dst_sel:DWORD dst_unused:UNUSED_PAD src0_sel:WORD_0 src1_sel:DWORD
	v_cndmask_b32_e32 v26, v27, v30, vcc
	v_lshl_add_u32 v9, v9, 23, v25
	v_lshl_or_b32 v9, v26, 21, v9
	v_add_u32_e32 v9, 0x38000000, v9
                                        ; implicit-def: $vgpr27
                                        ; implicit-def: $vgpr25
.LBB6_3074:                             ;   in Loop: Header=BB6_2990 Depth=2
	s_andn2_saveexec_b64 s[90:91], s[90:91]
; %bb.3075:                             ;   in Loop: Header=BB6_2990 Depth=2
	v_cmp_lt_i16_e32 vcc, -1, v25
	v_mov_b32_e32 v9, 0xff800000
	v_mov_b32_e32 v25, 0x7f800000
	v_cndmask_b32_e32 v9, v9, v25, vcc
	v_cmp_eq_u32_e32 vcc, 0, v27
	v_mov_b32_e32 v25, 0x7f800001
	v_cndmask_b32_e32 v9, v25, v9, vcc
; %bb.3076:                             ;   in Loop: Header=BB6_2990 Depth=2
	s_or_b64 exec, exec, s[90:91]
.LBB6_3077:                             ;   in Loop: Header=BB6_2990 Depth=2
	s_or_b64 exec, exec, s[88:89]
.LBB6_3078:                             ;   in Loop: Header=BB6_2990 Depth=2
	s_or_b64 exec, exec, s[20:21]
	v_cmp_ne_u16_e32 vcc, 0, v24
	s_and_saveexec_b64 s[20:21], vcc
	s_cbranch_execz .LBB6_3086
; %bb.3079:                             ;   in Loop: Header=BB6_2990 Depth=2
	v_cmp_ne_u16_e32 vcc, s52, v24
	v_bfrev_b32_e32 v3, 1
	s_and_saveexec_b64 s[88:89], vcc
	s_cbranch_execz .LBB6_3085
; %bb.3080:                             ;   in Loop: Header=BB6_2990 Depth=2
	v_and_b32_e32 v3, 0x7c, v24
	v_and_b32_e32 v26, 3, v24
	v_cmp_ne_u32_e32 vcc, s53, v3
                                        ; implicit-def: $vgpr3
	s_and_saveexec_b64 s[90:91], vcc
	s_xor_b64 s[90:91], exec, s[90:91]
	s_cbranch_execz .LBB6_3082
; %bb.3081:                             ;   in Loop: Header=BB6_2990 Depth=2
	v_ffbh_u32_e32 v27, v26
	v_min_u32_e32 v27, 32, v27
	v_and_b32_e32 v3, 0xff, v24
	v_mov_b32_e32 v25, v28
	v_subrev_u32_e32 v30, 29, v27
	v_bfe_u32 v3, v3, 2, 5
	v_lshlrev_b64 v[33:34], v30, v[24:25]
	v_sub_u32_e32 v25, 30, v27
	v_cmp_eq_u32_e32 vcc, 0, v3
	v_and_b32_e32 v27, 3, v33
	v_cndmask_b32_e32 v3, v3, v25, vcc
	v_and_b32_sdwa v24, sext(v24), s54 dst_sel:DWORD dst_unused:UNUSED_PAD src0_sel:WORD_0 src1_sel:DWORD
	v_cndmask_b32_e32 v25, v26, v27, vcc
	v_lshl_add_u32 v3, v3, 23, v24
	v_lshl_or_b32 v3, v25, 21, v3
	v_add_u32_e32 v3, 0x38000000, v3
                                        ; implicit-def: $vgpr26
                                        ; implicit-def: $vgpr24
.LBB6_3082:                             ;   in Loop: Header=BB6_2990 Depth=2
	s_andn2_saveexec_b64 s[90:91], s[90:91]
; %bb.3083:                             ;   in Loop: Header=BB6_2990 Depth=2
	v_cmp_lt_i16_e32 vcc, -1, v24
	v_mov_b32_e32 v3, 0xff800000
	v_mov_b32_e32 v24, 0x7f800000
	v_cndmask_b32_e32 v3, v3, v24, vcc
	v_cmp_eq_u32_e32 vcc, 0, v26
	v_mov_b32_e32 v24, 0x7f800001
	v_cndmask_b32_e32 v3, v24, v3, vcc
; %bb.3084:                             ;   in Loop: Header=BB6_2990 Depth=2
	s_or_b64 exec, exec, s[90:91]
.LBB6_3085:                             ;   in Loop: Header=BB6_2990 Depth=2
	s_or_b64 exec, exec, s[88:89]
.LBB6_3086:                             ;   in Loop: Header=BB6_2990 Depth=2
	s_or_b64 exec, exec, s[20:21]
	v_mul_f32_e32 v9, v9, v3
	v_and_b32_e32 v24, 0x7f800000, v9
	v_mov_b32_e32 v25, v28
	v_cmp_ne_u64_e32 vcc, s[60:61], v[24:25]
	v_and_b32_e32 v27, 0x7fffff, v9
                                        ; implicit-def: $vgpr25
	s_and_saveexec_b64 s[20:21], vcc
	s_xor_b64 s[88:89], exec, s[20:21]
	s_cbranch_execz .LBB6_3104
; %bb.3087:                             ;   in Loop: Header=BB6_2990 Depth=2
	v_and_b32_e32 v24, 0x7fffffff, v9
	v_mov_b32_e32 v25, v28
	v_cmp_gt_u64_e32 vcc, s[62:63], v[24:25]
	v_and_b32_sdwa v3, v9, s55 dst_sel:DWORD dst_unused:UNUSED_PAD src0_sel:BYTE_3 src1_sel:DWORD
                                        ; implicit-def: $vgpr25
	s_and_saveexec_b64 s[20:21], vcc
	s_xor_b64 s[90:91], exec, s[20:21]
	s_cbranch_execz .LBB6_3101
; %bb.3088:                             ;   in Loop: Header=BB6_2990 Depth=2
	v_cmp_ne_u32_e32 vcc, 0, v9
	v_mov_b32_e32 v25, 0
	s_and_saveexec_b64 s[92:93], vcc
	s_cbranch_execz .LBB6_3100
; %bb.3089:                             ;   in Loop: Header=BB6_2990 Depth=2
	v_bfe_u32 v9, v9, 23, 8
	v_cmp_gt_u32_e64 s[20:21], s64, v9
	v_sub_u32_e32 v24, 0x71, v9
	v_cmp_eq_u32_e32 vcc, 0, v9
	v_cndmask_b32_e64 v24, 0, v24, s[20:21]
	v_mov_b32_e32 v26, 0x70
	v_cndmask_b32_e32 v30, v24, v26, vcc
	v_or_b32_e32 v25, 0x800000, v27
	v_add_u32_e32 v26, 21, v30
	v_cndmask_b32_e32 v24, v25, v27, vcc
	v_lshlrev_b64 v[26:27], v26, -1
	v_mov_b32_e32 v25, v28
	v_add_u32_e32 v33, 20, v30
	v_bfi_b32 v26, v26, 0, v24
	v_lshlrev_b64 v[33:34], v33, 1
	v_lshrrev_b64 v[24:25], v30, v[24:25]
	v_bfi_b32 v27, v27, 0, 0
	v_cmp_eq_u64_e64 s[20:21], v[26:27], v[33:34]
	v_mov_b32_e32 v26, v25
	v_mov_b32_e32 v25, v24
	s_and_saveexec_b64 s[94:95], s[20:21]
; %bb.3090:                             ;   in Loop: Header=BB6_2990 Depth=2
	v_bfe_u32 v25, v24, 21, 1
	v_add_co_u32_e64 v25, s[20:21], v24, v25
	v_add_co_u32_e64 v25, s[20:21], -1, v25
; %bb.3091:                             ;   in Loop: Header=BB6_2990 Depth=2
	s_or_b64 exec, exec, s[94:95]
	v_add_u32_e32 v9, 0xffffff81, v9
	v_mov_b32_e32 v26, 0xffffff82
	v_cndmask_b32_e32 v9, v9, v26, vcc
	v_lshrrev_b32_e32 v26, 23, v24
	v_add3_u32 v30, v30, v9, v26
	v_add_u32_e32 v26, 14, v30
	v_and_b32_e32 v9, 0x1fffff, v25
	v_add_u32_e32 v27, v9, v24
	v_cmp_ne_u32_e32 vcc, 0, v26
                                        ; implicit-def: $vgpr24_vgpr25
                                        ; implicit-def: $vgpr9
	s_and_saveexec_b64 s[20:21], vcc
	s_xor_b64 s[20:21], exec, s[20:21]
; %bb.3092:                             ;   in Loop: Header=BB6_2990 Depth=2
	v_cmp_lt_u64_e32 vcc, s[72:73], v[27:28]
	v_add_u32_e32 v9, 15, v30
	v_cndmask_b32_e64 v24, 0, 1, vcc
	v_lshrrev_b64 v[24:25], v24, v[27:28]
	v_cndmask_b32_e32 v9, v26, v9, vcc
; %bb.3093:                             ;   in Loop: Header=BB6_2990 Depth=2
	s_andn2_saveexec_b64 s[20:21], s[20:21]
; %bb.3094:                             ;   in Loop: Header=BB6_2990 Depth=2
	v_mov_b32_e32 v24, v27
	v_mov_b32_e32 v25, v28
	v_bfe_u32 v9, v27, 23, 1
; %bb.3095:                             ;   in Loop: Header=BB6_2990 Depth=2
	s_or_b64 exec, exec, s[20:21]
	v_lshrrev_b64 v[24:25], 21, v[24:25]
	v_cmp_gt_i32_e32 vcc, 32, v9
	v_cndmask_b32_e32 v25, 0, v25, vcc
	v_cndmask_b32_e32 v24, 3, v24, vcc
	v_cmp_ne_u64_e32 vcc, 0, v[24:25]
	v_cmp_ne_u32_e64 s[20:21], 0, v9
	s_or_b64 s[20:21], s[20:21], vcc
                                        ; implicit-def: $vgpr25
	s_and_saveexec_b64 s[94:95], s[20:21]
	s_xor_b64 s[20:21], exec, s[94:95]
; %bb.3096:                             ;   in Loop: Header=BB6_2990 Depth=2
	v_min_i32_e32 v9, 31, v9
	v_lshl_or_b32 v3, v9, 2, v3
	v_and_or_b32 v25, v24, 3, v3
                                        ; implicit-def: $vgpr3
; %bb.3097:                             ;   in Loop: Header=BB6_2990 Depth=2
	s_andn2_saveexec_b64 s[20:21], s[20:21]
; %bb.3098:                             ;   in Loop: Header=BB6_2990 Depth=2
	v_mov_b32_e32 v25, v3
; %bb.3099:                             ;   in Loop: Header=BB6_2990 Depth=2
	s_or_b64 exec, exec, s[20:21]
.LBB6_3100:                             ;   in Loop: Header=BB6_2990 Depth=2
	s_or_b64 exec, exec, s[92:93]
                                        ; implicit-def: $vgpr3
.LBB6_3101:                             ;   in Loop: Header=BB6_2990 Depth=2
	s_andn2_saveexec_b64 s[20:21], s[90:91]
; %bb.3102:                             ;   in Loop: Header=BB6_2990 Depth=2
	v_or_b32_e32 v25, 0x7b, v3
; %bb.3103:                             ;   in Loop: Header=BB6_2990 Depth=2
	s_or_b64 exec, exec, s[20:21]
                                        ; implicit-def: $vgpr9
.LBB6_3104:                             ;   in Loop: Header=BB6_2990 Depth=2
	s_andn2_saveexec_b64 s[20:21], s[88:89]
	s_cbranch_execz .LBB6_3110
; %bb.3105:                             ;   in Loop: Header=BB6_2990 Depth=2
	v_cmp_ne_u64_e32 vcc, 0, v[27:28]
                                        ; implicit-def: $vgpr25
	s_and_saveexec_b64 s[88:89], vcc
	s_xor_b64 s[88:89], exec, s[88:89]
; %bb.3106:                             ;   in Loop: Header=BB6_2990 Depth=2
	v_or_b32_sdwa v25, v9, s65 dst_sel:DWORD dst_unused:UNUSED_PAD src0_sel:BYTE_3 src1_sel:DWORD
                                        ; implicit-def: $vgpr9
; %bb.3107:                             ;   in Loop: Header=BB6_2990 Depth=2
	s_andn2_saveexec_b64 s[88:89], s[88:89]
; %bb.3108:                             ;   in Loop: Header=BB6_2990 Depth=2
	v_cmp_lt_i32_e32 vcc, -1, v9
	v_mov_b32_e32 v3, 0x7c
	v_cndmask_b32_e32 v25, -4, v3, vcc
; %bb.3109:                             ;   in Loop: Header=BB6_2990 Depth=2
	s_or_b64 exec, exec, s[88:89]
.LBB6_3110:                             ;   in Loop: Header=BB6_2990 Depth=2
	s_or_b64 exec, exec, s[20:21]
	v_cmp_ne_u16_e32 vcc, 0, v23
	v_mov_b32_e32 v3, 0
	v_mov_b32_e32 v9, 0
	s_and_saveexec_b64 s[20:21], vcc
	s_cbranch_execz .LBB6_3118
; %bb.3111:                             ;   in Loop: Header=BB6_2990 Depth=2
	v_cmp_ne_u16_e32 vcc, s52, v23
	v_bfrev_b32_e32 v9, 1
	s_and_saveexec_b64 s[88:89], vcc
	s_cbranch_execz .LBB6_3117
; %bb.3112:                             ;   in Loop: Header=BB6_2990 Depth=2
	v_and_b32_e32 v9, 0x7c, v23
	v_and_b32_e32 v26, 3, v23
	v_cmp_ne_u32_e32 vcc, s53, v9
                                        ; implicit-def: $vgpr9
	s_and_saveexec_b64 s[90:91], vcc
	s_xor_b64 s[90:91], exec, s[90:91]
	s_cbranch_execz .LBB6_3114
; %bb.3113:                             ;   in Loop: Header=BB6_2990 Depth=2
	v_ffbh_u32_e32 v27, v26
	v_min_u32_e32 v27, 32, v27
	v_and_b32_e32 v9, 0xff, v23
	v_mov_b32_e32 v24, v28
	v_subrev_u32_e32 v30, 29, v27
	v_bfe_u32 v9, v9, 2, 5
	v_lshlrev_b64 v[33:34], v30, v[23:24]
	v_sub_u32_e32 v24, 30, v27
	v_cmp_eq_u32_e32 vcc, 0, v9
	v_and_b32_e32 v27, 3, v33
	v_cndmask_b32_e32 v9, v9, v24, vcc
	v_and_b32_sdwa v23, sext(v23), s54 dst_sel:DWORD dst_unused:UNUSED_PAD src0_sel:WORD_0 src1_sel:DWORD
	v_cndmask_b32_e32 v24, v26, v27, vcc
	v_lshl_add_u32 v9, v9, 23, v23
	v_lshl_or_b32 v9, v24, 21, v9
	v_add_u32_e32 v9, 0x38000000, v9
                                        ; implicit-def: $vgpr26
                                        ; implicit-def: $vgpr23
.LBB6_3114:                             ;   in Loop: Header=BB6_2990 Depth=2
	s_andn2_saveexec_b64 s[90:91], s[90:91]
; %bb.3115:                             ;   in Loop: Header=BB6_2990 Depth=2
	v_cmp_lt_i16_e32 vcc, -1, v23
	v_mov_b32_e32 v9, 0xff800000
	v_mov_b32_e32 v23, 0x7f800000
	v_cndmask_b32_e32 v9, v9, v23, vcc
	v_cmp_eq_u32_e32 vcc, 0, v26
	v_mov_b32_e32 v23, 0x7f800001
	v_cndmask_b32_e32 v9, v23, v9, vcc
; %bb.3116:                             ;   in Loop: Header=BB6_2990 Depth=2
	s_or_b64 exec, exec, s[90:91]
.LBB6_3117:                             ;   in Loop: Header=BB6_2990 Depth=2
	s_or_b64 exec, exec, s[88:89]
.LBB6_3118:                             ;   in Loop: Header=BB6_2990 Depth=2
	s_or_b64 exec, exec, s[20:21]
	v_cmp_ne_u16_e32 vcc, 0, v22
	s_and_saveexec_b64 s[20:21], vcc
	s_cbranch_execz .LBB6_3126
; %bb.3119:                             ;   in Loop: Header=BB6_2990 Depth=2
	v_cmp_ne_u16_e32 vcc, s52, v22
	v_bfrev_b32_e32 v3, 1
	s_and_saveexec_b64 s[88:89], vcc
	s_cbranch_execz .LBB6_3125
; %bb.3120:                             ;   in Loop: Header=BB6_2990 Depth=2
	v_and_b32_e32 v3, 0x7c, v22
	v_and_b32_e32 v24, 3, v22
	v_cmp_ne_u32_e32 vcc, s53, v3
                                        ; implicit-def: $vgpr3
	s_and_saveexec_b64 s[90:91], vcc
	s_xor_b64 s[90:91], exec, s[90:91]
	s_cbranch_execz .LBB6_3122
; %bb.3121:                             ;   in Loop: Header=BB6_2990 Depth=2
	v_ffbh_u32_e32 v26, v24
	v_min_u32_e32 v30, 32, v26
	v_and_b32_e32 v3, 0xff, v22
	v_mov_b32_e32 v23, v28
	v_subrev_u32_e32 v26, 29, v30
	v_bfe_u32 v3, v3, 2, 5
	v_lshlrev_b64 v[26:27], v26, v[22:23]
	v_sub_u32_e32 v23, 30, v30
	v_cmp_eq_u32_e32 vcc, 0, v3
	v_and_b32_e32 v26, 3, v26
	v_cndmask_b32_e32 v3, v3, v23, vcc
	v_and_b32_sdwa v22, sext(v22), s54 dst_sel:DWORD dst_unused:UNUSED_PAD src0_sel:WORD_0 src1_sel:DWORD
	v_cndmask_b32_e32 v23, v24, v26, vcc
	v_lshl_add_u32 v3, v3, 23, v22
	v_lshl_or_b32 v3, v23, 21, v3
	v_add_u32_e32 v3, 0x38000000, v3
                                        ; implicit-def: $vgpr24
                                        ; implicit-def: $vgpr22
.LBB6_3122:                             ;   in Loop: Header=BB6_2990 Depth=2
	s_andn2_saveexec_b64 s[90:91], s[90:91]
; %bb.3123:                             ;   in Loop: Header=BB6_2990 Depth=2
	v_cmp_lt_i16_e32 vcc, -1, v22
	v_mov_b32_e32 v3, 0xff800000
	v_mov_b32_e32 v22, 0x7f800000
	v_cndmask_b32_e32 v3, v3, v22, vcc
	v_cmp_eq_u32_e32 vcc, 0, v24
	v_mov_b32_e32 v22, 0x7f800001
	v_cndmask_b32_e32 v3, v22, v3, vcc
; %bb.3124:                             ;   in Loop: Header=BB6_2990 Depth=2
	s_or_b64 exec, exec, s[90:91]
.LBB6_3125:                             ;   in Loop: Header=BB6_2990 Depth=2
	s_or_b64 exec, exec, s[88:89]
.LBB6_3126:                             ;   in Loop: Header=BB6_2990 Depth=2
	s_or_b64 exec, exec, s[20:21]
	v_mul_f32_e32 v9, v9, v3
	v_and_b32_e32 v22, 0x7f800000, v9
	v_mov_b32_e32 v23, v28
	v_cmp_ne_u64_e32 vcc, s[60:61], v[22:23]
	v_and_b32_e32 v27, 0x7fffff, v9
                                        ; implicit-def: $vgpr24
	s_and_saveexec_b64 s[20:21], vcc
	s_xor_b64 s[88:89], exec, s[20:21]
	s_cbranch_execz .LBB6_3144
; %bb.3127:                             ;   in Loop: Header=BB6_2990 Depth=2
	v_and_b32_e32 v22, 0x7fffffff, v9
	v_mov_b32_e32 v23, v28
	v_cmp_gt_u64_e32 vcc, s[62:63], v[22:23]
	v_and_b32_sdwa v3, v9, s55 dst_sel:DWORD dst_unused:UNUSED_PAD src0_sel:BYTE_3 src1_sel:DWORD
                                        ; implicit-def: $vgpr24
	s_and_saveexec_b64 s[20:21], vcc
	s_xor_b64 s[90:91], exec, s[20:21]
	s_cbranch_execz .LBB6_3141
; %bb.3128:                             ;   in Loop: Header=BB6_2990 Depth=2
	v_cmp_ne_u32_e32 vcc, 0, v9
	v_mov_b32_e32 v24, 0
	s_and_saveexec_b64 s[92:93], vcc
	s_cbranch_execz .LBB6_3140
; %bb.3129:                             ;   in Loop: Header=BB6_2990 Depth=2
	v_bfe_u32 v9, v9, 23, 8
	v_cmp_gt_u32_e64 s[20:21], s64, v9
	v_sub_u32_e32 v22, 0x71, v9
	v_cmp_eq_u32_e32 vcc, 0, v9
	v_cndmask_b32_e64 v22, 0, v22, s[20:21]
	v_mov_b32_e32 v24, 0x70
	v_cndmask_b32_e32 v26, v22, v24, vcc
	v_add_u32_e32 v24, 21, v26
	v_or_b32_e32 v23, 0x800000, v27
	v_lshlrev_b64 v[33:34], v24, -1
	v_cndmask_b32_e32 v22, v23, v27, vcc
	v_mov_b32_e32 v23, v28
	v_add_u32_e32 v24, 20, v26
	v_mov_b32_e32 v30, v35
	v_bfi_b32 v33, v33, 0, v22
	v_lshlrev_b64 v[35:36], v24, 1
	v_lshrrev_b64 v[22:23], v26, v[22:23]
	v_bfi_b32 v34, v34, 0, 0
	v_cmp_eq_u64_e64 s[20:21], v[33:34], v[35:36]
	v_mov_b32_e32 v24, v23
	v_mov_b32_e32 v23, v22
	s_and_saveexec_b64 s[94:95], s[20:21]
; %bb.3130:                             ;   in Loop: Header=BB6_2990 Depth=2
	v_bfe_u32 v23, v22, 21, 1
	v_add_co_u32_e64 v23, s[20:21], v22, v23
	v_add_co_u32_e64 v23, s[20:21], -1, v23
; %bb.3131:                             ;   in Loop: Header=BB6_2990 Depth=2
	s_or_b64 exec, exec, s[94:95]
	v_add_u32_e32 v9, 0xffffff81, v9
	v_mov_b32_e32 v24, 0xffffff82
	v_cndmask_b32_e32 v9, v9, v24, vcc
	v_lshrrev_b32_e32 v24, 23, v22
	v_add3_u32 v26, v26, v9, v24
	v_add_u32_e32 v24, 14, v26
	v_and_b32_e32 v9, 0x1fffff, v23
	v_add_u32_e32 v27, v9, v22
	v_cmp_ne_u32_e32 vcc, 0, v24
                                        ; implicit-def: $vgpr22_vgpr23
                                        ; implicit-def: $vgpr9
	s_and_saveexec_b64 s[20:21], vcc
	s_xor_b64 s[20:21], exec, s[20:21]
; %bb.3132:                             ;   in Loop: Header=BB6_2990 Depth=2
	v_cmp_lt_u64_e32 vcc, s[72:73], v[27:28]
	v_add_u32_e32 v9, 15, v26
	v_cndmask_b32_e64 v22, 0, 1, vcc
	v_lshrrev_b64 v[22:23], v22, v[27:28]
	v_cndmask_b32_e32 v9, v24, v9, vcc
; %bb.3133:                             ;   in Loop: Header=BB6_2990 Depth=2
	s_or_saveexec_b64 s[20:21], s[20:21]
	v_mov_b32_e32 v35, v30
	s_xor_b64 exec, exec, s[20:21]
; %bb.3134:                             ;   in Loop: Header=BB6_2990 Depth=2
	v_mov_b32_e32 v22, v27
	v_mov_b32_e32 v23, v28
	v_bfe_u32 v9, v27, 23, 1
; %bb.3135:                             ;   in Loop: Header=BB6_2990 Depth=2
	s_or_b64 exec, exec, s[20:21]
	v_lshrrev_b64 v[22:23], 21, v[22:23]
	v_cmp_gt_i32_e32 vcc, 32, v9
	v_cndmask_b32_e32 v23, 0, v23, vcc
	v_cndmask_b32_e32 v22, 3, v22, vcc
	v_cmp_ne_u64_e32 vcc, 0, v[22:23]
	v_cmp_ne_u32_e64 s[20:21], 0, v9
	s_or_b64 s[20:21], s[20:21], vcc
                                        ; implicit-def: $vgpr24
	s_and_saveexec_b64 s[94:95], s[20:21]
	s_xor_b64 s[20:21], exec, s[94:95]
; %bb.3136:                             ;   in Loop: Header=BB6_2990 Depth=2
	v_min_i32_e32 v9, 31, v9
	v_lshl_or_b32 v3, v9, 2, v3
	v_and_or_b32 v24, v22, 3, v3
                                        ; implicit-def: $vgpr3
; %bb.3137:                             ;   in Loop: Header=BB6_2990 Depth=2
	s_andn2_saveexec_b64 s[20:21], s[20:21]
; %bb.3138:                             ;   in Loop: Header=BB6_2990 Depth=2
	v_mov_b32_e32 v24, v3
; %bb.3139:                             ;   in Loop: Header=BB6_2990 Depth=2
	s_or_b64 exec, exec, s[20:21]
.LBB6_3140:                             ;   in Loop: Header=BB6_2990 Depth=2
	s_or_b64 exec, exec, s[92:93]
                                        ; implicit-def: $vgpr3
.LBB6_3141:                             ;   in Loop: Header=BB6_2990 Depth=2
	s_andn2_saveexec_b64 s[20:21], s[90:91]
; %bb.3142:                             ;   in Loop: Header=BB6_2990 Depth=2
	v_or_b32_e32 v24, 0x7b, v3
; %bb.3143:                             ;   in Loop: Header=BB6_2990 Depth=2
	s_or_b64 exec, exec, s[20:21]
                                        ; implicit-def: $vgpr9
.LBB6_3144:                             ;   in Loop: Header=BB6_2990 Depth=2
	s_andn2_saveexec_b64 s[20:21], s[88:89]
	s_cbranch_execz .LBB6_3150
; %bb.3145:                             ;   in Loop: Header=BB6_2990 Depth=2
	v_cmp_ne_u64_e32 vcc, 0, v[27:28]
                                        ; implicit-def: $vgpr24
	s_and_saveexec_b64 s[88:89], vcc
	s_xor_b64 s[88:89], exec, s[88:89]
; %bb.3146:                             ;   in Loop: Header=BB6_2990 Depth=2
	v_or_b32_sdwa v24, v9, s65 dst_sel:DWORD dst_unused:UNUSED_PAD src0_sel:BYTE_3 src1_sel:DWORD
                                        ; implicit-def: $vgpr9
; %bb.3147:                             ;   in Loop: Header=BB6_2990 Depth=2
	s_andn2_saveexec_b64 s[88:89], s[88:89]
; %bb.3148:                             ;   in Loop: Header=BB6_2990 Depth=2
	v_cmp_lt_i32_e32 vcc, -1, v9
	v_mov_b32_e32 v3, 0x7c
	v_cndmask_b32_e32 v24, -4, v3, vcc
; %bb.3149:                             ;   in Loop: Header=BB6_2990 Depth=2
	s_or_b64 exec, exec, s[88:89]
.LBB6_3150:                             ;   in Loop: Header=BB6_2990 Depth=2
	s_or_b64 exec, exec, s[20:21]
	v_cmp_ne_u16_e32 vcc, 0, v21
	v_mov_b32_e32 v3, 0
	v_mov_b32_e32 v9, 0
	s_and_saveexec_b64 s[20:21], vcc
	s_cbranch_execz .LBB6_3158
; %bb.3151:                             ;   in Loop: Header=BB6_2990 Depth=2
	v_cmp_ne_u16_e32 vcc, s52, v21
	v_bfrev_b32_e32 v9, 1
	s_and_saveexec_b64 s[88:89], vcc
	s_cbranch_execz .LBB6_3157
; %bb.3152:                             ;   in Loop: Header=BB6_2990 Depth=2
	v_and_b32_e32 v9, 0x7c, v21
	v_and_b32_e32 v23, 3, v21
	v_cmp_ne_u32_e32 vcc, s53, v9
                                        ; implicit-def: $vgpr9
	s_and_saveexec_b64 s[90:91], vcc
	s_xor_b64 s[90:91], exec, s[90:91]
	s_cbranch_execz .LBB6_3154
; %bb.3153:                             ;   in Loop: Header=BB6_2990 Depth=2
	v_ffbh_u32_e32 v26, v23
	v_min_u32_e32 v30, 32, v26
	v_and_b32_e32 v9, 0xff, v21
	v_mov_b32_e32 v22, v28
	v_subrev_u32_e32 v26, 29, v30
	v_bfe_u32 v9, v9, 2, 5
	v_lshlrev_b64 v[26:27], v26, v[21:22]
	v_sub_u32_e32 v22, 30, v30
	v_cmp_eq_u32_e32 vcc, 0, v9
	v_and_b32_e32 v26, 3, v26
	v_cndmask_b32_e32 v9, v9, v22, vcc
	v_and_b32_sdwa v21, sext(v21), s54 dst_sel:DWORD dst_unused:UNUSED_PAD src0_sel:WORD_0 src1_sel:DWORD
	v_cndmask_b32_e32 v22, v23, v26, vcc
	v_lshl_add_u32 v9, v9, 23, v21
	v_lshl_or_b32 v9, v22, 21, v9
	v_add_u32_e32 v9, 0x38000000, v9
                                        ; implicit-def: $vgpr23
                                        ; implicit-def: $vgpr21
.LBB6_3154:                             ;   in Loop: Header=BB6_2990 Depth=2
	s_andn2_saveexec_b64 s[90:91], s[90:91]
; %bb.3155:                             ;   in Loop: Header=BB6_2990 Depth=2
	v_cmp_lt_i16_e32 vcc, -1, v21
	v_mov_b32_e32 v9, 0xff800000
	v_mov_b32_e32 v21, 0x7f800000
	v_cndmask_b32_e32 v9, v9, v21, vcc
	v_cmp_eq_u32_e32 vcc, 0, v23
	v_mov_b32_e32 v21, 0x7f800001
	v_cndmask_b32_e32 v9, v21, v9, vcc
; %bb.3156:                             ;   in Loop: Header=BB6_2990 Depth=2
	s_or_b64 exec, exec, s[90:91]
.LBB6_3157:                             ;   in Loop: Header=BB6_2990 Depth=2
	s_or_b64 exec, exec, s[88:89]
.LBB6_3158:                             ;   in Loop: Header=BB6_2990 Depth=2
	s_or_b64 exec, exec, s[20:21]
	v_cmp_ne_u16_e32 vcc, 0, v46
	s_and_saveexec_b64 s[20:21], vcc
	s_cbranch_execz .LBB6_3166
; %bb.3159:                             ;   in Loop: Header=BB6_2990 Depth=2
	v_cmp_ne_u16_e32 vcc, s52, v46
	v_bfrev_b32_e32 v3, 1
	s_and_saveexec_b64 s[88:89], vcc
	s_cbranch_execz .LBB6_3165
; %bb.3160:                             ;   in Loop: Header=BB6_2990 Depth=2
	v_and_b32_e32 v3, 0x7c, v46
	v_and_b32_e32 v21, 3, v46
	v_cmp_ne_u32_e32 vcc, s53, v3
                                        ; implicit-def: $vgpr3
	s_and_saveexec_b64 s[90:91], vcc
	s_xor_b64 s[90:91], exec, s[90:91]
	s_cbranch_execz .LBB6_3162
; %bb.3161:                             ;   in Loop: Header=BB6_2990 Depth=2
	v_ffbh_u32_e32 v22, v21
	v_min_u32_e32 v26, 32, v22
	v_mov_b32_e32 v47, v28
	v_subrev_u32_e32 v22, 29, v26
	v_and_b32_e32 v3, 0xff, v46
	v_lshlrev_b64 v[22:23], v22, v[46:47]
	v_bfe_u32 v3, v3, 2, 5
	v_sub_u32_e32 v23, 30, v26
	v_and_b32_e32 v22, 3, v22
	v_cmp_eq_u32_e32 vcc, 0, v3
	v_cndmask_b32_e32 v3, v3, v23, vcc
	v_cndmask_b32_e32 v21, v21, v22, vcc
	v_and_b32_sdwa v22, sext(v46), s54 dst_sel:DWORD dst_unused:UNUSED_PAD src0_sel:WORD_0 src1_sel:DWORD
	v_lshl_add_u32 v3, v3, 23, v22
	v_lshl_or_b32 v3, v21, 21, v3
	v_add_u32_e32 v3, 0x38000000, v3
                                        ; implicit-def: $vgpr21
                                        ; implicit-def: $vgpr46
.LBB6_3162:                             ;   in Loop: Header=BB6_2990 Depth=2
	s_andn2_saveexec_b64 s[90:91], s[90:91]
; %bb.3163:                             ;   in Loop: Header=BB6_2990 Depth=2
	v_cmp_lt_i16_e32 vcc, -1, v46
	v_mov_b32_e32 v3, 0xff800000
	v_mov_b32_e32 v22, 0x7f800000
	v_cndmask_b32_e32 v3, v3, v22, vcc
	v_cmp_eq_u32_e32 vcc, 0, v21
	v_mov_b32_e32 v21, 0x7f800001
	v_cndmask_b32_e32 v3, v21, v3, vcc
; %bb.3164:                             ;   in Loop: Header=BB6_2990 Depth=2
	s_or_b64 exec, exec, s[90:91]
.LBB6_3165:                             ;   in Loop: Header=BB6_2990 Depth=2
	s_or_b64 exec, exec, s[88:89]
.LBB6_3166:                             ;   in Loop: Header=BB6_2990 Depth=2
	s_or_b64 exec, exec, s[20:21]
	v_mul_f32_e32 v9, v9, v3
	v_and_b32_e32 v21, 0x7f800000, v9
	v_mov_b32_e32 v22, v28
	v_cmp_ne_u64_e32 vcc, s[60:61], v[21:22]
	v_and_b32_e32 v27, 0x7fffff, v9
                                        ; implicit-def: $vgpr23
	s_and_saveexec_b64 s[20:21], vcc
	s_xor_b64 s[88:89], exec, s[20:21]
	s_cbranch_execz .LBB6_3184
; %bb.3167:                             ;   in Loop: Header=BB6_2990 Depth=2
	v_and_b32_e32 v21, 0x7fffffff, v9
	v_mov_b32_e32 v22, v28
	v_cmp_gt_u64_e32 vcc, s[62:63], v[21:22]
	v_and_b32_sdwa v3, v9, s55 dst_sel:DWORD dst_unused:UNUSED_PAD src0_sel:BYTE_3 src1_sel:DWORD
                                        ; implicit-def: $vgpr23
	s_and_saveexec_b64 s[20:21], vcc
	s_xor_b64 s[90:91], exec, s[20:21]
	s_cbranch_execz .LBB6_3181
; %bb.3168:                             ;   in Loop: Header=BB6_2990 Depth=2
	v_cmp_ne_u32_e32 vcc, 0, v9
	v_mov_b32_e32 v23, 0
	s_and_saveexec_b64 s[92:93], vcc
	s_cbranch_execz .LBB6_3180
; %bb.3169:                             ;   in Loop: Header=BB6_2990 Depth=2
	v_bfe_u32 v9, v9, 23, 8
	v_cmp_gt_u32_e64 s[20:21], s64, v9
	v_sub_u32_e32 v21, 0x71, v9
	v_cmp_eq_u32_e32 vcc, 0, v9
	v_cndmask_b32_e64 v21, 0, v21, s[20:21]
	v_mov_b32_e32 v23, 0x70
	v_cndmask_b32_e32 v26, v21, v23, vcc
	v_add_u32_e32 v23, 21, v26
	v_or_b32_e32 v22, 0x800000, v27
	v_lshlrev_b64 v[33:34], v23, -1
	v_cndmask_b32_e32 v21, v22, v27, vcc
	v_mov_b32_e32 v22, v28
	v_add_u32_e32 v23, 20, v26
	v_mov_b32_e32 v30, v35
	v_bfi_b32 v33, v33, 0, v21
	v_lshlrev_b64 v[35:36], v23, 1
	v_lshrrev_b64 v[21:22], v26, v[21:22]
	v_bfi_b32 v34, v34, 0, 0
	v_cmp_eq_u64_e64 s[20:21], v[33:34], v[35:36]
	v_mov_b32_e32 v23, v22
	v_mov_b32_e32 v22, v21
	s_and_saveexec_b64 s[94:95], s[20:21]
; %bb.3170:                             ;   in Loop: Header=BB6_2990 Depth=2
	v_bfe_u32 v22, v21, 21, 1
	v_add_co_u32_e64 v22, s[20:21], v21, v22
	v_add_co_u32_e64 v22, s[20:21], -1, v22
; %bb.3171:                             ;   in Loop: Header=BB6_2990 Depth=2
	s_or_b64 exec, exec, s[94:95]
	v_add_u32_e32 v9, 0xffffff81, v9
	v_mov_b32_e32 v23, 0xffffff82
	v_cndmask_b32_e32 v9, v9, v23, vcc
	v_lshrrev_b32_e32 v23, 23, v21
	v_add3_u32 v26, v26, v9, v23
	v_add_u32_e32 v23, 14, v26
	v_and_b32_e32 v9, 0x1fffff, v22
	v_add_u32_e32 v27, v9, v21
	v_cmp_ne_u32_e32 vcc, 0, v23
                                        ; implicit-def: $vgpr21_vgpr22
                                        ; implicit-def: $vgpr9
	s_and_saveexec_b64 s[20:21], vcc
	s_xor_b64 s[20:21], exec, s[20:21]
; %bb.3172:                             ;   in Loop: Header=BB6_2990 Depth=2
	v_cmp_lt_u64_e32 vcc, s[72:73], v[27:28]
	v_add_u32_e32 v9, 15, v26
	v_cndmask_b32_e64 v21, 0, 1, vcc
	v_lshrrev_b64 v[21:22], v21, v[27:28]
	v_cndmask_b32_e32 v9, v23, v9, vcc
; %bb.3173:                             ;   in Loop: Header=BB6_2990 Depth=2
	s_or_saveexec_b64 s[20:21], s[20:21]
	v_mov_b32_e32 v35, v30
	s_xor_b64 exec, exec, s[20:21]
; %bb.3174:                             ;   in Loop: Header=BB6_2990 Depth=2
	v_mov_b32_e32 v21, v27
	v_mov_b32_e32 v22, v28
	v_bfe_u32 v9, v27, 23, 1
; %bb.3175:                             ;   in Loop: Header=BB6_2990 Depth=2
	s_or_b64 exec, exec, s[20:21]
	v_lshrrev_b64 v[21:22], 21, v[21:22]
	v_cmp_gt_i32_e32 vcc, 32, v9
	v_cndmask_b32_e32 v22, 0, v22, vcc
	v_cndmask_b32_e32 v21, 3, v21, vcc
	v_cmp_ne_u64_e32 vcc, 0, v[21:22]
	v_cmp_ne_u32_e64 s[20:21], 0, v9
	s_or_b64 s[20:21], s[20:21], vcc
                                        ; implicit-def: $vgpr23
	s_and_saveexec_b64 s[94:95], s[20:21]
	s_xor_b64 s[20:21], exec, s[94:95]
; %bb.3176:                             ;   in Loop: Header=BB6_2990 Depth=2
	v_min_i32_e32 v9, 31, v9
	v_lshl_or_b32 v3, v9, 2, v3
	v_and_or_b32 v23, v21, 3, v3
                                        ; implicit-def: $vgpr3
; %bb.3177:                             ;   in Loop: Header=BB6_2990 Depth=2
	s_andn2_saveexec_b64 s[20:21], s[20:21]
; %bb.3178:                             ;   in Loop: Header=BB6_2990 Depth=2
	v_mov_b32_e32 v23, v3
; %bb.3179:                             ;   in Loop: Header=BB6_2990 Depth=2
	s_or_b64 exec, exec, s[20:21]
.LBB6_3180:                             ;   in Loop: Header=BB6_2990 Depth=2
	s_or_b64 exec, exec, s[92:93]
                                        ; implicit-def: $vgpr3
.LBB6_3181:                             ;   in Loop: Header=BB6_2990 Depth=2
	s_andn2_saveexec_b64 s[20:21], s[90:91]
; %bb.3182:                             ;   in Loop: Header=BB6_2990 Depth=2
	v_or_b32_e32 v23, 0x7b, v3
; %bb.3183:                             ;   in Loop: Header=BB6_2990 Depth=2
	s_or_b64 exec, exec, s[20:21]
                                        ; implicit-def: $vgpr9
.LBB6_3184:                             ;   in Loop: Header=BB6_2990 Depth=2
	s_andn2_saveexec_b64 s[20:21], s[88:89]
	s_cbranch_execz .LBB6_3190
; %bb.3185:                             ;   in Loop: Header=BB6_2990 Depth=2
	v_cmp_ne_u64_e32 vcc, 0, v[27:28]
                                        ; implicit-def: $vgpr23
	s_and_saveexec_b64 s[88:89], vcc
	s_xor_b64 s[88:89], exec, s[88:89]
; %bb.3186:                             ;   in Loop: Header=BB6_2990 Depth=2
	v_or_b32_sdwa v23, v9, s65 dst_sel:DWORD dst_unused:UNUSED_PAD src0_sel:BYTE_3 src1_sel:DWORD
                                        ; implicit-def: $vgpr9
; %bb.3187:                             ;   in Loop: Header=BB6_2990 Depth=2
	s_andn2_saveexec_b64 s[88:89], s[88:89]
; %bb.3188:                             ;   in Loop: Header=BB6_2990 Depth=2
	v_cmp_lt_i32_e32 vcc, -1, v9
	v_mov_b32_e32 v3, 0x7c
	v_cndmask_b32_e32 v23, -4, v3, vcc
; %bb.3189:                             ;   in Loop: Header=BB6_2990 Depth=2
	s_or_b64 exec, exec, s[88:89]
.LBB6_3190:                             ;   in Loop: Header=BB6_2990 Depth=2
	s_or_b64 exec, exec, s[20:21]
	v_cmp_ne_u16_e32 vcc, 0, v45
	v_mov_b32_e32 v3, 0
	v_mov_b32_e32 v9, 0
	s_and_saveexec_b64 s[20:21], vcc
	s_cbranch_execz .LBB6_3198
; %bb.3191:                             ;   in Loop: Header=BB6_2990 Depth=2
	v_cmp_ne_u16_e32 vcc, s52, v45
	v_bfrev_b32_e32 v9, 1
	s_and_saveexec_b64 s[88:89], vcc
	s_cbranch_execz .LBB6_3197
; %bb.3192:                             ;   in Loop: Header=BB6_2990 Depth=2
	v_and_b32_e32 v9, 0x7c, v45
	v_and_b32_e32 v21, 3, v45
	v_cmp_ne_u32_e32 vcc, s53, v9
                                        ; implicit-def: $vgpr9
	s_and_saveexec_b64 s[90:91], vcc
	s_xor_b64 s[90:91], exec, s[90:91]
	s_cbranch_execz .LBB6_3194
; %bb.3193:                             ;   in Loop: Header=BB6_2990 Depth=2
	v_ffbh_u32_e32 v22, v21
	v_min_u32_e32 v22, 32, v22
	v_and_b32_e32 v9, 0xff, v45
	v_mov_b32_e32 v46, v28
	v_subrev_u32_e32 v26, 29, v22
	v_bfe_u32 v9, v9, 2, 5
	v_lshlrev_b64 v[26:27], v26, v[45:46]
	v_sub_u32_e32 v22, 30, v22
	v_cmp_eq_u32_e32 vcc, 0, v9
	v_and_b32_e32 v26, 3, v26
	v_cndmask_b32_e32 v9, v9, v22, vcc
	v_and_b32_sdwa v22, sext(v45), s54 dst_sel:DWORD dst_unused:UNUSED_PAD src0_sel:WORD_0 src1_sel:DWORD
	v_cndmask_b32_e32 v21, v21, v26, vcc
	v_lshl_add_u32 v9, v9, 23, v22
	v_lshl_or_b32 v9, v21, 21, v9
	v_add_u32_e32 v9, 0x38000000, v9
                                        ; implicit-def: $vgpr21
                                        ; implicit-def: $vgpr45
.LBB6_3194:                             ;   in Loop: Header=BB6_2990 Depth=2
	s_andn2_saveexec_b64 s[90:91], s[90:91]
; %bb.3195:                             ;   in Loop: Header=BB6_2990 Depth=2
	v_cmp_lt_i16_e32 vcc, -1, v45
	v_mov_b32_e32 v9, 0xff800000
	v_mov_b32_e32 v22, 0x7f800000
	v_cndmask_b32_e32 v9, v9, v22, vcc
	v_cmp_eq_u32_e32 vcc, 0, v21
	v_mov_b32_e32 v21, 0x7f800001
	v_cndmask_b32_e32 v9, v21, v9, vcc
; %bb.3196:                             ;   in Loop: Header=BB6_2990 Depth=2
	s_or_b64 exec, exec, s[90:91]
.LBB6_3197:                             ;   in Loop: Header=BB6_2990 Depth=2
	s_or_b64 exec, exec, s[88:89]
.LBB6_3198:                             ;   in Loop: Header=BB6_2990 Depth=2
	s_or_b64 exec, exec, s[20:21]
	v_cmp_ne_u16_e32 vcc, 0, v20
	s_and_saveexec_b64 s[20:21], vcc
	s_cbranch_execz .LBB6_3206
; %bb.3199:                             ;   in Loop: Header=BB6_2990 Depth=2
	v_cmp_ne_u16_e32 vcc, s52, v20
	v_bfrev_b32_e32 v3, 1
	s_and_saveexec_b64 s[88:89], vcc
	s_cbranch_execz .LBB6_3205
; %bb.3200:                             ;   in Loop: Header=BB6_2990 Depth=2
	v_and_b32_e32 v3, 0x7c, v20
	v_and_b32_e32 v22, 3, v20
	v_cmp_ne_u32_e32 vcc, s53, v3
                                        ; implicit-def: $vgpr3
	s_and_saveexec_b64 s[90:91], vcc
	s_xor_b64 s[90:91], exec, s[90:91]
	s_cbranch_execz .LBB6_3202
; %bb.3201:                             ;   in Loop: Header=BB6_2990 Depth=2
	v_ffbh_u32_e32 v26, v22
	v_min_u32_e32 v30, 32, v26
	v_and_b32_e32 v3, 0xff, v20
	v_mov_b32_e32 v21, v28
	v_subrev_u32_e32 v26, 29, v30
	v_bfe_u32 v3, v3, 2, 5
	v_lshlrev_b64 v[26:27], v26, v[20:21]
	v_sub_u32_e32 v21, 30, v30
	v_cmp_eq_u32_e32 vcc, 0, v3
	v_and_b32_e32 v26, 3, v26
	v_cndmask_b32_e32 v3, v3, v21, vcc
	v_and_b32_sdwa v20, sext(v20), s54 dst_sel:DWORD dst_unused:UNUSED_PAD src0_sel:WORD_0 src1_sel:DWORD
	v_cndmask_b32_e32 v21, v22, v26, vcc
	v_lshl_add_u32 v3, v3, 23, v20
	v_lshl_or_b32 v3, v21, 21, v3
	v_add_u32_e32 v3, 0x38000000, v3
                                        ; implicit-def: $vgpr22
                                        ; implicit-def: $vgpr20
.LBB6_3202:                             ;   in Loop: Header=BB6_2990 Depth=2
	s_andn2_saveexec_b64 s[90:91], s[90:91]
; %bb.3203:                             ;   in Loop: Header=BB6_2990 Depth=2
	v_cmp_lt_i16_e32 vcc, -1, v20
	v_mov_b32_e32 v3, 0xff800000
	v_mov_b32_e32 v20, 0x7f800000
	v_cndmask_b32_e32 v3, v3, v20, vcc
	v_cmp_eq_u32_e32 vcc, 0, v22
	v_mov_b32_e32 v20, 0x7f800001
	v_cndmask_b32_e32 v3, v20, v3, vcc
; %bb.3204:                             ;   in Loop: Header=BB6_2990 Depth=2
	s_or_b64 exec, exec, s[90:91]
.LBB6_3205:                             ;   in Loop: Header=BB6_2990 Depth=2
	s_or_b64 exec, exec, s[88:89]
.LBB6_3206:                             ;   in Loop: Header=BB6_2990 Depth=2
	s_or_b64 exec, exec, s[20:21]
	v_mul_f32_e32 v9, v9, v3
	v_and_b32_e32 v20, 0x7f800000, v9
	v_mov_b32_e32 v21, v28
	v_cmp_ne_u64_e32 vcc, s[60:61], v[20:21]
	v_and_b32_e32 v27, 0x7fffff, v9
                                        ; implicit-def: $vgpr21
	s_and_saveexec_b64 s[20:21], vcc
	s_xor_b64 s[88:89], exec, s[20:21]
	s_cbranch_execz .LBB6_3224
; %bb.3207:                             ;   in Loop: Header=BB6_2990 Depth=2
	v_and_b32_e32 v20, 0x7fffffff, v9
	v_mov_b32_e32 v21, v28
	v_cmp_gt_u64_e32 vcc, s[62:63], v[20:21]
	v_and_b32_sdwa v3, v9, s55 dst_sel:DWORD dst_unused:UNUSED_PAD src0_sel:BYTE_3 src1_sel:DWORD
                                        ; implicit-def: $vgpr21
	s_and_saveexec_b64 s[20:21], vcc
	s_xor_b64 s[90:91], exec, s[20:21]
	s_cbranch_execz .LBB6_3221
; %bb.3208:                             ;   in Loop: Header=BB6_2990 Depth=2
	v_cmp_ne_u32_e32 vcc, 0, v9
	v_mov_b32_e32 v21, 0
	s_and_saveexec_b64 s[92:93], vcc
	s_cbranch_execz .LBB6_3220
; %bb.3209:                             ;   in Loop: Header=BB6_2990 Depth=2
	v_bfe_u32 v9, v9, 23, 8
	v_cmp_gt_u32_e64 s[20:21], s64, v9
	v_sub_u32_e32 v20, 0x71, v9
	v_cmp_eq_u32_e32 vcc, 0, v9
	v_cndmask_b32_e64 v20, 0, v20, s[20:21]
	v_mov_b32_e32 v22, 0x70
	v_cndmask_b32_e32 v26, v20, v22, vcc
	v_add_u32_e32 v22, 21, v26
	v_or_b32_e32 v21, 0x800000, v27
	v_lshlrev_b64 v[33:34], v22, -1
	v_cndmask_b32_e32 v20, v21, v27, vcc
	v_mov_b32_e32 v21, v28
	v_add_u32_e32 v22, 20, v26
	v_mov_b32_e32 v30, v35
	v_bfi_b32 v33, v33, 0, v20
	v_lshlrev_b64 v[35:36], v22, 1
	v_lshrrev_b64 v[20:21], v26, v[20:21]
	v_bfi_b32 v34, v34, 0, 0
	v_cmp_eq_u64_e64 s[20:21], v[33:34], v[35:36]
	v_mov_b32_e32 v22, v21
	v_mov_b32_e32 v21, v20
	s_and_saveexec_b64 s[94:95], s[20:21]
; %bb.3210:                             ;   in Loop: Header=BB6_2990 Depth=2
	v_bfe_u32 v21, v20, 21, 1
	v_add_co_u32_e64 v21, s[20:21], v20, v21
	v_add_co_u32_e64 v21, s[20:21], -1, v21
; %bb.3211:                             ;   in Loop: Header=BB6_2990 Depth=2
	s_or_b64 exec, exec, s[94:95]
	v_add_u32_e32 v9, 0xffffff81, v9
	v_mov_b32_e32 v22, 0xffffff82
	v_cndmask_b32_e32 v9, v9, v22, vcc
	v_lshrrev_b32_e32 v22, 23, v20
	v_add3_u32 v26, v26, v9, v22
	v_add_u32_e32 v22, 14, v26
	v_and_b32_e32 v9, 0x1fffff, v21
	v_add_u32_e32 v27, v9, v20
	v_cmp_ne_u32_e32 vcc, 0, v22
                                        ; implicit-def: $vgpr20_vgpr21
                                        ; implicit-def: $vgpr9
	s_and_saveexec_b64 s[20:21], vcc
	s_xor_b64 s[20:21], exec, s[20:21]
; %bb.3212:                             ;   in Loop: Header=BB6_2990 Depth=2
	v_cmp_lt_u64_e32 vcc, s[72:73], v[27:28]
	v_add_u32_e32 v9, 15, v26
	v_cndmask_b32_e64 v20, 0, 1, vcc
	v_lshrrev_b64 v[20:21], v20, v[27:28]
	v_cndmask_b32_e32 v9, v22, v9, vcc
; %bb.3213:                             ;   in Loop: Header=BB6_2990 Depth=2
	s_or_saveexec_b64 s[20:21], s[20:21]
	v_mov_b32_e32 v35, v30
	s_xor_b64 exec, exec, s[20:21]
; %bb.3214:                             ;   in Loop: Header=BB6_2990 Depth=2
	v_mov_b32_e32 v20, v27
	v_mov_b32_e32 v21, v28
	v_bfe_u32 v9, v27, 23, 1
; %bb.3215:                             ;   in Loop: Header=BB6_2990 Depth=2
	s_or_b64 exec, exec, s[20:21]
	v_lshrrev_b64 v[20:21], 21, v[20:21]
	v_cmp_gt_i32_e32 vcc, 32, v9
	v_cndmask_b32_e32 v21, 0, v21, vcc
	v_cndmask_b32_e32 v20, 3, v20, vcc
	v_cmp_ne_u64_e32 vcc, 0, v[20:21]
	v_cmp_ne_u32_e64 s[20:21], 0, v9
	s_or_b64 s[20:21], s[20:21], vcc
                                        ; implicit-def: $vgpr21
	s_and_saveexec_b64 s[94:95], s[20:21]
	s_xor_b64 s[20:21], exec, s[94:95]
; %bb.3216:                             ;   in Loop: Header=BB6_2990 Depth=2
	v_min_i32_e32 v9, 31, v9
	v_lshl_or_b32 v3, v9, 2, v3
	v_and_or_b32 v21, v20, 3, v3
                                        ; implicit-def: $vgpr3
; %bb.3217:                             ;   in Loop: Header=BB6_2990 Depth=2
	s_andn2_saveexec_b64 s[20:21], s[20:21]
; %bb.3218:                             ;   in Loop: Header=BB6_2990 Depth=2
	v_mov_b32_e32 v21, v3
; %bb.3219:                             ;   in Loop: Header=BB6_2990 Depth=2
	s_or_b64 exec, exec, s[20:21]
.LBB6_3220:                             ;   in Loop: Header=BB6_2990 Depth=2
	s_or_b64 exec, exec, s[92:93]
                                        ; implicit-def: $vgpr3
.LBB6_3221:                             ;   in Loop: Header=BB6_2990 Depth=2
	s_andn2_saveexec_b64 s[20:21], s[90:91]
; %bb.3222:                             ;   in Loop: Header=BB6_2990 Depth=2
	v_or_b32_e32 v21, 0x7b, v3
; %bb.3223:                             ;   in Loop: Header=BB6_2990 Depth=2
	s_or_b64 exec, exec, s[20:21]
                                        ; implicit-def: $vgpr9
.LBB6_3224:                             ;   in Loop: Header=BB6_2990 Depth=2
	s_andn2_saveexec_b64 s[20:21], s[88:89]
	s_cbranch_execz .LBB6_3230
; %bb.3225:                             ;   in Loop: Header=BB6_2990 Depth=2
	v_cmp_ne_u64_e32 vcc, 0, v[27:28]
                                        ; implicit-def: $vgpr21
	s_and_saveexec_b64 s[88:89], vcc
	s_xor_b64 s[88:89], exec, s[88:89]
; %bb.3226:                             ;   in Loop: Header=BB6_2990 Depth=2
	v_or_b32_sdwa v21, v9, s65 dst_sel:DWORD dst_unused:UNUSED_PAD src0_sel:BYTE_3 src1_sel:DWORD
                                        ; implicit-def: $vgpr9
; %bb.3227:                             ;   in Loop: Header=BB6_2990 Depth=2
	s_andn2_saveexec_b64 s[88:89], s[88:89]
; %bb.3228:                             ;   in Loop: Header=BB6_2990 Depth=2
	v_cmp_lt_i32_e32 vcc, -1, v9
	v_mov_b32_e32 v3, 0x7c
	v_cndmask_b32_e32 v21, -4, v3, vcc
; %bb.3229:                             ;   in Loop: Header=BB6_2990 Depth=2
	s_or_b64 exec, exec, s[88:89]
.LBB6_3230:                             ;   in Loop: Header=BB6_2990 Depth=2
	s_or_b64 exec, exec, s[20:21]
	v_cmp_ne_u16_e32 vcc, 0, v19
	v_mov_b32_e32 v3, 0
	v_mov_b32_e32 v9, 0
	s_and_saveexec_b64 s[20:21], vcc
	s_cbranch_execz .LBB6_3238
; %bb.3231:                             ;   in Loop: Header=BB6_2990 Depth=2
	v_cmp_ne_u16_e32 vcc, s52, v19
	v_bfrev_b32_e32 v9, 1
	s_and_saveexec_b64 s[88:89], vcc
	s_cbranch_execz .LBB6_3237
; %bb.3232:                             ;   in Loop: Header=BB6_2990 Depth=2
	v_and_b32_e32 v9, 0x7c, v19
	v_and_b32_e32 v22, 3, v19
	v_cmp_ne_u32_e32 vcc, s53, v9
                                        ; implicit-def: $vgpr9
	s_and_saveexec_b64 s[90:91], vcc
	s_xor_b64 s[90:91], exec, s[90:91]
	s_cbranch_execz .LBB6_3234
; %bb.3233:                             ;   in Loop: Header=BB6_2990 Depth=2
	v_ffbh_u32_e32 v26, v22
	v_min_u32_e32 v30, 32, v26
	v_and_b32_e32 v9, 0xff, v19
	v_mov_b32_e32 v20, v28
	v_subrev_u32_e32 v26, 29, v30
	v_bfe_u32 v9, v9, 2, 5
	v_lshlrev_b64 v[26:27], v26, v[19:20]
	v_sub_u32_e32 v20, 30, v30
	v_cmp_eq_u32_e32 vcc, 0, v9
	v_and_b32_e32 v26, 3, v26
	v_cndmask_b32_e32 v9, v9, v20, vcc
	v_and_b32_sdwa v19, sext(v19), s54 dst_sel:DWORD dst_unused:UNUSED_PAD src0_sel:WORD_0 src1_sel:DWORD
	v_cndmask_b32_e32 v20, v22, v26, vcc
	v_lshl_add_u32 v9, v9, 23, v19
	v_lshl_or_b32 v9, v20, 21, v9
	v_add_u32_e32 v9, 0x38000000, v9
                                        ; implicit-def: $vgpr22
                                        ; implicit-def: $vgpr19
.LBB6_3234:                             ;   in Loop: Header=BB6_2990 Depth=2
	s_andn2_saveexec_b64 s[90:91], s[90:91]
; %bb.3235:                             ;   in Loop: Header=BB6_2990 Depth=2
	v_cmp_lt_i16_e32 vcc, -1, v19
	v_mov_b32_e32 v9, 0xff800000
	v_mov_b32_e32 v19, 0x7f800000
	v_cndmask_b32_e32 v9, v9, v19, vcc
	v_cmp_eq_u32_e32 vcc, 0, v22
	v_mov_b32_e32 v19, 0x7f800001
	v_cndmask_b32_e32 v9, v19, v9, vcc
; %bb.3236:                             ;   in Loop: Header=BB6_2990 Depth=2
	s_or_b64 exec, exec, s[90:91]
.LBB6_3237:                             ;   in Loop: Header=BB6_2990 Depth=2
	s_or_b64 exec, exec, s[88:89]
.LBB6_3238:                             ;   in Loop: Header=BB6_2990 Depth=2
	s_or_b64 exec, exec, s[20:21]
	v_cmp_ne_u16_e32 vcc, 0, v18
	s_and_saveexec_b64 s[20:21], vcc
	s_cbranch_execz .LBB6_3246
; %bb.3239:                             ;   in Loop: Header=BB6_2990 Depth=2
	v_cmp_ne_u16_e32 vcc, s52, v18
	v_bfrev_b32_e32 v3, 1
	s_and_saveexec_b64 s[88:89], vcc
	s_cbranch_execz .LBB6_3245
; %bb.3240:                             ;   in Loop: Header=BB6_2990 Depth=2
	v_and_b32_e32 v3, 0x7c, v18
	v_and_b32_e32 v20, 3, v18
	v_cmp_ne_u32_e32 vcc, s53, v3
                                        ; implicit-def: $vgpr3
	s_and_saveexec_b64 s[90:91], vcc
	s_xor_b64 s[90:91], exec, s[90:91]
	s_cbranch_execz .LBB6_3242
; %bb.3241:                             ;   in Loop: Header=BB6_2990 Depth=2
	v_ffbh_u32_e32 v22, v20
	v_min_u32_e32 v22, 32, v22
	v_and_b32_e32 v3, 0xff, v18
	v_mov_b32_e32 v19, v28
	v_subrev_u32_e32 v26, 29, v22
	v_bfe_u32 v3, v3, 2, 5
	v_lshlrev_b64 v[26:27], v26, v[18:19]
	v_sub_u32_e32 v19, 30, v22
	v_cmp_eq_u32_e32 vcc, 0, v3
	v_and_b32_e32 v22, 3, v26
	v_cndmask_b32_e32 v3, v3, v19, vcc
	v_and_b32_sdwa v18, sext(v18), s54 dst_sel:DWORD dst_unused:UNUSED_PAD src0_sel:WORD_0 src1_sel:DWORD
	v_cndmask_b32_e32 v19, v20, v22, vcc
	v_lshl_add_u32 v3, v3, 23, v18
	v_lshl_or_b32 v3, v19, 21, v3
	v_add_u32_e32 v3, 0x38000000, v3
                                        ; implicit-def: $vgpr20
                                        ; implicit-def: $vgpr18
.LBB6_3242:                             ;   in Loop: Header=BB6_2990 Depth=2
	s_andn2_saveexec_b64 s[90:91], s[90:91]
; %bb.3243:                             ;   in Loop: Header=BB6_2990 Depth=2
	v_cmp_lt_i16_e32 vcc, -1, v18
	v_mov_b32_e32 v3, 0xff800000
	v_mov_b32_e32 v18, 0x7f800000
	v_cndmask_b32_e32 v3, v3, v18, vcc
	v_cmp_eq_u32_e32 vcc, 0, v20
	v_mov_b32_e32 v18, 0x7f800001
	v_cndmask_b32_e32 v3, v18, v3, vcc
; %bb.3244:                             ;   in Loop: Header=BB6_2990 Depth=2
	s_or_b64 exec, exec, s[90:91]
.LBB6_3245:                             ;   in Loop: Header=BB6_2990 Depth=2
	s_or_b64 exec, exec, s[88:89]
.LBB6_3246:                             ;   in Loop: Header=BB6_2990 Depth=2
	s_or_b64 exec, exec, s[20:21]
	v_mul_f32_e32 v9, v9, v3
	v_and_b32_e32 v18, 0x7f800000, v9
	v_mov_b32_e32 v19, v28
	v_cmp_ne_u64_e32 vcc, s[60:61], v[18:19]
	v_and_b32_e32 v27, 0x7fffff, v9
                                        ; implicit-def: $vgpr19
	s_and_saveexec_b64 s[20:21], vcc
	s_xor_b64 s[88:89], exec, s[20:21]
	s_cbranch_execz .LBB6_3264
; %bb.3247:                             ;   in Loop: Header=BB6_2990 Depth=2
	v_and_b32_e32 v18, 0x7fffffff, v9
	v_mov_b32_e32 v19, v28
	v_cmp_gt_u64_e32 vcc, s[62:63], v[18:19]
	v_and_b32_sdwa v3, v9, s55 dst_sel:DWORD dst_unused:UNUSED_PAD src0_sel:BYTE_3 src1_sel:DWORD
                                        ; implicit-def: $vgpr19
	s_and_saveexec_b64 s[20:21], vcc
	s_xor_b64 s[90:91], exec, s[20:21]
	s_cbranch_execz .LBB6_3261
; %bb.3248:                             ;   in Loop: Header=BB6_2990 Depth=2
	v_cmp_ne_u32_e32 vcc, 0, v9
	v_mov_b32_e32 v19, 0
	s_and_saveexec_b64 s[92:93], vcc
	s_cbranch_execz .LBB6_3260
; %bb.3249:                             ;   in Loop: Header=BB6_2990 Depth=2
	v_bfe_u32 v9, v9, 23, 8
	v_cmp_gt_u32_e64 s[20:21], s64, v9
	v_sub_u32_e32 v18, 0x71, v9
	v_cmp_eq_u32_e32 vcc, 0, v9
	v_cndmask_b32_e64 v18, 0, v18, s[20:21]
	v_mov_b32_e32 v20, 0x70
	v_cndmask_b32_e32 v22, v18, v20, vcc
	v_or_b32_e32 v19, 0x800000, v27
	v_add_u32_e32 v20, 21, v22
	v_cndmask_b32_e32 v18, v19, v27, vcc
	v_lshlrev_b64 v[26:27], v20, -1
	v_mov_b32_e32 v19, v28
	v_add_u32_e32 v20, 20, v22
	v_bfi_b32 v26, v26, 0, v18
	v_lshlrev_b64 v[33:34], v20, 1
	v_lshrrev_b64 v[18:19], v22, v[18:19]
	v_bfi_b32 v27, v27, 0, 0
	v_cmp_eq_u64_e64 s[20:21], v[26:27], v[33:34]
	v_mov_b32_e32 v20, v19
	v_mov_b32_e32 v19, v18
	s_and_saveexec_b64 s[94:95], s[20:21]
; %bb.3250:                             ;   in Loop: Header=BB6_2990 Depth=2
	v_bfe_u32 v19, v18, 21, 1
	v_add_co_u32_e64 v19, s[20:21], v18, v19
	v_add_co_u32_e64 v19, s[20:21], -1, v19
; %bb.3251:                             ;   in Loop: Header=BB6_2990 Depth=2
	s_or_b64 exec, exec, s[94:95]
	v_add_u32_e32 v9, 0xffffff81, v9
	v_mov_b32_e32 v20, 0xffffff82
	v_cndmask_b32_e32 v9, v9, v20, vcc
	v_lshrrev_b32_e32 v20, 23, v18
	v_add3_u32 v22, v22, v9, v20
	v_add_u32_e32 v20, 14, v22
	v_and_b32_e32 v9, 0x1fffff, v19
	v_add_u32_e32 v27, v9, v18
	v_cmp_ne_u32_e32 vcc, 0, v20
                                        ; implicit-def: $vgpr18_vgpr19
                                        ; implicit-def: $vgpr9
	s_and_saveexec_b64 s[20:21], vcc
	s_xor_b64 s[20:21], exec, s[20:21]
; %bb.3252:                             ;   in Loop: Header=BB6_2990 Depth=2
	v_cmp_lt_u64_e32 vcc, s[72:73], v[27:28]
	v_add_u32_e32 v9, 15, v22
	v_cndmask_b32_e64 v18, 0, 1, vcc
	v_lshrrev_b64 v[18:19], v18, v[27:28]
	v_cndmask_b32_e32 v9, v20, v9, vcc
; %bb.3253:                             ;   in Loop: Header=BB6_2990 Depth=2
	s_andn2_saveexec_b64 s[20:21], s[20:21]
; %bb.3254:                             ;   in Loop: Header=BB6_2990 Depth=2
	v_mov_b32_e32 v18, v27
	v_mov_b32_e32 v19, v28
	v_bfe_u32 v9, v27, 23, 1
; %bb.3255:                             ;   in Loop: Header=BB6_2990 Depth=2
	s_or_b64 exec, exec, s[20:21]
	v_lshrrev_b64 v[18:19], 21, v[18:19]
	v_cmp_gt_i32_e32 vcc, 32, v9
	v_cndmask_b32_e32 v19, 0, v19, vcc
	v_cndmask_b32_e32 v18, 3, v18, vcc
	v_cmp_ne_u64_e32 vcc, 0, v[18:19]
	v_cmp_ne_u32_e64 s[20:21], 0, v9
	s_or_b64 s[20:21], s[20:21], vcc
                                        ; implicit-def: $vgpr19
	s_and_saveexec_b64 s[94:95], s[20:21]
	s_xor_b64 s[20:21], exec, s[94:95]
; %bb.3256:                             ;   in Loop: Header=BB6_2990 Depth=2
	v_min_i32_e32 v9, 31, v9
	v_lshl_or_b32 v3, v9, 2, v3
	v_and_or_b32 v19, v18, 3, v3
                                        ; implicit-def: $vgpr3
; %bb.3257:                             ;   in Loop: Header=BB6_2990 Depth=2
	s_andn2_saveexec_b64 s[20:21], s[20:21]
; %bb.3258:                             ;   in Loop: Header=BB6_2990 Depth=2
	v_mov_b32_e32 v19, v3
; %bb.3259:                             ;   in Loop: Header=BB6_2990 Depth=2
	s_or_b64 exec, exec, s[20:21]
.LBB6_3260:                             ;   in Loop: Header=BB6_2990 Depth=2
	s_or_b64 exec, exec, s[92:93]
                                        ; implicit-def: $vgpr3
.LBB6_3261:                             ;   in Loop: Header=BB6_2990 Depth=2
	s_andn2_saveexec_b64 s[20:21], s[90:91]
; %bb.3262:                             ;   in Loop: Header=BB6_2990 Depth=2
	v_or_b32_e32 v19, 0x7b, v3
; %bb.3263:                             ;   in Loop: Header=BB6_2990 Depth=2
	s_or_b64 exec, exec, s[20:21]
                                        ; implicit-def: $vgpr9
.LBB6_3264:                             ;   in Loop: Header=BB6_2990 Depth=2
	s_andn2_saveexec_b64 s[20:21], s[88:89]
	s_cbranch_execz .LBB6_3270
; %bb.3265:                             ;   in Loop: Header=BB6_2990 Depth=2
	v_cmp_ne_u64_e32 vcc, 0, v[27:28]
                                        ; implicit-def: $vgpr19
	s_and_saveexec_b64 s[88:89], vcc
	s_xor_b64 s[88:89], exec, s[88:89]
; %bb.3266:                             ;   in Loop: Header=BB6_2990 Depth=2
	v_or_b32_sdwa v19, v9, s65 dst_sel:DWORD dst_unused:UNUSED_PAD src0_sel:BYTE_3 src1_sel:DWORD
                                        ; implicit-def: $vgpr9
; %bb.3267:                             ;   in Loop: Header=BB6_2990 Depth=2
	s_andn2_saveexec_b64 s[88:89], s[88:89]
; %bb.3268:                             ;   in Loop: Header=BB6_2990 Depth=2
	v_cmp_lt_i32_e32 vcc, -1, v9
	v_mov_b32_e32 v3, 0x7c
	v_cndmask_b32_e32 v19, -4, v3, vcc
; %bb.3269:                             ;   in Loop: Header=BB6_2990 Depth=2
	s_or_b64 exec, exec, s[88:89]
.LBB6_3270:                             ;   in Loop: Header=BB6_2990 Depth=2
	s_or_b64 exec, exec, s[20:21]
	v_cmp_ne_u16_e32 vcc, 0, v17
	v_mov_b32_e32 v3, 0
	v_mov_b32_e32 v9, 0
	s_and_saveexec_b64 s[20:21], vcc
	s_cbranch_execz .LBB6_3278
; %bb.3271:                             ;   in Loop: Header=BB6_2990 Depth=2
	v_cmp_ne_u16_e32 vcc, s52, v17
	v_bfrev_b32_e32 v9, 1
	s_and_saveexec_b64 s[88:89], vcc
	s_cbranch_execz .LBB6_3277
; %bb.3272:                             ;   in Loop: Header=BB6_2990 Depth=2
	v_and_b32_e32 v9, 0x7c, v17
	v_and_b32_e32 v20, 3, v17
	v_cmp_ne_u32_e32 vcc, s53, v9
                                        ; implicit-def: $vgpr9
	s_and_saveexec_b64 s[90:91], vcc
	s_xor_b64 s[90:91], exec, s[90:91]
	s_cbranch_execz .LBB6_3274
; %bb.3273:                             ;   in Loop: Header=BB6_2990 Depth=2
	v_ffbh_u32_e32 v22, v20
	v_min_u32_e32 v22, 32, v22
	v_and_b32_e32 v9, 0xff, v17
	v_mov_b32_e32 v18, v28
	v_subrev_u32_e32 v26, 29, v22
	v_bfe_u32 v9, v9, 2, 5
	v_lshlrev_b64 v[26:27], v26, v[17:18]
	v_sub_u32_e32 v18, 30, v22
	v_cmp_eq_u32_e32 vcc, 0, v9
	v_and_b32_e32 v22, 3, v26
	v_cndmask_b32_e32 v9, v9, v18, vcc
	v_and_b32_sdwa v17, sext(v17), s54 dst_sel:DWORD dst_unused:UNUSED_PAD src0_sel:WORD_0 src1_sel:DWORD
	v_cndmask_b32_e32 v18, v20, v22, vcc
	v_lshl_add_u32 v9, v9, 23, v17
	v_lshl_or_b32 v9, v18, 21, v9
	v_add_u32_e32 v9, 0x38000000, v9
                                        ; implicit-def: $vgpr20
                                        ; implicit-def: $vgpr17
.LBB6_3274:                             ;   in Loop: Header=BB6_2990 Depth=2
	s_andn2_saveexec_b64 s[90:91], s[90:91]
; %bb.3275:                             ;   in Loop: Header=BB6_2990 Depth=2
	v_cmp_lt_i16_e32 vcc, -1, v17
	v_mov_b32_e32 v9, 0xff800000
	v_mov_b32_e32 v17, 0x7f800000
	v_cndmask_b32_e32 v9, v9, v17, vcc
	v_cmp_eq_u32_e32 vcc, 0, v20
	v_mov_b32_e32 v17, 0x7f800001
	v_cndmask_b32_e32 v9, v17, v9, vcc
; %bb.3276:                             ;   in Loop: Header=BB6_2990 Depth=2
	s_or_b64 exec, exec, s[90:91]
.LBB6_3277:                             ;   in Loop: Header=BB6_2990 Depth=2
	s_or_b64 exec, exec, s[88:89]
.LBB6_3278:                             ;   in Loop: Header=BB6_2990 Depth=2
	s_or_b64 exec, exec, s[20:21]
	v_cmp_ne_u16_e32 vcc, 0, v16
	s_and_saveexec_b64 s[20:21], vcc
	s_cbranch_execz .LBB6_3286
; %bb.3279:                             ;   in Loop: Header=BB6_2990 Depth=2
	v_cmp_ne_u16_e32 vcc, s52, v16
	v_bfrev_b32_e32 v3, 1
	s_and_saveexec_b64 s[88:89], vcc
	s_cbranch_execz .LBB6_3285
; %bb.3280:                             ;   in Loop: Header=BB6_2990 Depth=2
	v_and_b32_e32 v3, 0x7c, v16
	v_and_b32_e32 v18, 3, v16
	v_cmp_ne_u32_e32 vcc, s53, v3
                                        ; implicit-def: $vgpr3
	s_and_saveexec_b64 s[90:91], vcc
	s_xor_b64 s[90:91], exec, s[90:91]
	s_cbranch_execz .LBB6_3282
; %bb.3281:                             ;   in Loop: Header=BB6_2990 Depth=2
	v_ffbh_u32_e32 v20, v18
	v_min_u32_e32 v20, 32, v20
	v_and_b32_e32 v3, 0xff, v16
	v_mov_b32_e32 v17, v28
	v_subrev_u32_e32 v22, 29, v20
	v_bfe_u32 v3, v3, 2, 5
	v_lshlrev_b64 v[26:27], v22, v[16:17]
	v_sub_u32_e32 v17, 30, v20
	v_cmp_eq_u32_e32 vcc, 0, v3
	v_and_b32_e32 v20, 3, v26
	v_cndmask_b32_e32 v3, v3, v17, vcc
	v_and_b32_sdwa v16, sext(v16), s54 dst_sel:DWORD dst_unused:UNUSED_PAD src0_sel:WORD_0 src1_sel:DWORD
	v_cndmask_b32_e32 v17, v18, v20, vcc
	v_lshl_add_u32 v3, v3, 23, v16
	v_lshl_or_b32 v3, v17, 21, v3
	v_add_u32_e32 v3, 0x38000000, v3
                                        ; implicit-def: $vgpr18
                                        ; implicit-def: $vgpr16
.LBB6_3282:                             ;   in Loop: Header=BB6_2990 Depth=2
	s_andn2_saveexec_b64 s[90:91], s[90:91]
; %bb.3283:                             ;   in Loop: Header=BB6_2990 Depth=2
	v_cmp_lt_i16_e32 vcc, -1, v16
	v_mov_b32_e32 v3, 0xff800000
	v_mov_b32_e32 v16, 0x7f800000
	v_cndmask_b32_e32 v3, v3, v16, vcc
	v_cmp_eq_u32_e32 vcc, 0, v18
	v_mov_b32_e32 v16, 0x7f800001
	v_cndmask_b32_e32 v3, v16, v3, vcc
; %bb.3284:                             ;   in Loop: Header=BB6_2990 Depth=2
	s_or_b64 exec, exec, s[90:91]
.LBB6_3285:                             ;   in Loop: Header=BB6_2990 Depth=2
	s_or_b64 exec, exec, s[88:89]
.LBB6_3286:                             ;   in Loop: Header=BB6_2990 Depth=2
	s_or_b64 exec, exec, s[20:21]
	v_mul_f32_e32 v9, v9, v3
	v_and_b32_e32 v16, 0x7f800000, v9
	v_mov_b32_e32 v17, v28
	v_cmp_ne_u64_e32 vcc, s[60:61], v[16:17]
	v_and_b32_e32 v27, 0x7fffff, v9
                                        ; implicit-def: $vgpr17
	s_and_saveexec_b64 s[20:21], vcc
	s_xor_b64 s[88:89], exec, s[20:21]
	s_cbranch_execz .LBB6_3304
; %bb.3287:                             ;   in Loop: Header=BB6_2990 Depth=2
	v_and_b32_e32 v16, 0x7fffffff, v9
	v_mov_b32_e32 v17, v28
	v_cmp_gt_u64_e32 vcc, s[62:63], v[16:17]
	v_and_b32_sdwa v3, v9, s55 dst_sel:DWORD dst_unused:UNUSED_PAD src0_sel:BYTE_3 src1_sel:DWORD
                                        ; implicit-def: $vgpr17
	s_and_saveexec_b64 s[20:21], vcc
	s_xor_b64 s[90:91], exec, s[20:21]
	s_cbranch_execz .LBB6_3301
; %bb.3288:                             ;   in Loop: Header=BB6_2990 Depth=2
	v_cmp_ne_u32_e32 vcc, 0, v9
	v_mov_b32_e32 v17, 0
	s_and_saveexec_b64 s[92:93], vcc
	s_cbranch_execz .LBB6_3300
; %bb.3289:                             ;   in Loop: Header=BB6_2990 Depth=2
	v_bfe_u32 v9, v9, 23, 8
	v_cmp_gt_u32_e64 s[20:21], s64, v9
	v_sub_u32_e32 v16, 0x71, v9
	v_cmp_eq_u32_e32 vcc, 0, v9
	v_cndmask_b32_e64 v16, 0, v16, s[20:21]
	v_mov_b32_e32 v18, 0x70
	v_cndmask_b32_e32 v20, v16, v18, vcc
	v_or_b32_e32 v17, 0x800000, v27
	v_add_u32_e32 v18, 21, v20
	v_cndmask_b32_e32 v16, v17, v27, vcc
	v_lshlrev_b64 v[26:27], v18, -1
	v_mov_b32_e32 v17, v28
	v_add_u32_e32 v18, 20, v20
	v_bfi_b32 v26, v26, 0, v16
	v_lshlrev_b64 v[33:34], v18, 1
	v_lshrrev_b64 v[16:17], v20, v[16:17]
	v_bfi_b32 v27, v27, 0, 0
	v_cmp_eq_u64_e64 s[20:21], v[26:27], v[33:34]
	v_mov_b32_e32 v18, v17
	v_mov_b32_e32 v17, v16
	s_and_saveexec_b64 s[94:95], s[20:21]
; %bb.3290:                             ;   in Loop: Header=BB6_2990 Depth=2
	v_bfe_u32 v17, v16, 21, 1
	v_add_co_u32_e64 v17, s[20:21], v16, v17
	v_add_co_u32_e64 v17, s[20:21], -1, v17
; %bb.3291:                             ;   in Loop: Header=BB6_2990 Depth=2
	s_or_b64 exec, exec, s[94:95]
	v_add_u32_e32 v9, 0xffffff81, v9
	v_mov_b32_e32 v18, 0xffffff82
	v_cndmask_b32_e32 v9, v9, v18, vcc
	v_lshrrev_b32_e32 v18, 23, v16
	v_add3_u32 v20, v20, v9, v18
	v_add_u32_e32 v18, 14, v20
	v_and_b32_e32 v9, 0x1fffff, v17
	v_add_u32_e32 v27, v9, v16
	v_cmp_ne_u32_e32 vcc, 0, v18
                                        ; implicit-def: $vgpr16_vgpr17
                                        ; implicit-def: $vgpr9
	s_and_saveexec_b64 s[20:21], vcc
	s_xor_b64 s[20:21], exec, s[20:21]
; %bb.3292:                             ;   in Loop: Header=BB6_2990 Depth=2
	v_cmp_lt_u64_e32 vcc, s[72:73], v[27:28]
	v_add_u32_e32 v9, 15, v20
	v_cndmask_b32_e64 v16, 0, 1, vcc
	v_lshrrev_b64 v[16:17], v16, v[27:28]
	v_cndmask_b32_e32 v9, v18, v9, vcc
; %bb.3293:                             ;   in Loop: Header=BB6_2990 Depth=2
	s_andn2_saveexec_b64 s[20:21], s[20:21]
; %bb.3294:                             ;   in Loop: Header=BB6_2990 Depth=2
	v_mov_b32_e32 v16, v27
	v_mov_b32_e32 v17, v28
	v_bfe_u32 v9, v27, 23, 1
; %bb.3295:                             ;   in Loop: Header=BB6_2990 Depth=2
	s_or_b64 exec, exec, s[20:21]
	v_lshrrev_b64 v[16:17], 21, v[16:17]
	v_cmp_gt_i32_e32 vcc, 32, v9
	v_cndmask_b32_e32 v17, 0, v17, vcc
	v_cndmask_b32_e32 v16, 3, v16, vcc
	v_cmp_ne_u64_e32 vcc, 0, v[16:17]
	v_cmp_ne_u32_e64 s[20:21], 0, v9
	s_or_b64 s[20:21], s[20:21], vcc
                                        ; implicit-def: $vgpr17
	s_and_saveexec_b64 s[94:95], s[20:21]
	s_xor_b64 s[20:21], exec, s[94:95]
; %bb.3296:                             ;   in Loop: Header=BB6_2990 Depth=2
	v_min_i32_e32 v9, 31, v9
	v_lshl_or_b32 v3, v9, 2, v3
	v_and_or_b32 v17, v16, 3, v3
                                        ; implicit-def: $vgpr3
; %bb.3297:                             ;   in Loop: Header=BB6_2990 Depth=2
	s_andn2_saveexec_b64 s[20:21], s[20:21]
; %bb.3298:                             ;   in Loop: Header=BB6_2990 Depth=2
	v_mov_b32_e32 v17, v3
; %bb.3299:                             ;   in Loop: Header=BB6_2990 Depth=2
	s_or_b64 exec, exec, s[20:21]
.LBB6_3300:                             ;   in Loop: Header=BB6_2990 Depth=2
	s_or_b64 exec, exec, s[92:93]
                                        ; implicit-def: $vgpr3
.LBB6_3301:                             ;   in Loop: Header=BB6_2990 Depth=2
	s_andn2_saveexec_b64 s[20:21], s[90:91]
; %bb.3302:                             ;   in Loop: Header=BB6_2990 Depth=2
	v_or_b32_e32 v17, 0x7b, v3
; %bb.3303:                             ;   in Loop: Header=BB6_2990 Depth=2
	s_or_b64 exec, exec, s[20:21]
                                        ; implicit-def: $vgpr9
.LBB6_3304:                             ;   in Loop: Header=BB6_2990 Depth=2
	s_andn2_saveexec_b64 s[20:21], s[88:89]
	s_cbranch_execz .LBB6_3310
; %bb.3305:                             ;   in Loop: Header=BB6_2990 Depth=2
	v_cmp_ne_u64_e32 vcc, 0, v[27:28]
                                        ; implicit-def: $vgpr17
	s_and_saveexec_b64 s[88:89], vcc
	s_xor_b64 s[88:89], exec, s[88:89]
; %bb.3306:                             ;   in Loop: Header=BB6_2990 Depth=2
	v_or_b32_sdwa v17, v9, s65 dst_sel:DWORD dst_unused:UNUSED_PAD src0_sel:BYTE_3 src1_sel:DWORD
                                        ; implicit-def: $vgpr9
; %bb.3307:                             ;   in Loop: Header=BB6_2990 Depth=2
	s_andn2_saveexec_b64 s[88:89], s[88:89]
; %bb.3308:                             ;   in Loop: Header=BB6_2990 Depth=2
	v_cmp_lt_i32_e32 vcc, -1, v9
	v_mov_b32_e32 v3, 0x7c
	v_cndmask_b32_e32 v17, -4, v3, vcc
; %bb.3309:                             ;   in Loop: Header=BB6_2990 Depth=2
	s_or_b64 exec, exec, s[88:89]
.LBB6_3310:                             ;   in Loop: Header=BB6_2990 Depth=2
	s_or_b64 exec, exec, s[20:21]
	v_cmp_ne_u16_e32 vcc, 0, v15
	v_mov_b32_e32 v3, 0
	v_mov_b32_e32 v9, 0
	s_and_saveexec_b64 s[20:21], vcc
	s_cbranch_execz .LBB6_3318
; %bb.3311:                             ;   in Loop: Header=BB6_2990 Depth=2
	v_cmp_ne_u16_e32 vcc, s52, v15
	v_bfrev_b32_e32 v9, 1
	s_and_saveexec_b64 s[88:89], vcc
	s_cbranch_execz .LBB6_3317
; %bb.3312:                             ;   in Loop: Header=BB6_2990 Depth=2
	v_and_b32_e32 v9, 0x7c, v15
	v_and_b32_e32 v18, 3, v15
	v_cmp_ne_u32_e32 vcc, s53, v9
                                        ; implicit-def: $vgpr9
	s_and_saveexec_b64 s[90:91], vcc
	s_xor_b64 s[90:91], exec, s[90:91]
	s_cbranch_execz .LBB6_3314
; %bb.3313:                             ;   in Loop: Header=BB6_2990 Depth=2
	v_ffbh_u32_e32 v20, v18
	v_min_u32_e32 v20, 32, v20
	v_and_b32_e32 v9, 0xff, v15
	v_mov_b32_e32 v16, v28
	v_subrev_u32_e32 v22, 29, v20
	v_bfe_u32 v9, v9, 2, 5
	v_lshlrev_b64 v[26:27], v22, v[15:16]
	v_sub_u32_e32 v16, 30, v20
	v_cmp_eq_u32_e32 vcc, 0, v9
	v_and_b32_e32 v20, 3, v26
	v_cndmask_b32_e32 v9, v9, v16, vcc
	v_and_b32_sdwa v15, sext(v15), s54 dst_sel:DWORD dst_unused:UNUSED_PAD src0_sel:WORD_0 src1_sel:DWORD
	v_cndmask_b32_e32 v16, v18, v20, vcc
	v_lshl_add_u32 v9, v9, 23, v15
	v_lshl_or_b32 v9, v16, 21, v9
	v_add_u32_e32 v9, 0x38000000, v9
                                        ; implicit-def: $vgpr18
                                        ; implicit-def: $vgpr15
.LBB6_3314:                             ;   in Loop: Header=BB6_2990 Depth=2
	s_andn2_saveexec_b64 s[90:91], s[90:91]
; %bb.3315:                             ;   in Loop: Header=BB6_2990 Depth=2
	v_cmp_lt_i16_e32 vcc, -1, v15
	v_mov_b32_e32 v9, 0xff800000
	v_mov_b32_e32 v15, 0x7f800000
	v_cndmask_b32_e32 v9, v9, v15, vcc
	v_cmp_eq_u32_e32 vcc, 0, v18
	v_mov_b32_e32 v15, 0x7f800001
	v_cndmask_b32_e32 v9, v15, v9, vcc
; %bb.3316:                             ;   in Loop: Header=BB6_2990 Depth=2
	s_or_b64 exec, exec, s[90:91]
.LBB6_3317:                             ;   in Loop: Header=BB6_2990 Depth=2
	s_or_b64 exec, exec, s[88:89]
.LBB6_3318:                             ;   in Loop: Header=BB6_2990 Depth=2
	s_or_b64 exec, exec, s[20:21]
	v_cmp_ne_u16_e32 vcc, 0, v14
	s_and_saveexec_b64 s[20:21], vcc
	s_cbranch_execz .LBB6_3326
; %bb.3319:                             ;   in Loop: Header=BB6_2990 Depth=2
	v_cmp_ne_u16_e32 vcc, s52, v14
	v_bfrev_b32_e32 v3, 1
	s_and_saveexec_b64 s[88:89], vcc
	s_cbranch_execz .LBB6_3325
; %bb.3320:                             ;   in Loop: Header=BB6_2990 Depth=2
	v_and_b32_e32 v3, 0x7c, v14
	v_and_b32_e32 v16, 3, v14
	v_cmp_ne_u32_e32 vcc, s53, v3
                                        ; implicit-def: $vgpr3
	s_and_saveexec_b64 s[90:91], vcc
	s_xor_b64 s[90:91], exec, s[90:91]
	s_cbranch_execz .LBB6_3322
; %bb.3321:                             ;   in Loop: Header=BB6_2990 Depth=2
	v_ffbh_u32_e32 v18, v16
	v_min_u32_e32 v18, 32, v18
	v_and_b32_e32 v3, 0xff, v14
	v_mov_b32_e32 v15, v28
	v_subrev_u32_e32 v20, 29, v18
	v_bfe_u32 v3, v3, 2, 5
	v_lshlrev_b64 v[26:27], v20, v[14:15]
	v_sub_u32_e32 v15, 30, v18
	v_cmp_eq_u32_e32 vcc, 0, v3
	v_and_b32_e32 v18, 3, v26
	v_cndmask_b32_e32 v3, v3, v15, vcc
	v_and_b32_sdwa v14, sext(v14), s54 dst_sel:DWORD dst_unused:UNUSED_PAD src0_sel:WORD_0 src1_sel:DWORD
	v_cndmask_b32_e32 v15, v16, v18, vcc
	v_lshl_add_u32 v3, v3, 23, v14
	v_lshl_or_b32 v3, v15, 21, v3
	v_add_u32_e32 v3, 0x38000000, v3
                                        ; implicit-def: $vgpr16
                                        ; implicit-def: $vgpr14
.LBB6_3322:                             ;   in Loop: Header=BB6_2990 Depth=2
	s_andn2_saveexec_b64 s[90:91], s[90:91]
; %bb.3323:                             ;   in Loop: Header=BB6_2990 Depth=2
	v_cmp_lt_i16_e32 vcc, -1, v14
	v_mov_b32_e32 v3, 0xff800000
	v_mov_b32_e32 v14, 0x7f800000
	v_cndmask_b32_e32 v3, v3, v14, vcc
	v_cmp_eq_u32_e32 vcc, 0, v16
	v_mov_b32_e32 v14, 0x7f800001
	v_cndmask_b32_e32 v3, v14, v3, vcc
; %bb.3324:                             ;   in Loop: Header=BB6_2990 Depth=2
	s_or_b64 exec, exec, s[90:91]
.LBB6_3325:                             ;   in Loop: Header=BB6_2990 Depth=2
	s_or_b64 exec, exec, s[88:89]
.LBB6_3326:                             ;   in Loop: Header=BB6_2990 Depth=2
	s_or_b64 exec, exec, s[20:21]
	v_mul_f32_e32 v9, v9, v3
	v_and_b32_e32 v14, 0x7f800000, v9
	v_mov_b32_e32 v15, v28
	v_cmp_ne_u64_e32 vcc, s[60:61], v[14:15]
	v_and_b32_e32 v27, 0x7fffff, v9
                                        ; implicit-def: $vgpr18
	s_and_saveexec_b64 s[20:21], vcc
	s_xor_b64 s[88:89], exec, s[20:21]
	s_cbranch_execz .LBB6_3344
; %bb.3327:                             ;   in Loop: Header=BB6_2990 Depth=2
	v_and_b32_e32 v14, 0x7fffffff, v9
	v_mov_b32_e32 v15, v28
	v_cmp_gt_u64_e32 vcc, s[62:63], v[14:15]
	v_and_b32_sdwa v3, v9, s55 dst_sel:DWORD dst_unused:UNUSED_PAD src0_sel:BYTE_3 src1_sel:DWORD
                                        ; implicit-def: $vgpr18
	s_and_saveexec_b64 s[20:21], vcc
	s_xor_b64 s[90:91], exec, s[20:21]
	s_cbranch_execz .LBB6_3341
; %bb.3328:                             ;   in Loop: Header=BB6_2990 Depth=2
	v_cmp_ne_u32_e32 vcc, 0, v9
	v_mov_b32_e32 v18, 0
	s_and_saveexec_b64 s[92:93], vcc
	s_cbranch_execz .LBB6_3340
; %bb.3329:                             ;   in Loop: Header=BB6_2990 Depth=2
	v_bfe_u32 v9, v9, 23, 8
	v_cmp_gt_u32_e64 s[20:21], s64, v9
	v_sub_u32_e32 v14, 0x71, v9
	v_cmp_eq_u32_e32 vcc, 0, v9
	v_cndmask_b32_e64 v14, 0, v14, s[20:21]
	v_mov_b32_e32 v16, 0x70
	v_cndmask_b32_e32 v18, v14, v16, vcc
	v_or_b32_e32 v15, 0x800000, v27
	v_add_u32_e32 v16, 21, v18
	v_cndmask_b32_e32 v14, v15, v27, vcc
	v_lshlrev_b64 v[26:27], v16, -1
	v_mov_b32_e32 v15, v28
	v_add_u32_e32 v16, 20, v18
	v_bfi_b32 v26, v26, 0, v14
	v_lshlrev_b64 v[33:34], v16, 1
	v_lshrrev_b64 v[14:15], v18, v[14:15]
	v_bfi_b32 v27, v27, 0, 0
	v_cmp_eq_u64_e64 s[20:21], v[26:27], v[33:34]
	v_mov_b32_e32 v16, v15
	v_mov_b32_e32 v15, v14
	s_and_saveexec_b64 s[94:95], s[20:21]
; %bb.3330:                             ;   in Loop: Header=BB6_2990 Depth=2
	v_bfe_u32 v15, v14, 21, 1
	v_add_co_u32_e64 v15, s[20:21], v14, v15
	v_add_co_u32_e64 v15, s[20:21], -1, v15
; %bb.3331:                             ;   in Loop: Header=BB6_2990 Depth=2
	s_or_b64 exec, exec, s[94:95]
	v_add_u32_e32 v9, 0xffffff81, v9
	v_mov_b32_e32 v16, 0xffffff82
	v_cndmask_b32_e32 v9, v9, v16, vcc
	v_lshrrev_b32_e32 v16, 23, v14
	v_add3_u32 v18, v18, v9, v16
	v_add_u32_e32 v16, 14, v18
	v_and_b32_e32 v9, 0x1fffff, v15
	v_add_u32_e32 v27, v9, v14
	v_cmp_ne_u32_e32 vcc, 0, v16
                                        ; implicit-def: $vgpr14_vgpr15
                                        ; implicit-def: $vgpr9
	s_and_saveexec_b64 s[20:21], vcc
	s_xor_b64 s[20:21], exec, s[20:21]
; %bb.3332:                             ;   in Loop: Header=BB6_2990 Depth=2
	v_cmp_lt_u64_e32 vcc, s[72:73], v[27:28]
	v_add_u32_e32 v9, 15, v18
	v_cndmask_b32_e64 v14, 0, 1, vcc
	v_lshrrev_b64 v[14:15], v14, v[27:28]
	v_cndmask_b32_e32 v9, v16, v9, vcc
; %bb.3333:                             ;   in Loop: Header=BB6_2990 Depth=2
	s_andn2_saveexec_b64 s[20:21], s[20:21]
; %bb.3334:                             ;   in Loop: Header=BB6_2990 Depth=2
	v_mov_b32_e32 v14, v27
	v_mov_b32_e32 v15, v28
	v_bfe_u32 v9, v27, 23, 1
; %bb.3335:                             ;   in Loop: Header=BB6_2990 Depth=2
	s_or_b64 exec, exec, s[20:21]
	v_lshrrev_b64 v[14:15], 21, v[14:15]
	v_cmp_gt_i32_e32 vcc, 32, v9
	v_cndmask_b32_e32 v15, 0, v15, vcc
	v_cndmask_b32_e32 v14, 3, v14, vcc
	v_cmp_ne_u64_e32 vcc, 0, v[14:15]
	v_cmp_ne_u32_e64 s[20:21], 0, v9
	s_or_b64 s[20:21], s[20:21], vcc
                                        ; implicit-def: $vgpr18
	s_and_saveexec_b64 s[94:95], s[20:21]
	s_xor_b64 s[20:21], exec, s[94:95]
; %bb.3336:                             ;   in Loop: Header=BB6_2990 Depth=2
	v_min_i32_e32 v9, 31, v9
	v_lshl_or_b32 v3, v9, 2, v3
	v_and_or_b32 v18, v14, 3, v3
                                        ; implicit-def: $vgpr3
; %bb.3337:                             ;   in Loop: Header=BB6_2990 Depth=2
	s_andn2_saveexec_b64 s[20:21], s[20:21]
; %bb.3338:                             ;   in Loop: Header=BB6_2990 Depth=2
	v_mov_b32_e32 v18, v3
; %bb.3339:                             ;   in Loop: Header=BB6_2990 Depth=2
	s_or_b64 exec, exec, s[20:21]
.LBB6_3340:                             ;   in Loop: Header=BB6_2990 Depth=2
	s_or_b64 exec, exec, s[92:93]
                                        ; implicit-def: $vgpr3
.LBB6_3341:                             ;   in Loop: Header=BB6_2990 Depth=2
	s_andn2_saveexec_b64 s[20:21], s[90:91]
; %bb.3342:                             ;   in Loop: Header=BB6_2990 Depth=2
	v_or_b32_e32 v18, 0x7b, v3
; %bb.3343:                             ;   in Loop: Header=BB6_2990 Depth=2
	s_or_b64 exec, exec, s[20:21]
                                        ; implicit-def: $vgpr9
.LBB6_3344:                             ;   in Loop: Header=BB6_2990 Depth=2
	s_andn2_saveexec_b64 s[20:21], s[88:89]
	s_cbranch_execz .LBB6_3350
; %bb.3345:                             ;   in Loop: Header=BB6_2990 Depth=2
	v_cmp_ne_u64_e32 vcc, 0, v[27:28]
                                        ; implicit-def: $vgpr18
	s_and_saveexec_b64 s[88:89], vcc
	s_xor_b64 s[88:89], exec, s[88:89]
; %bb.3346:                             ;   in Loop: Header=BB6_2990 Depth=2
	v_or_b32_sdwa v18, v9, s65 dst_sel:DWORD dst_unused:UNUSED_PAD src0_sel:BYTE_3 src1_sel:DWORD
                                        ; implicit-def: $vgpr9
; %bb.3347:                             ;   in Loop: Header=BB6_2990 Depth=2
	s_andn2_saveexec_b64 s[88:89], s[88:89]
; %bb.3348:                             ;   in Loop: Header=BB6_2990 Depth=2
	v_cmp_lt_i32_e32 vcc, -1, v9
	v_mov_b32_e32 v3, 0x7c
	v_cndmask_b32_e32 v18, -4, v3, vcc
; %bb.3349:                             ;   in Loop: Header=BB6_2990 Depth=2
	s_or_b64 exec, exec, s[88:89]
.LBB6_3350:                             ;   in Loop: Header=BB6_2990 Depth=2
	s_or_b64 exec, exec, s[20:21]
	v_cmp_ne_u16_e32 vcc, 0, v40
	v_mov_b32_e32 v3, 0
	v_mov_b32_e32 v9, 0
	s_and_saveexec_b64 s[20:21], vcc
	s_cbranch_execz .LBB6_3358
; %bb.3351:                             ;   in Loop: Header=BB6_2990 Depth=2
	v_cmp_ne_u16_e32 vcc, s52, v40
	v_bfrev_b32_e32 v9, 1
	s_and_saveexec_b64 s[88:89], vcc
	s_cbranch_execz .LBB6_3357
; %bb.3352:                             ;   in Loop: Header=BB6_2990 Depth=2
	v_and_b32_e32 v9, 0x7c, v40
	v_and_b32_e32 v14, 3, v40
	v_cmp_ne_u32_e32 vcc, s53, v9
                                        ; implicit-def: $vgpr9
	s_and_saveexec_b64 s[90:91], vcc
	s_xor_b64 s[90:91], exec, s[90:91]
	s_cbranch_execz .LBB6_3354
; %bb.3353:                             ;   in Loop: Header=BB6_2990 Depth=2
	v_ffbh_u32_e32 v15, v14
	v_min_u32_e32 v20, 32, v15
	v_mov_b32_e32 v41, v28
	v_subrev_u32_e32 v15, 29, v20
	v_and_b32_e32 v9, 0xff, v40
	v_lshlrev_b64 v[15:16], v15, v[40:41]
	v_bfe_u32 v9, v9, 2, 5
	v_sub_u32_e32 v16, 30, v20
	v_and_b32_e32 v15, 3, v15
	v_cmp_eq_u32_e32 vcc, 0, v9
	v_cndmask_b32_e32 v9, v9, v16, vcc
	v_cndmask_b32_e32 v14, v14, v15, vcc
	v_and_b32_sdwa v15, sext(v40), s54 dst_sel:DWORD dst_unused:UNUSED_PAD src0_sel:WORD_0 src1_sel:DWORD
	v_lshl_add_u32 v9, v9, 23, v15
	v_lshl_or_b32 v9, v14, 21, v9
	v_add_u32_e32 v9, 0x38000000, v9
                                        ; implicit-def: $vgpr14
                                        ; implicit-def: $vgpr40
.LBB6_3354:                             ;   in Loop: Header=BB6_2990 Depth=2
	s_andn2_saveexec_b64 s[90:91], s[90:91]
; %bb.3355:                             ;   in Loop: Header=BB6_2990 Depth=2
	v_cmp_lt_i16_e32 vcc, -1, v40
	v_mov_b32_e32 v9, 0xff800000
	v_mov_b32_e32 v15, 0x7f800000
	v_cndmask_b32_e32 v9, v9, v15, vcc
	v_cmp_eq_u32_e32 vcc, 0, v14
	v_mov_b32_e32 v14, 0x7f800001
	v_cndmask_b32_e32 v9, v14, v9, vcc
; %bb.3356:                             ;   in Loop: Header=BB6_2990 Depth=2
	s_or_b64 exec, exec, s[90:91]
.LBB6_3357:                             ;   in Loop: Header=BB6_2990 Depth=2
	s_or_b64 exec, exec, s[88:89]
.LBB6_3358:                             ;   in Loop: Header=BB6_2990 Depth=2
	s_or_b64 exec, exec, s[20:21]
	v_cmp_ne_u16_e32 vcc, 0, v39
	s_and_saveexec_b64 s[20:21], vcc
	s_cbranch_execz .LBB6_3366
; %bb.3359:                             ;   in Loop: Header=BB6_2990 Depth=2
	v_cmp_ne_u16_e32 vcc, s52, v39
	v_bfrev_b32_e32 v3, 1
	s_and_saveexec_b64 s[88:89], vcc
	s_cbranch_execz .LBB6_3365
; %bb.3360:                             ;   in Loop: Header=BB6_2990 Depth=2
	v_and_b32_e32 v3, 0x7c, v39
	v_and_b32_e32 v14, 3, v39
	v_cmp_ne_u32_e32 vcc, s53, v3
                                        ; implicit-def: $vgpr3
	s_and_saveexec_b64 s[90:91], vcc
	s_xor_b64 s[90:91], exec, s[90:91]
	s_cbranch_execz .LBB6_3362
; %bb.3361:                             ;   in Loop: Header=BB6_2990 Depth=2
	v_ffbh_u32_e32 v15, v14
	v_min_u32_e32 v20, 32, v15
	v_mov_b32_e32 v40, v28
	v_subrev_u32_e32 v15, 29, v20
	v_and_b32_e32 v3, 0xff, v39
	v_lshlrev_b64 v[15:16], v15, v[39:40]
	v_bfe_u32 v3, v3, 2, 5
	v_sub_u32_e32 v16, 30, v20
	v_and_b32_e32 v15, 3, v15
	v_cmp_eq_u32_e32 vcc, 0, v3
	v_cndmask_b32_e32 v3, v3, v16, vcc
	v_cndmask_b32_e32 v14, v14, v15, vcc
	v_and_b32_sdwa v15, sext(v39), s54 dst_sel:DWORD dst_unused:UNUSED_PAD src0_sel:WORD_0 src1_sel:DWORD
	v_lshl_add_u32 v3, v3, 23, v15
	v_lshl_or_b32 v3, v14, 21, v3
	v_add_u32_e32 v3, 0x38000000, v3
                                        ; implicit-def: $vgpr14
                                        ; implicit-def: $vgpr39
.LBB6_3362:                             ;   in Loop: Header=BB6_2990 Depth=2
	s_andn2_saveexec_b64 s[90:91], s[90:91]
; %bb.3363:                             ;   in Loop: Header=BB6_2990 Depth=2
	v_cmp_lt_i16_e32 vcc, -1, v39
	v_mov_b32_e32 v3, 0xff800000
	v_mov_b32_e32 v15, 0x7f800000
	v_cndmask_b32_e32 v3, v3, v15, vcc
	v_cmp_eq_u32_e32 vcc, 0, v14
	v_mov_b32_e32 v14, 0x7f800001
	v_cndmask_b32_e32 v3, v14, v3, vcc
; %bb.3364:                             ;   in Loop: Header=BB6_2990 Depth=2
	s_or_b64 exec, exec, s[90:91]
.LBB6_3365:                             ;   in Loop: Header=BB6_2990 Depth=2
	s_or_b64 exec, exec, s[88:89]
.LBB6_3366:                             ;   in Loop: Header=BB6_2990 Depth=2
	s_or_b64 exec, exec, s[20:21]
	v_mul_f32_e32 v9, v9, v3
	v_and_b32_e32 v14, 0x7f800000, v9
	v_mov_b32_e32 v15, v28
	v_cmp_ne_u64_e32 vcc, s[60:61], v[14:15]
	v_and_b32_e32 v27, 0x7fffff, v9
                                        ; implicit-def: $vgpr15
	s_and_saveexec_b64 s[20:21], vcc
	s_xor_b64 s[88:89], exec, s[20:21]
	s_cbranch_execz .LBB6_3384
; %bb.3367:                             ;   in Loop: Header=BB6_2990 Depth=2
	v_and_b32_e32 v14, 0x7fffffff, v9
	v_mov_b32_e32 v15, v28
	v_cmp_gt_u64_e32 vcc, s[62:63], v[14:15]
	v_and_b32_sdwa v3, v9, s55 dst_sel:DWORD dst_unused:UNUSED_PAD src0_sel:BYTE_3 src1_sel:DWORD
                                        ; implicit-def: $vgpr15
	s_and_saveexec_b64 s[20:21], vcc
	s_xor_b64 s[90:91], exec, s[20:21]
	s_cbranch_execz .LBB6_3381
; %bb.3368:                             ;   in Loop: Header=BB6_2990 Depth=2
	v_cmp_ne_u32_e32 vcc, 0, v9
	v_mov_b32_e32 v15, 0
	s_and_saveexec_b64 s[92:93], vcc
	s_cbranch_execz .LBB6_3380
; %bb.3369:                             ;   in Loop: Header=BB6_2990 Depth=2
	v_bfe_u32 v9, v9, 23, 8
	v_cmp_gt_u32_e64 s[20:21], s64, v9
	v_sub_u32_e32 v14, 0x71, v9
	v_cmp_eq_u32_e32 vcc, 0, v9
	v_cndmask_b32_e64 v14, 0, v14, s[20:21]
	v_mov_b32_e32 v16, 0x70
	v_cndmask_b32_e32 v20, v14, v16, vcc
	v_or_b32_e32 v15, 0x800000, v27
	v_add_u32_e32 v16, 21, v20
	v_cndmask_b32_e32 v14, v15, v27, vcc
	v_lshlrev_b64 v[26:27], v16, -1
	v_mov_b32_e32 v15, v28
	v_add_u32_e32 v16, 20, v20
	v_bfi_b32 v26, v26, 0, v14
	v_lshlrev_b64 v[33:34], v16, 1
	v_lshrrev_b64 v[14:15], v20, v[14:15]
	v_bfi_b32 v27, v27, 0, 0
	v_cmp_eq_u64_e64 s[20:21], v[26:27], v[33:34]
	v_mov_b32_e32 v16, v15
	v_mov_b32_e32 v15, v14
	s_and_saveexec_b64 s[94:95], s[20:21]
; %bb.3370:                             ;   in Loop: Header=BB6_2990 Depth=2
	v_bfe_u32 v15, v14, 21, 1
	v_add_co_u32_e64 v15, s[20:21], v14, v15
	v_add_co_u32_e64 v15, s[20:21], -1, v15
; %bb.3371:                             ;   in Loop: Header=BB6_2990 Depth=2
	s_or_b64 exec, exec, s[94:95]
	v_add_u32_e32 v9, 0xffffff81, v9
	v_mov_b32_e32 v16, 0xffffff82
	v_cndmask_b32_e32 v9, v9, v16, vcc
	v_lshrrev_b32_e32 v16, 23, v14
	v_add3_u32 v20, v20, v9, v16
	v_add_u32_e32 v16, 14, v20
	v_and_b32_e32 v9, 0x1fffff, v15
	v_add_u32_e32 v27, v9, v14
	v_cmp_ne_u32_e32 vcc, 0, v16
                                        ; implicit-def: $vgpr14_vgpr15
                                        ; implicit-def: $vgpr9
	s_and_saveexec_b64 s[20:21], vcc
	s_xor_b64 s[20:21], exec, s[20:21]
; %bb.3372:                             ;   in Loop: Header=BB6_2990 Depth=2
	v_cmp_lt_u64_e32 vcc, s[72:73], v[27:28]
	v_add_u32_e32 v9, 15, v20
	v_cndmask_b32_e64 v14, 0, 1, vcc
	v_lshrrev_b64 v[14:15], v14, v[27:28]
	v_cndmask_b32_e32 v9, v16, v9, vcc
; %bb.3373:                             ;   in Loop: Header=BB6_2990 Depth=2
	s_andn2_saveexec_b64 s[20:21], s[20:21]
; %bb.3374:                             ;   in Loop: Header=BB6_2990 Depth=2
	v_mov_b32_e32 v14, v27
	v_mov_b32_e32 v15, v28
	v_bfe_u32 v9, v27, 23, 1
; %bb.3375:                             ;   in Loop: Header=BB6_2990 Depth=2
	s_or_b64 exec, exec, s[20:21]
	v_lshrrev_b64 v[14:15], 21, v[14:15]
	v_cmp_gt_i32_e32 vcc, 32, v9
	v_cndmask_b32_e32 v15, 0, v15, vcc
	v_cndmask_b32_e32 v14, 3, v14, vcc
	v_cmp_ne_u64_e32 vcc, 0, v[14:15]
	v_cmp_ne_u32_e64 s[20:21], 0, v9
	s_or_b64 s[20:21], s[20:21], vcc
                                        ; implicit-def: $vgpr15
	s_and_saveexec_b64 s[94:95], s[20:21]
	s_xor_b64 s[20:21], exec, s[94:95]
; %bb.3376:                             ;   in Loop: Header=BB6_2990 Depth=2
	v_min_i32_e32 v9, 31, v9
	v_lshl_or_b32 v3, v9, 2, v3
	v_and_or_b32 v15, v14, 3, v3
                                        ; implicit-def: $vgpr3
; %bb.3377:                             ;   in Loop: Header=BB6_2990 Depth=2
	s_andn2_saveexec_b64 s[20:21], s[20:21]
; %bb.3378:                             ;   in Loop: Header=BB6_2990 Depth=2
	v_mov_b32_e32 v15, v3
; %bb.3379:                             ;   in Loop: Header=BB6_2990 Depth=2
	s_or_b64 exec, exec, s[20:21]
.LBB6_3380:                             ;   in Loop: Header=BB6_2990 Depth=2
	s_or_b64 exec, exec, s[92:93]
                                        ; implicit-def: $vgpr3
.LBB6_3381:                             ;   in Loop: Header=BB6_2990 Depth=2
	s_andn2_saveexec_b64 s[20:21], s[90:91]
; %bb.3382:                             ;   in Loop: Header=BB6_2990 Depth=2
	v_or_b32_e32 v15, 0x7b, v3
; %bb.3383:                             ;   in Loop: Header=BB6_2990 Depth=2
	s_or_b64 exec, exec, s[20:21]
                                        ; implicit-def: $vgpr9
.LBB6_3384:                             ;   in Loop: Header=BB6_2990 Depth=2
	s_andn2_saveexec_b64 s[20:21], s[88:89]
	s_cbranch_execz .LBB6_3390
; %bb.3385:                             ;   in Loop: Header=BB6_2990 Depth=2
	v_cmp_ne_u64_e32 vcc, 0, v[27:28]
                                        ; implicit-def: $vgpr15
	s_and_saveexec_b64 s[88:89], vcc
	s_xor_b64 s[88:89], exec, s[88:89]
; %bb.3386:                             ;   in Loop: Header=BB6_2990 Depth=2
	v_or_b32_sdwa v15, v9, s65 dst_sel:DWORD dst_unused:UNUSED_PAD src0_sel:BYTE_3 src1_sel:DWORD
                                        ; implicit-def: $vgpr9
; %bb.3387:                             ;   in Loop: Header=BB6_2990 Depth=2
	s_andn2_saveexec_b64 s[88:89], s[88:89]
; %bb.3388:                             ;   in Loop: Header=BB6_2990 Depth=2
	v_cmp_lt_i32_e32 vcc, -1, v9
	v_mov_b32_e32 v3, 0x7c
	v_cndmask_b32_e32 v15, -4, v3, vcc
; %bb.3389:                             ;   in Loop: Header=BB6_2990 Depth=2
	s_or_b64 exec, exec, s[88:89]
.LBB6_3390:                             ;   in Loop: Header=BB6_2990 Depth=2
	s_or_b64 exec, exec, s[20:21]
	v_cmp_ne_u16_e32 vcc, 0, v2
	v_mov_b32_e32 v9, 0
	v_mov_b32_e32 v3, 0
	s_and_saveexec_b64 s[20:21], vcc
	s_cbranch_execz .LBB6_3398
; %bb.3391:                             ;   in Loop: Header=BB6_2990 Depth=2
	v_cmp_ne_u16_e32 vcc, s52, v2
	v_bfrev_b32_e32 v3, 1
	s_and_saveexec_b64 s[88:89], vcc
	s_cbranch_execz .LBB6_3397
; %bb.3392:                             ;   in Loop: Header=BB6_2990 Depth=2
	v_and_b32_e32 v3, 0x7c, v2
	v_and_b32_e32 v14, 3, v2
	v_cmp_ne_u32_e32 vcc, s53, v3
                                        ; implicit-def: $vgpr3
	s_and_saveexec_b64 s[90:91], vcc
	s_xor_b64 s[90:91], exec, s[90:91]
	s_cbranch_execz .LBB6_3394
; %bb.3393:                             ;   in Loop: Header=BB6_2990 Depth=2
	v_ffbh_u32_e32 v20, v14
	v_min_u32_e32 v20, 32, v20
	v_and_b32_e32 v16, 0xff, v2
	v_mov_b32_e32 v3, v28
	v_subrev_u32_e32 v22, 29, v20
	v_bfe_u32 v16, v16, 2, 5
	v_lshlrev_b64 v[26:27], v22, v[2:3]
	v_sub_u32_e32 v3, 30, v20
	v_cmp_eq_u32_e32 vcc, 0, v16
	v_and_b32_e32 v20, 3, v26
	v_cndmask_b32_e32 v3, v16, v3, vcc
	v_and_b32_sdwa v2, sext(v2), s54 dst_sel:DWORD dst_unused:UNUSED_PAD src0_sel:WORD_0 src1_sel:DWORD
	v_cndmask_b32_e32 v14, v14, v20, vcc
	v_lshl_add_u32 v2, v3, 23, v2
	v_lshl_or_b32 v2, v14, 21, v2
	v_add_u32_e32 v3, 0x38000000, v2
                                        ; implicit-def: $vgpr14
                                        ; implicit-def: $vgpr2
.LBB6_3394:                             ;   in Loop: Header=BB6_2990 Depth=2
	s_andn2_saveexec_b64 s[90:91], s[90:91]
; %bb.3395:                             ;   in Loop: Header=BB6_2990 Depth=2
	v_cmp_lt_i16_e32 vcc, -1, v2
	v_mov_b32_e32 v2, 0xff800000
	v_mov_b32_e32 v3, 0x7f800000
	v_cndmask_b32_e32 v2, v2, v3, vcc
	v_cmp_eq_u32_e32 vcc, 0, v14
	v_mov_b32_e32 v3, 0x7f800001
	v_cndmask_b32_e32 v3, v3, v2, vcc
; %bb.3396:                             ;   in Loop: Header=BB6_2990 Depth=2
	s_or_b64 exec, exec, s[90:91]
.LBB6_3397:                             ;   in Loop: Header=BB6_2990 Depth=2
	s_or_b64 exec, exec, s[88:89]
.LBB6_3398:                             ;   in Loop: Header=BB6_2990 Depth=2
	s_or_b64 exec, exec, s[20:21]
	v_cmp_ne_u16_e32 vcc, 0, v8
	s_and_saveexec_b64 s[20:21], vcc
	s_cbranch_execz .LBB6_3406
; %bb.3399:                             ;   in Loop: Header=BB6_2990 Depth=2
	v_cmp_ne_u16_e32 vcc, s52, v8
	v_bfrev_b32_e32 v9, 1
	s_and_saveexec_b64 s[88:89], vcc
	s_cbranch_execz .LBB6_3405
; %bb.3400:                             ;   in Loop: Header=BB6_2990 Depth=2
	v_and_b32_e32 v9, 0x7c, v8
	v_and_b32_e32 v2, 3, v8
	v_cmp_ne_u32_e32 vcc, s53, v9
                                        ; implicit-def: $vgpr9
	s_and_saveexec_b64 s[90:91], vcc
	s_xor_b64 s[90:91], exec, s[90:91]
	s_cbranch_execz .LBB6_3402
; %bb.3401:                             ;   in Loop: Header=BB6_2990 Depth=2
	v_ffbh_u32_e32 v16, v2
	v_min_u32_e32 v16, 32, v16
	v_and_b32_e32 v14, 0xff, v8
	v_mov_b32_e32 v9, v28
	v_subrev_u32_e32 v20, 29, v16
	v_bfe_u32 v14, v14, 2, 5
	v_lshlrev_b64 v[26:27], v20, v[8:9]
	v_sub_u32_e32 v9, 30, v16
	v_cmp_eq_u32_e32 vcc, 0, v14
	v_and_b32_e32 v16, 3, v26
	v_cndmask_b32_e32 v9, v14, v9, vcc
	v_and_b32_sdwa v8, sext(v8), s54 dst_sel:DWORD dst_unused:UNUSED_PAD src0_sel:WORD_0 src1_sel:DWORD
	v_cndmask_b32_e32 v2, v2, v16, vcc
	v_lshl_add_u32 v8, v9, 23, v8
	v_lshl_or_b32 v2, v2, 21, v8
	v_add_u32_e32 v9, 0x38000000, v2
                                        ; implicit-def: $vgpr2
                                        ; implicit-def: $vgpr8
.LBB6_3402:                             ;   in Loop: Header=BB6_2990 Depth=2
	s_andn2_saveexec_b64 s[90:91], s[90:91]
; %bb.3403:                             ;   in Loop: Header=BB6_2990 Depth=2
	v_cmp_lt_i16_e32 vcc, -1, v8
	v_mov_b32_e32 v8, 0xff800000
	v_mov_b32_e32 v9, 0x7f800000
	v_cndmask_b32_e32 v8, v8, v9, vcc
	v_cmp_eq_u32_e32 vcc, 0, v2
	v_mov_b32_e32 v2, 0x7f800001
	v_cndmask_b32_e32 v9, v2, v8, vcc
; %bb.3404:                             ;   in Loop: Header=BB6_2990 Depth=2
	s_or_b64 exec, exec, s[90:91]
.LBB6_3405:                             ;   in Loop: Header=BB6_2990 Depth=2
	s_or_b64 exec, exec, s[88:89]
.LBB6_3406:                             ;   in Loop: Header=BB6_2990 Depth=2
	s_or_b64 exec, exec, s[20:21]
	v_mul_f32_e32 v2, v3, v9
	v_and_b32_e32 v8, 0x7f800000, v2
	v_mov_b32_e32 v9, v28
	v_cmp_ne_u64_e32 vcc, s[60:61], v[8:9]
	v_and_b32_e32 v27, 0x7fffff, v2
                                        ; implicit-def: $vgpr9
	s_and_saveexec_b64 s[20:21], vcc
	s_xor_b64 s[88:89], exec, s[20:21]
	s_cbranch_execz .LBB6_3424
; %bb.3407:                             ;   in Loop: Header=BB6_2990 Depth=2
	v_and_b32_e32 v8, 0x7fffffff, v2
	v_mov_b32_e32 v9, v28
	v_cmp_gt_u64_e32 vcc, s[62:63], v[8:9]
	v_and_b32_sdwa v14, v2, s55 dst_sel:DWORD dst_unused:UNUSED_PAD src0_sel:BYTE_3 src1_sel:DWORD
                                        ; implicit-def: $vgpr9
	s_and_saveexec_b64 s[20:21], vcc
	s_xor_b64 s[90:91], exec, s[20:21]
	s_cbranch_execz .LBB6_3421
; %bb.3408:                             ;   in Loop: Header=BB6_2990 Depth=2
	v_cmp_ne_u32_e32 vcc, 0, v2
	v_mov_b32_e32 v9, 0
	s_and_saveexec_b64 s[92:93], vcc
	s_cbranch_execz .LBB6_3420
; %bb.3409:                             ;   in Loop: Header=BB6_2990 Depth=2
	v_bfe_u32 v16, v2, 23, 8
	v_cmp_gt_u32_e64 s[20:21], s64, v16
	v_sub_u32_e32 v2, 0x71, v16
	v_cmp_eq_u32_e32 vcc, 0, v16
	v_cndmask_b32_e64 v2, 0, v2, s[20:21]
	v_mov_b32_e32 v8, 0x70
	v_cndmask_b32_e32 v20, v2, v8, vcc
	v_add_u32_e32 v8, 21, v20
	v_or_b32_e32 v3, 0x800000, v27
	v_lshlrev_b64 v[8:9], v8, -1
	v_cndmask_b32_e32 v2, v3, v27, vcc
	v_mov_b32_e32 v3, v28
	v_add_u32_e32 v22, 20, v20
	v_bfi_b32 v8, v8, 0, v2
	v_lshlrev_b64 v[26:27], v22, 1
	v_lshrrev_b64 v[2:3], v20, v[2:3]
	v_bfi_b32 v9, v9, 0, 0
	v_cmp_eq_u64_e64 s[20:21], v[8:9], v[26:27]
	v_mov_b32_e32 v9, v3
	v_mov_b32_e32 v8, v2
	s_and_saveexec_b64 s[94:95], s[20:21]
; %bb.3410:                             ;   in Loop: Header=BB6_2990 Depth=2
	v_bfe_u32 v3, v2, 21, 1
	v_add_co_u32_e64 v3, s[20:21], v2, v3
	v_add_co_u32_e64 v8, s[20:21], -1, v3
; %bb.3411:                             ;   in Loop: Header=BB6_2990 Depth=2
	s_or_b64 exec, exec, s[94:95]
	v_add_u32_e32 v3, 0xffffff81, v16
	v_mov_b32_e32 v9, 0xffffff82
	v_cndmask_b32_e32 v3, v3, v9, vcc
	v_lshrrev_b32_e32 v9, 23, v2
	v_add3_u32 v16, v20, v3, v9
	v_add_u32_e32 v9, 14, v16
	v_and_b32_e32 v3, 0x1fffff, v8
	v_add_u32_e32 v27, v3, v2
	v_cmp_ne_u32_e32 vcc, 0, v9
                                        ; implicit-def: $vgpr2_vgpr3
                                        ; implicit-def: $vgpr8
	s_and_saveexec_b64 s[20:21], vcc
	s_xor_b64 s[20:21], exec, s[20:21]
; %bb.3412:                             ;   in Loop: Header=BB6_2990 Depth=2
	v_cmp_lt_u64_e32 vcc, s[72:73], v[27:28]
	v_add_u32_e32 v2, 15, v16
	v_cndmask_b32_e32 v8, v9, v2, vcc
	v_cndmask_b32_e64 v2, 0, 1, vcc
	v_lshrrev_b64 v[2:3], v2, v[27:28]
; %bb.3413:                             ;   in Loop: Header=BB6_2990 Depth=2
	s_andn2_saveexec_b64 s[20:21], s[20:21]
; %bb.3414:                             ;   in Loop: Header=BB6_2990 Depth=2
	v_mov_b32_e32 v2, v27
	v_mov_b32_e32 v3, v28
	v_bfe_u32 v8, v27, 23, 1
; %bb.3415:                             ;   in Loop: Header=BB6_2990 Depth=2
	s_or_b64 exec, exec, s[20:21]
	v_lshrrev_b64 v[2:3], 21, v[2:3]
	v_cmp_gt_i32_e32 vcc, 32, v8
	v_cndmask_b32_e32 v3, 0, v3, vcc
	v_cndmask_b32_e32 v2, 3, v2, vcc
	v_cmp_ne_u64_e32 vcc, 0, v[2:3]
	v_cmp_ne_u32_e64 s[20:21], 0, v8
	s_or_b64 s[20:21], s[20:21], vcc
                                        ; implicit-def: $vgpr9
	s_and_saveexec_b64 s[94:95], s[20:21]
	s_xor_b64 s[20:21], exec, s[94:95]
; %bb.3416:                             ;   in Loop: Header=BB6_2990 Depth=2
	v_min_i32_e32 v3, 31, v8
	v_lshl_or_b32 v3, v3, 2, v14
	v_and_or_b32 v9, v2, 3, v3
                                        ; implicit-def: $vgpr14
; %bb.3417:                             ;   in Loop: Header=BB6_2990 Depth=2
	s_andn2_saveexec_b64 s[20:21], s[20:21]
; %bb.3418:                             ;   in Loop: Header=BB6_2990 Depth=2
	v_mov_b32_e32 v9, v14
; %bb.3419:                             ;   in Loop: Header=BB6_2990 Depth=2
	s_or_b64 exec, exec, s[20:21]
.LBB6_3420:                             ;   in Loop: Header=BB6_2990 Depth=2
	s_or_b64 exec, exec, s[92:93]
                                        ; implicit-def: $vgpr14
.LBB6_3421:                             ;   in Loop: Header=BB6_2990 Depth=2
	s_andn2_saveexec_b64 s[20:21], s[90:91]
; %bb.3422:                             ;   in Loop: Header=BB6_2990 Depth=2
	v_or_b32_e32 v9, 0x7b, v14
; %bb.3423:                             ;   in Loop: Header=BB6_2990 Depth=2
	s_or_b64 exec, exec, s[20:21]
                                        ; implicit-def: $vgpr2
.LBB6_3424:                             ;   in Loop: Header=BB6_2990 Depth=2
	s_andn2_saveexec_b64 s[20:21], s[88:89]
	s_cbranch_execz .LBB6_3430
; %bb.3425:                             ;   in Loop: Header=BB6_2990 Depth=2
	v_cmp_ne_u64_e32 vcc, 0, v[27:28]
                                        ; implicit-def: $vgpr9
	s_and_saveexec_b64 s[88:89], vcc
	s_xor_b64 s[88:89], exec, s[88:89]
; %bb.3426:                             ;   in Loop: Header=BB6_2990 Depth=2
	v_or_b32_sdwa v9, v2, s65 dst_sel:DWORD dst_unused:UNUSED_PAD src0_sel:BYTE_3 src1_sel:DWORD
                                        ; implicit-def: $vgpr2
; %bb.3427:                             ;   in Loop: Header=BB6_2990 Depth=2
	s_andn2_saveexec_b64 s[88:89], s[88:89]
; %bb.3428:                             ;   in Loop: Header=BB6_2990 Depth=2
	v_cmp_lt_i32_e32 vcc, -1, v2
	v_mov_b32_e32 v2, 0x7c
	v_cndmask_b32_e32 v9, -4, v2, vcc
; %bb.3429:                             ;   in Loop: Header=BB6_2990 Depth=2
	s_or_b64 exec, exec, s[88:89]
.LBB6_3430:                             ;   in Loop: Header=BB6_2990 Depth=2
	s_or_b64 exec, exec, s[20:21]
	v_cmp_ne_u16_e32 vcc, 0, v7
	v_mov_b32_e32 v2, 0
	v_mov_b32_e32 v3, 0
	s_and_saveexec_b64 s[20:21], vcc
	s_cbranch_execz .LBB6_3438
; %bb.3431:                             ;   in Loop: Header=BB6_2990 Depth=2
	v_cmp_ne_u16_e32 vcc, s52, v7
	v_bfrev_b32_e32 v3, 1
	s_and_saveexec_b64 s[88:89], vcc
	s_cbranch_execz .LBB6_3437
; %bb.3432:                             ;   in Loop: Header=BB6_2990 Depth=2
	v_and_b32_e32 v3, 0x7c, v7
	v_and_b32_e32 v14, 3, v7
	v_cmp_ne_u32_e32 vcc, s53, v3
                                        ; implicit-def: $vgpr3
	s_and_saveexec_b64 s[90:91], vcc
	s_xor_b64 s[90:91], exec, s[90:91]
	s_cbranch_execz .LBB6_3434
; %bb.3433:                             ;   in Loop: Header=BB6_2990 Depth=2
	v_ffbh_u32_e32 v16, v14
	v_min_u32_e32 v16, 32, v16
	v_and_b32_e32 v3, 0xff, v7
	v_mov_b32_e32 v8, v28
	v_subrev_u32_e32 v20, 29, v16
	v_bfe_u32 v3, v3, 2, 5
	v_lshlrev_b64 v[26:27], v20, v[7:8]
	v_sub_u32_e32 v8, 30, v16
	v_cmp_eq_u32_e32 vcc, 0, v3
	v_and_b32_e32 v16, 3, v26
	v_cndmask_b32_e32 v3, v3, v8, vcc
	v_and_b32_sdwa v7, sext(v7), s54 dst_sel:DWORD dst_unused:UNUSED_PAD src0_sel:WORD_0 src1_sel:DWORD
	v_cndmask_b32_e32 v8, v14, v16, vcc
	v_lshl_add_u32 v3, v3, 23, v7
	v_lshl_or_b32 v3, v8, 21, v3
	v_add_u32_e32 v3, 0x38000000, v3
                                        ; implicit-def: $vgpr14
                                        ; implicit-def: $vgpr7
.LBB6_3434:                             ;   in Loop: Header=BB6_2990 Depth=2
	s_andn2_saveexec_b64 s[90:91], s[90:91]
; %bb.3435:                             ;   in Loop: Header=BB6_2990 Depth=2
	v_cmp_lt_i16_e32 vcc, -1, v7
	v_mov_b32_e32 v3, 0xff800000
	v_mov_b32_e32 v7, 0x7f800000
	v_cndmask_b32_e32 v3, v3, v7, vcc
	v_cmp_eq_u32_e32 vcc, 0, v14
	v_mov_b32_e32 v7, 0x7f800001
	v_cndmask_b32_e32 v3, v7, v3, vcc
; %bb.3436:                             ;   in Loop: Header=BB6_2990 Depth=2
	s_or_b64 exec, exec, s[90:91]
.LBB6_3437:                             ;   in Loop: Header=BB6_2990 Depth=2
	s_or_b64 exec, exec, s[88:89]
.LBB6_3438:                             ;   in Loop: Header=BB6_2990 Depth=2
	s_or_b64 exec, exec, s[20:21]
	v_cmp_ne_u16_e32 vcc, 0, v6
	s_and_saveexec_b64 s[20:21], vcc
	s_cbranch_execz .LBB6_3446
; %bb.3439:                             ;   in Loop: Header=BB6_2990 Depth=2
	v_cmp_ne_u16_e32 vcc, s52, v6
	v_bfrev_b32_e32 v2, 1
	s_and_saveexec_b64 s[88:89], vcc
	s_cbranch_execz .LBB6_3445
; %bb.3440:                             ;   in Loop: Header=BB6_2990 Depth=2
	v_and_b32_e32 v2, 0x7c, v6
	v_and_b32_e32 v8, 3, v6
	v_cmp_ne_u32_e32 vcc, s53, v2
                                        ; implicit-def: $vgpr2
	s_and_saveexec_b64 s[90:91], vcc
	s_xor_b64 s[90:91], exec, s[90:91]
	s_cbranch_execz .LBB6_3442
; %bb.3441:                             ;   in Loop: Header=BB6_2990 Depth=2
	v_ffbh_u32_e32 v14, v8
	v_min_u32_e32 v14, 32, v14
	v_and_b32_e32 v2, 0xff, v6
	v_mov_b32_e32 v7, v28
	v_subrev_u32_e32 v16, 29, v14
	v_bfe_u32 v2, v2, 2, 5
	v_lshlrev_b64 v[26:27], v16, v[6:7]
	v_sub_u32_e32 v7, 30, v14
	v_cmp_eq_u32_e32 vcc, 0, v2
	v_and_b32_e32 v14, 3, v26
	v_cndmask_b32_e32 v2, v2, v7, vcc
	v_and_b32_sdwa v6, sext(v6), s54 dst_sel:DWORD dst_unused:UNUSED_PAD src0_sel:WORD_0 src1_sel:DWORD
	v_cndmask_b32_e32 v7, v8, v14, vcc
	v_lshl_add_u32 v2, v2, 23, v6
	v_lshl_or_b32 v2, v7, 21, v2
	v_add_u32_e32 v2, 0x38000000, v2
                                        ; implicit-def: $vgpr8
                                        ; implicit-def: $vgpr6
.LBB6_3442:                             ;   in Loop: Header=BB6_2990 Depth=2
	s_andn2_saveexec_b64 s[90:91], s[90:91]
; %bb.3443:                             ;   in Loop: Header=BB6_2990 Depth=2
	v_cmp_lt_i16_e32 vcc, -1, v6
	v_mov_b32_e32 v2, 0xff800000
	v_mov_b32_e32 v6, 0x7f800000
	v_cndmask_b32_e32 v2, v2, v6, vcc
	v_cmp_eq_u32_e32 vcc, 0, v8
	v_mov_b32_e32 v6, 0x7f800001
	v_cndmask_b32_e32 v2, v6, v2, vcc
; %bb.3444:                             ;   in Loop: Header=BB6_2990 Depth=2
	s_or_b64 exec, exec, s[90:91]
.LBB6_3445:                             ;   in Loop: Header=BB6_2990 Depth=2
	s_or_b64 exec, exec, s[88:89]
.LBB6_3446:                             ;   in Loop: Header=BB6_2990 Depth=2
	s_or_b64 exec, exec, s[20:21]
	v_mul_f32_e32 v2, v3, v2
	v_and_b32_e32 v6, 0x7f800000, v2
	v_mov_b32_e32 v7, v28
	v_cmp_ne_u64_e32 vcc, s[60:61], v[6:7]
	v_and_b32_e32 v27, 0x7fffff, v2
                                        ; implicit-def: $vgpr7
	s_and_saveexec_b64 s[20:21], vcc
	s_xor_b64 s[88:89], exec, s[20:21]
	s_cbranch_execz .LBB6_3464
; %bb.3447:                             ;   in Loop: Header=BB6_2990 Depth=2
	v_and_b32_e32 v6, 0x7fffffff, v2
	v_mov_b32_e32 v7, v28
	v_cmp_gt_u64_e32 vcc, s[62:63], v[6:7]
	v_and_b32_sdwa v8, v2, s55 dst_sel:DWORD dst_unused:UNUSED_PAD src0_sel:BYTE_3 src1_sel:DWORD
                                        ; implicit-def: $vgpr7
	s_and_saveexec_b64 s[20:21], vcc
	s_xor_b64 s[90:91], exec, s[20:21]
	s_cbranch_execz .LBB6_3461
; %bb.3448:                             ;   in Loop: Header=BB6_2990 Depth=2
	v_cmp_ne_u32_e32 vcc, 0, v2
	v_mov_b32_e32 v7, 0
	s_and_saveexec_b64 s[92:93], vcc
	s_cbranch_execz .LBB6_3460
; %bb.3449:                             ;   in Loop: Header=BB6_2990 Depth=2
	v_bfe_u32 v14, v2, 23, 8
	v_cmp_gt_u32_e64 s[20:21], s64, v14
	v_sub_u32_e32 v2, 0x71, v14
	v_cmp_eq_u32_e32 vcc, 0, v14
	v_cndmask_b32_e64 v2, 0, v2, s[20:21]
	v_mov_b32_e32 v6, 0x70
	v_cndmask_b32_e32 v16, v2, v6, vcc
	v_add_u32_e32 v6, 21, v16
	v_or_b32_e32 v3, 0x800000, v27
	v_lshlrev_b64 v[6:7], v6, -1
	v_cndmask_b32_e32 v2, v3, v27, vcc
	v_mov_b32_e32 v3, v28
	v_add_u32_e32 v20, 20, v16
	v_bfi_b32 v6, v6, 0, v2
	v_lshlrev_b64 v[26:27], v20, 1
	v_lshrrev_b64 v[2:3], v16, v[2:3]
	v_bfi_b32 v7, v7, 0, 0
	v_cmp_eq_u64_e64 s[20:21], v[6:7], v[26:27]
	v_mov_b32_e32 v7, v3
	v_mov_b32_e32 v6, v2
	s_and_saveexec_b64 s[94:95], s[20:21]
; %bb.3450:                             ;   in Loop: Header=BB6_2990 Depth=2
	v_bfe_u32 v3, v2, 21, 1
	v_add_co_u32_e64 v3, s[20:21], v2, v3
	v_add_co_u32_e64 v6, s[20:21], -1, v3
; %bb.3451:                             ;   in Loop: Header=BB6_2990 Depth=2
	s_or_b64 exec, exec, s[94:95]
	v_add_u32_e32 v3, 0xffffff81, v14
	v_mov_b32_e32 v7, 0xffffff82
	v_cndmask_b32_e32 v3, v3, v7, vcc
	v_lshrrev_b32_e32 v7, 23, v2
	v_add3_u32 v14, v16, v3, v7
	v_add_u32_e32 v7, 14, v14
	v_and_b32_e32 v3, 0x1fffff, v6
	v_add_u32_e32 v27, v3, v2
	v_cmp_ne_u32_e32 vcc, 0, v7
                                        ; implicit-def: $vgpr2_vgpr3
                                        ; implicit-def: $vgpr6
	s_and_saveexec_b64 s[20:21], vcc
	s_xor_b64 s[20:21], exec, s[20:21]
; %bb.3452:                             ;   in Loop: Header=BB6_2990 Depth=2
	v_cmp_lt_u64_e32 vcc, s[72:73], v[27:28]
	v_add_u32_e32 v2, 15, v14
	v_cndmask_b32_e32 v6, v7, v2, vcc
	v_cndmask_b32_e64 v2, 0, 1, vcc
	v_lshrrev_b64 v[2:3], v2, v[27:28]
; %bb.3453:                             ;   in Loop: Header=BB6_2990 Depth=2
	s_andn2_saveexec_b64 s[20:21], s[20:21]
; %bb.3454:                             ;   in Loop: Header=BB6_2990 Depth=2
	v_mov_b32_e32 v2, v27
	v_mov_b32_e32 v3, v28
	v_bfe_u32 v6, v27, 23, 1
; %bb.3455:                             ;   in Loop: Header=BB6_2990 Depth=2
	s_or_b64 exec, exec, s[20:21]
	v_lshrrev_b64 v[2:3], 21, v[2:3]
	v_cmp_gt_i32_e32 vcc, 32, v6
	v_cndmask_b32_e32 v3, 0, v3, vcc
	v_cndmask_b32_e32 v2, 3, v2, vcc
	v_cmp_ne_u64_e32 vcc, 0, v[2:3]
	v_cmp_ne_u32_e64 s[20:21], 0, v6
	s_or_b64 s[20:21], s[20:21], vcc
                                        ; implicit-def: $vgpr7
	s_and_saveexec_b64 s[94:95], s[20:21]
	s_xor_b64 s[20:21], exec, s[94:95]
; %bb.3456:                             ;   in Loop: Header=BB6_2990 Depth=2
	v_min_i32_e32 v3, 31, v6
	v_lshl_or_b32 v3, v3, 2, v8
	v_and_or_b32 v7, v2, 3, v3
                                        ; implicit-def: $vgpr8
; %bb.3457:                             ;   in Loop: Header=BB6_2990 Depth=2
	s_andn2_saveexec_b64 s[20:21], s[20:21]
; %bb.3458:                             ;   in Loop: Header=BB6_2990 Depth=2
	v_mov_b32_e32 v7, v8
; %bb.3459:                             ;   in Loop: Header=BB6_2990 Depth=2
	s_or_b64 exec, exec, s[20:21]
.LBB6_3460:                             ;   in Loop: Header=BB6_2990 Depth=2
	s_or_b64 exec, exec, s[92:93]
                                        ; implicit-def: $vgpr8
.LBB6_3461:                             ;   in Loop: Header=BB6_2990 Depth=2
	s_andn2_saveexec_b64 s[20:21], s[90:91]
; %bb.3462:                             ;   in Loop: Header=BB6_2990 Depth=2
	v_or_b32_e32 v7, 0x7b, v8
; %bb.3463:                             ;   in Loop: Header=BB6_2990 Depth=2
	s_or_b64 exec, exec, s[20:21]
                                        ; implicit-def: $vgpr2
.LBB6_3464:                             ;   in Loop: Header=BB6_2990 Depth=2
	s_andn2_saveexec_b64 s[20:21], s[88:89]
	s_cbranch_execz .LBB6_3470
; %bb.3465:                             ;   in Loop: Header=BB6_2990 Depth=2
	v_cmp_ne_u64_e32 vcc, 0, v[27:28]
                                        ; implicit-def: $vgpr7
	s_and_saveexec_b64 s[88:89], vcc
	s_xor_b64 s[88:89], exec, s[88:89]
; %bb.3466:                             ;   in Loop: Header=BB6_2990 Depth=2
	v_or_b32_sdwa v7, v2, s65 dst_sel:DWORD dst_unused:UNUSED_PAD src0_sel:BYTE_3 src1_sel:DWORD
                                        ; implicit-def: $vgpr2
; %bb.3467:                             ;   in Loop: Header=BB6_2990 Depth=2
	s_andn2_saveexec_b64 s[88:89], s[88:89]
; %bb.3468:                             ;   in Loop: Header=BB6_2990 Depth=2
	v_cmp_lt_i32_e32 vcc, -1, v2
	v_mov_b32_e32 v2, 0x7c
	v_cndmask_b32_e32 v7, -4, v2, vcc
; %bb.3469:                             ;   in Loop: Header=BB6_2990 Depth=2
	s_or_b64 exec, exec, s[88:89]
.LBB6_3470:                             ;   in Loop: Header=BB6_2990 Depth=2
	s_or_b64 exec, exec, s[20:21]
	v_cmp_ne_u16_e32 vcc, 0, v5
	v_mov_b32_e32 v2, 0
	v_mov_b32_e32 v3, 0
	s_and_saveexec_b64 s[20:21], vcc
	s_cbranch_execz .LBB6_3478
; %bb.3471:                             ;   in Loop: Header=BB6_2990 Depth=2
	v_cmp_ne_u16_e32 vcc, s52, v5
	v_bfrev_b32_e32 v3, 1
	s_and_saveexec_b64 s[88:89], vcc
	s_cbranch_execz .LBB6_3477
; %bb.3472:                             ;   in Loop: Header=BB6_2990 Depth=2
	v_and_b32_e32 v3, 0x7c, v5
	v_and_b32_e32 v8, 3, v5
	v_cmp_ne_u32_e32 vcc, s53, v3
                                        ; implicit-def: $vgpr3
	s_and_saveexec_b64 s[90:91], vcc
	s_xor_b64 s[90:91], exec, s[90:91]
	s_cbranch_execz .LBB6_3474
; %bb.3473:                             ;   in Loop: Header=BB6_2990 Depth=2
	v_ffbh_u32_e32 v14, v8
	v_min_u32_e32 v14, 32, v14
	v_and_b32_e32 v3, 0xff, v5
	v_mov_b32_e32 v6, v28
	v_subrev_u32_e32 v16, 29, v14
	v_bfe_u32 v3, v3, 2, 5
	v_lshlrev_b64 v[26:27], v16, v[5:6]
	v_sub_u32_e32 v6, 30, v14
	v_cmp_eq_u32_e32 vcc, 0, v3
	v_and_b32_e32 v14, 3, v26
	v_cndmask_b32_e32 v3, v3, v6, vcc
	v_and_b32_sdwa v5, sext(v5), s54 dst_sel:DWORD dst_unused:UNUSED_PAD src0_sel:WORD_0 src1_sel:DWORD
	v_cndmask_b32_e32 v6, v8, v14, vcc
	v_lshl_add_u32 v3, v3, 23, v5
	v_lshl_or_b32 v3, v6, 21, v3
	v_add_u32_e32 v3, 0x38000000, v3
                                        ; implicit-def: $vgpr8
                                        ; implicit-def: $vgpr5
.LBB6_3474:                             ;   in Loop: Header=BB6_2990 Depth=2
	s_andn2_saveexec_b64 s[90:91], s[90:91]
; %bb.3475:                             ;   in Loop: Header=BB6_2990 Depth=2
	v_cmp_lt_i16_e32 vcc, -1, v5
	v_mov_b32_e32 v3, 0xff800000
	v_mov_b32_e32 v5, 0x7f800000
	v_cndmask_b32_e32 v3, v3, v5, vcc
	v_cmp_eq_u32_e32 vcc, 0, v8
	v_mov_b32_e32 v5, 0x7f800001
	v_cndmask_b32_e32 v3, v5, v3, vcc
; %bb.3476:                             ;   in Loop: Header=BB6_2990 Depth=2
	s_or_b64 exec, exec, s[90:91]
.LBB6_3477:                             ;   in Loop: Header=BB6_2990 Depth=2
	s_or_b64 exec, exec, s[88:89]
.LBB6_3478:                             ;   in Loop: Header=BB6_2990 Depth=2
	s_or_b64 exec, exec, s[20:21]
	v_cmp_ne_u16_e32 vcc, 0, v44
	s_and_saveexec_b64 s[20:21], vcc
	s_cbranch_execz .LBB6_3486
; %bb.3479:                             ;   in Loop: Header=BB6_2990 Depth=2
	v_cmp_ne_u16_e32 vcc, s52, v44
	v_bfrev_b32_e32 v2, 1
	s_and_saveexec_b64 s[88:89], vcc
	s_cbranch_execz .LBB6_3485
; %bb.3480:                             ;   in Loop: Header=BB6_2990 Depth=2
	v_and_b32_e32 v2, 0x7c, v44
	v_and_b32_e32 v5, 3, v44
	v_cmp_ne_u32_e32 vcc, s53, v2
                                        ; implicit-def: $vgpr2
	s_and_saveexec_b64 s[90:91], vcc
	s_xor_b64 s[90:91], exec, s[90:91]
	s_cbranch_execz .LBB6_3482
; %bb.3481:                             ;   in Loop: Header=BB6_2990 Depth=2
	v_ffbh_u32_e32 v6, v5
	v_min_u32_e32 v6, 32, v6
	v_and_b32_e32 v2, 0xff, v44
	v_mov_b32_e32 v45, v28
	v_subrev_u32_e32 v8, 29, v6
	v_bfe_u32 v2, v2, 2, 5
	v_lshlrev_b64 v[26:27], v8, v[44:45]
	v_sub_u32_e32 v6, 30, v6
	v_cmp_eq_u32_e32 vcc, 0, v2
	v_and_b32_e32 v8, 3, v26
	v_cndmask_b32_e32 v2, v2, v6, vcc
	v_and_b32_sdwa v6, sext(v44), s54 dst_sel:DWORD dst_unused:UNUSED_PAD src0_sel:WORD_0 src1_sel:DWORD
	v_cndmask_b32_e32 v5, v5, v8, vcc
	v_lshl_add_u32 v2, v2, 23, v6
	v_lshl_or_b32 v2, v5, 21, v2
	v_add_u32_e32 v2, 0x38000000, v2
                                        ; implicit-def: $vgpr5
                                        ; implicit-def: $vgpr44
.LBB6_3482:                             ;   in Loop: Header=BB6_2990 Depth=2
	s_andn2_saveexec_b64 s[90:91], s[90:91]
; %bb.3483:                             ;   in Loop: Header=BB6_2990 Depth=2
	v_cmp_lt_i16_e32 vcc, -1, v44
	v_mov_b32_e32 v2, 0xff800000
	v_mov_b32_e32 v6, 0x7f800000
	v_cndmask_b32_e32 v2, v2, v6, vcc
	v_cmp_eq_u32_e32 vcc, 0, v5
	v_mov_b32_e32 v5, 0x7f800001
	v_cndmask_b32_e32 v2, v5, v2, vcc
; %bb.3484:                             ;   in Loop: Header=BB6_2990 Depth=2
	s_or_b64 exec, exec, s[90:91]
.LBB6_3485:                             ;   in Loop: Header=BB6_2990 Depth=2
	s_or_b64 exec, exec, s[88:89]
.LBB6_3486:                             ;   in Loop: Header=BB6_2990 Depth=2
	s_or_b64 exec, exec, s[20:21]
	v_mul_f32_e32 v2, v3, v2
	v_and_b32_e32 v5, 0x7f800000, v2
	v_mov_b32_e32 v6, v28
	v_cmp_ne_u64_e32 vcc, s[60:61], v[5:6]
	v_and_b32_e32 v27, 0x7fffff, v2
                                        ; implicit-def: $vgpr6
	s_and_saveexec_b64 s[20:21], vcc
	s_xor_b64 s[88:89], exec, s[20:21]
	s_cbranch_execz .LBB6_3504
; %bb.3487:                             ;   in Loop: Header=BB6_2990 Depth=2
	v_and_b32_e32 v5, 0x7fffffff, v2
	v_mov_b32_e32 v6, v28
	v_cmp_gt_u64_e32 vcc, s[62:63], v[5:6]
	v_and_b32_sdwa v8, v2, s55 dst_sel:DWORD dst_unused:UNUSED_PAD src0_sel:BYTE_3 src1_sel:DWORD
                                        ; implicit-def: $vgpr6
	s_and_saveexec_b64 s[20:21], vcc
	s_xor_b64 s[90:91], exec, s[20:21]
	s_cbranch_execz .LBB6_3501
; %bb.3488:                             ;   in Loop: Header=BB6_2990 Depth=2
	v_cmp_ne_u32_e32 vcc, 0, v2
	v_mov_b32_e32 v6, 0
	s_and_saveexec_b64 s[92:93], vcc
	s_cbranch_execz .LBB6_3500
; %bb.3489:                             ;   in Loop: Header=BB6_2990 Depth=2
	v_bfe_u32 v14, v2, 23, 8
	v_cmp_gt_u32_e64 s[20:21], s64, v14
	v_sub_u32_e32 v2, 0x71, v14
	v_cmp_eq_u32_e32 vcc, 0, v14
	v_cndmask_b32_e64 v2, 0, v2, s[20:21]
	v_mov_b32_e32 v5, 0x70
	v_cndmask_b32_e32 v16, v2, v5, vcc
	v_add_u32_e32 v5, 21, v16
	v_or_b32_e32 v3, 0x800000, v27
	v_lshlrev_b64 v[5:6], v5, -1
	v_cndmask_b32_e32 v2, v3, v27, vcc
	v_mov_b32_e32 v3, v28
	v_add_u32_e32 v20, 20, v16
	v_bfi_b32 v5, v5, 0, v2
	v_lshlrev_b64 v[26:27], v20, 1
	v_lshrrev_b64 v[2:3], v16, v[2:3]
	v_bfi_b32 v6, v6, 0, 0
	v_cmp_eq_u64_e64 s[20:21], v[5:6], v[26:27]
	v_mov_b32_e32 v6, v3
	v_mov_b32_e32 v5, v2
	s_and_saveexec_b64 s[94:95], s[20:21]
; %bb.3490:                             ;   in Loop: Header=BB6_2990 Depth=2
	v_bfe_u32 v3, v2, 21, 1
	v_add_co_u32_e64 v3, s[20:21], v2, v3
	v_add_co_u32_e64 v5, s[20:21], -1, v3
; %bb.3491:                             ;   in Loop: Header=BB6_2990 Depth=2
	s_or_b64 exec, exec, s[94:95]
	v_add_u32_e32 v3, 0xffffff81, v14
	v_mov_b32_e32 v6, 0xffffff82
	v_cndmask_b32_e32 v3, v3, v6, vcc
	v_lshrrev_b32_e32 v6, 23, v2
	v_add3_u32 v14, v16, v3, v6
	v_add_u32_e32 v6, 14, v14
	v_and_b32_e32 v3, 0x1fffff, v5
	v_add_u32_e32 v27, v3, v2
	v_cmp_ne_u32_e32 vcc, 0, v6
                                        ; implicit-def: $vgpr2_vgpr3
                                        ; implicit-def: $vgpr5
	s_and_saveexec_b64 s[20:21], vcc
	s_xor_b64 s[20:21], exec, s[20:21]
; %bb.3492:                             ;   in Loop: Header=BB6_2990 Depth=2
	v_cmp_lt_u64_e32 vcc, s[72:73], v[27:28]
	v_add_u32_e32 v2, 15, v14
	v_cndmask_b32_e32 v5, v6, v2, vcc
	v_cndmask_b32_e64 v2, 0, 1, vcc
	v_lshrrev_b64 v[2:3], v2, v[27:28]
; %bb.3493:                             ;   in Loop: Header=BB6_2990 Depth=2
	s_andn2_saveexec_b64 s[20:21], s[20:21]
; %bb.3494:                             ;   in Loop: Header=BB6_2990 Depth=2
	v_mov_b32_e32 v2, v27
	v_mov_b32_e32 v3, v28
	v_bfe_u32 v5, v27, 23, 1
; %bb.3495:                             ;   in Loop: Header=BB6_2990 Depth=2
	s_or_b64 exec, exec, s[20:21]
	v_lshrrev_b64 v[2:3], 21, v[2:3]
	v_cmp_gt_i32_e32 vcc, 32, v5
	v_cndmask_b32_e32 v3, 0, v3, vcc
	v_cndmask_b32_e32 v2, 3, v2, vcc
	v_cmp_ne_u64_e32 vcc, 0, v[2:3]
	v_cmp_ne_u32_e64 s[20:21], 0, v5
	s_or_b64 s[20:21], s[20:21], vcc
                                        ; implicit-def: $vgpr6
	s_and_saveexec_b64 s[94:95], s[20:21]
	s_xor_b64 s[20:21], exec, s[94:95]
; %bb.3496:                             ;   in Loop: Header=BB6_2990 Depth=2
	v_min_i32_e32 v3, 31, v5
	v_lshl_or_b32 v3, v3, 2, v8
	v_and_or_b32 v6, v2, 3, v3
                                        ; implicit-def: $vgpr8
; %bb.3497:                             ;   in Loop: Header=BB6_2990 Depth=2
	s_andn2_saveexec_b64 s[20:21], s[20:21]
; %bb.3498:                             ;   in Loop: Header=BB6_2990 Depth=2
	v_mov_b32_e32 v6, v8
; %bb.3499:                             ;   in Loop: Header=BB6_2990 Depth=2
	s_or_b64 exec, exec, s[20:21]
.LBB6_3500:                             ;   in Loop: Header=BB6_2990 Depth=2
	s_or_b64 exec, exec, s[92:93]
                                        ; implicit-def: $vgpr8
.LBB6_3501:                             ;   in Loop: Header=BB6_2990 Depth=2
	s_andn2_saveexec_b64 s[20:21], s[90:91]
; %bb.3502:                             ;   in Loop: Header=BB6_2990 Depth=2
	v_or_b32_e32 v6, 0x7b, v8
; %bb.3503:                             ;   in Loop: Header=BB6_2990 Depth=2
	s_or_b64 exec, exec, s[20:21]
                                        ; implicit-def: $vgpr2
.LBB6_3504:                             ;   in Loop: Header=BB6_2990 Depth=2
	s_andn2_saveexec_b64 s[20:21], s[88:89]
	s_cbranch_execz .LBB6_3510
; %bb.3505:                             ;   in Loop: Header=BB6_2990 Depth=2
	v_cmp_ne_u64_e32 vcc, 0, v[27:28]
                                        ; implicit-def: $vgpr6
	s_and_saveexec_b64 s[88:89], vcc
	s_xor_b64 s[88:89], exec, s[88:89]
; %bb.3506:                             ;   in Loop: Header=BB6_2990 Depth=2
	v_or_b32_sdwa v6, v2, s65 dst_sel:DWORD dst_unused:UNUSED_PAD src0_sel:BYTE_3 src1_sel:DWORD
                                        ; implicit-def: $vgpr2
; %bb.3507:                             ;   in Loop: Header=BB6_2990 Depth=2
	s_andn2_saveexec_b64 s[88:89], s[88:89]
; %bb.3508:                             ;   in Loop: Header=BB6_2990 Depth=2
	v_cmp_lt_i32_e32 vcc, -1, v2
	v_mov_b32_e32 v2, 0x7c
	v_cndmask_b32_e32 v6, -4, v2, vcc
; %bb.3509:                             ;   in Loop: Header=BB6_2990 Depth=2
	s_or_b64 exec, exec, s[88:89]
.LBB6_3510:                             ;   in Loop: Header=BB6_2990 Depth=2
	s_or_b64 exec, exec, s[20:21]
	v_cmp_ne_u16_e32 vcc, 0, v43
	v_mov_b32_e32 v2, 0
	v_mov_b32_e32 v3, 0
	s_and_saveexec_b64 s[20:21], vcc
	s_cbranch_execz .LBB6_3518
; %bb.3511:                             ;   in Loop: Header=BB6_2990 Depth=2
	v_cmp_ne_u16_e32 vcc, s52, v43
	v_bfrev_b32_e32 v3, 1
	s_and_saveexec_b64 s[88:89], vcc
	s_cbranch_execz .LBB6_3517
; %bb.3512:                             ;   in Loop: Header=BB6_2990 Depth=2
	v_and_b32_e32 v3, 0x7c, v43
	v_and_b32_e32 v5, 3, v43
	v_cmp_ne_u32_e32 vcc, s53, v3
                                        ; implicit-def: $vgpr3
	s_and_saveexec_b64 s[90:91], vcc
	s_xor_b64 s[90:91], exec, s[90:91]
	s_cbranch_execz .LBB6_3514
; %bb.3513:                             ;   in Loop: Header=BB6_2990 Depth=2
	v_ffbh_u32_e32 v8, v5
	v_min_u32_e32 v8, 32, v8
	v_and_b32_e32 v3, 0xff, v43
	v_mov_b32_e32 v44, v28
	v_subrev_u32_e32 v14, 29, v8
	v_bfe_u32 v3, v3, 2, 5
	v_lshlrev_b64 v[26:27], v14, v[43:44]
	v_sub_u32_e32 v8, 30, v8
	v_cmp_eq_u32_e32 vcc, 0, v3
	v_and_b32_e32 v14, 3, v26
	v_cndmask_b32_e32 v3, v3, v8, vcc
	v_and_b32_sdwa v8, sext(v43), s54 dst_sel:DWORD dst_unused:UNUSED_PAD src0_sel:WORD_0 src1_sel:DWORD
	v_cndmask_b32_e32 v5, v5, v14, vcc
	v_lshl_add_u32 v3, v3, 23, v8
	v_lshl_or_b32 v3, v5, 21, v3
	v_add_u32_e32 v3, 0x38000000, v3
                                        ; implicit-def: $vgpr5
                                        ; implicit-def: $vgpr43
.LBB6_3514:                             ;   in Loop: Header=BB6_2990 Depth=2
	s_andn2_saveexec_b64 s[90:91], s[90:91]
; %bb.3515:                             ;   in Loop: Header=BB6_2990 Depth=2
	v_cmp_lt_i16_e32 vcc, -1, v43
	v_mov_b32_e32 v3, 0xff800000
	v_mov_b32_e32 v8, 0x7f800000
	v_cndmask_b32_e32 v3, v3, v8, vcc
	v_cmp_eq_u32_e32 vcc, 0, v5
	v_mov_b32_e32 v5, 0x7f800001
	v_cndmask_b32_e32 v3, v5, v3, vcc
; %bb.3516:                             ;   in Loop: Header=BB6_2990 Depth=2
	s_or_b64 exec, exec, s[90:91]
.LBB6_3517:                             ;   in Loop: Header=BB6_2990 Depth=2
	s_or_b64 exec, exec, s[88:89]
.LBB6_3518:                             ;   in Loop: Header=BB6_2990 Depth=2
	s_or_b64 exec, exec, s[20:21]
	v_cmp_ne_u16_e32 vcc, 0, v4
	s_and_saveexec_b64 s[20:21], vcc
	s_cbranch_execz .LBB6_3526
; %bb.3519:                             ;   in Loop: Header=BB6_2990 Depth=2
	v_cmp_ne_u16_e32 vcc, s52, v4
	v_bfrev_b32_e32 v2, 1
	s_and_saveexec_b64 s[88:89], vcc
	s_cbranch_execz .LBB6_3525
; %bb.3520:                             ;   in Loop: Header=BB6_2990 Depth=2
	v_and_b32_e32 v2, 0x7c, v4
	v_and_b32_e32 v8, 3, v4
	v_cmp_ne_u32_e32 vcc, s53, v2
                                        ; implicit-def: $vgpr2
	s_and_saveexec_b64 s[90:91], vcc
	s_xor_b64 s[90:91], exec, s[90:91]
	s_cbranch_execz .LBB6_3522
; %bb.3521:                             ;   in Loop: Header=BB6_2990 Depth=2
	v_ffbh_u32_e32 v14, v8
	v_min_u32_e32 v14, 32, v14
	v_and_b32_e32 v2, 0xff, v4
	v_mov_b32_e32 v5, v28
	v_subrev_u32_e32 v16, 29, v14
	v_bfe_u32 v2, v2, 2, 5
	v_lshlrev_b64 v[26:27], v16, v[4:5]
	v_sub_u32_e32 v5, 30, v14
	v_cmp_eq_u32_e32 vcc, 0, v2
	v_and_b32_e32 v14, 3, v26
	v_cndmask_b32_e32 v2, v2, v5, vcc
	v_and_b32_sdwa v4, sext(v4), s54 dst_sel:DWORD dst_unused:UNUSED_PAD src0_sel:WORD_0 src1_sel:DWORD
	v_cndmask_b32_e32 v5, v8, v14, vcc
	v_lshl_add_u32 v2, v2, 23, v4
	v_lshl_or_b32 v2, v5, 21, v2
	v_add_u32_e32 v2, 0x38000000, v2
                                        ; implicit-def: $vgpr8
                                        ; implicit-def: $vgpr4
.LBB6_3522:                             ;   in Loop: Header=BB6_2990 Depth=2
	s_andn2_saveexec_b64 s[90:91], s[90:91]
; %bb.3523:                             ;   in Loop: Header=BB6_2990 Depth=2
	v_cmp_lt_i16_e32 vcc, -1, v4
	v_mov_b32_e32 v2, 0xff800000
	v_mov_b32_e32 v4, 0x7f800000
	v_cndmask_b32_e32 v2, v2, v4, vcc
	v_cmp_eq_u32_e32 vcc, 0, v8
	v_mov_b32_e32 v4, 0x7f800001
	v_cndmask_b32_e32 v2, v4, v2, vcc
; %bb.3524:                             ;   in Loop: Header=BB6_2990 Depth=2
	s_or_b64 exec, exec, s[90:91]
.LBB6_3525:                             ;   in Loop: Header=BB6_2990 Depth=2
	s_or_b64 exec, exec, s[88:89]
.LBB6_3526:                             ;   in Loop: Header=BB6_2990 Depth=2
	s_or_b64 exec, exec, s[20:21]
	v_mul_f32_e32 v2, v3, v2
	v_and_b32_e32 v3, 0x7f800000, v2
	v_mov_b32_e32 v4, v28
	v_cmp_ne_u64_e32 vcc, s[60:61], v[3:4]
	v_and_b32_e32 v27, 0x7fffff, v2
                                        ; implicit-def: $vgpr5
	s_and_saveexec_b64 s[20:21], vcc
	s_xor_b64 s[88:89], exec, s[20:21]
	s_cbranch_execz .LBB6_3544
; %bb.3527:                             ;   in Loop: Header=BB6_2990 Depth=2
	v_and_b32_e32 v3, 0x7fffffff, v2
	v_mov_b32_e32 v4, v28
	v_cmp_gt_u64_e32 vcc, s[62:63], v[3:4]
	v_and_b32_sdwa v8, v2, s55 dst_sel:DWORD dst_unused:UNUSED_PAD src0_sel:BYTE_3 src1_sel:DWORD
                                        ; implicit-def: $vgpr5
	s_and_saveexec_b64 s[20:21], vcc
	s_xor_b64 s[90:91], exec, s[20:21]
	s_cbranch_execz .LBB6_3541
; %bb.3528:                             ;   in Loop: Header=BB6_2990 Depth=2
	v_cmp_ne_u32_e32 vcc, 0, v2
	v_mov_b32_e32 v5, 0
	s_and_saveexec_b64 s[92:93], vcc
	s_cbranch_execz .LBB6_3540
; %bb.3529:                             ;   in Loop: Header=BB6_2990 Depth=2
	v_bfe_u32 v5, v2, 23, 8
	v_cmp_gt_u32_e64 s[20:21], s64, v5
	v_sub_u32_e32 v2, 0x71, v5
	v_cmp_eq_u32_e32 vcc, 0, v5
	v_cndmask_b32_e64 v2, 0, v2, s[20:21]
	v_mov_b32_e32 v4, 0x70
	v_cndmask_b32_e32 v14, v2, v4, vcc
	v_or_b32_e32 v3, 0x800000, v27
	v_add_u32_e32 v4, 21, v14
	v_cndmask_b32_e32 v2, v3, v27, vcc
	v_lshlrev_b64 v[26:27], v4, -1
	v_mov_b32_e32 v3, v28
	v_add_u32_e32 v4, 20, v14
	v_bfi_b32 v26, v26, 0, v2
	v_lshlrev_b64 v[33:34], v4, 1
	v_lshrrev_b64 v[2:3], v14, v[2:3]
	v_bfi_b32 v27, v27, 0, 0
	v_cmp_eq_u64_e64 s[20:21], v[26:27], v[33:34]
	v_mov_b32_e32 v4, v3
	v_mov_b32_e32 v3, v2
	s_and_saveexec_b64 s[94:95], s[20:21]
; %bb.3530:                             ;   in Loop: Header=BB6_2990 Depth=2
	v_bfe_u32 v3, v2, 21, 1
	v_add_co_u32_e64 v3, s[20:21], v2, v3
	v_add_co_u32_e64 v3, s[20:21], -1, v3
; %bb.3531:                             ;   in Loop: Header=BB6_2990 Depth=2
	s_or_b64 exec, exec, s[94:95]
	v_add_u32_e32 v4, 0xffffff81, v5
	v_mov_b32_e32 v5, 0xffffff82
	v_cndmask_b32_e32 v4, v4, v5, vcc
	v_lshrrev_b32_e32 v5, 23, v2
	v_add3_u32 v14, v14, v4, v5
	v_add_u32_e32 v5, 14, v14
	v_and_b32_e32 v3, 0x1fffff, v3
	v_add_u32_e32 v27, v3, v2
	v_cmp_ne_u32_e32 vcc, 0, v5
                                        ; implicit-def: $vgpr2_vgpr3
                                        ; implicit-def: $vgpr4
	s_and_saveexec_b64 s[20:21], vcc
	s_xor_b64 s[20:21], exec, s[20:21]
; %bb.3532:                             ;   in Loop: Header=BB6_2990 Depth=2
	v_cmp_lt_u64_e32 vcc, s[72:73], v[27:28]
	v_add_u32_e32 v2, 15, v14
	v_cndmask_b32_e32 v4, v5, v2, vcc
	v_cndmask_b32_e64 v2, 0, 1, vcc
	v_lshrrev_b64 v[2:3], v2, v[27:28]
; %bb.3533:                             ;   in Loop: Header=BB6_2990 Depth=2
	s_andn2_saveexec_b64 s[20:21], s[20:21]
; %bb.3534:                             ;   in Loop: Header=BB6_2990 Depth=2
	v_mov_b32_e32 v2, v27
	v_mov_b32_e32 v3, v28
	v_bfe_u32 v4, v27, 23, 1
; %bb.3535:                             ;   in Loop: Header=BB6_2990 Depth=2
	s_or_b64 exec, exec, s[20:21]
	v_lshrrev_b64 v[2:3], 21, v[2:3]
	v_cmp_gt_i32_e32 vcc, 32, v4
	v_cndmask_b32_e32 v3, 0, v3, vcc
	v_cndmask_b32_e32 v2, 3, v2, vcc
	v_cmp_ne_u64_e32 vcc, 0, v[2:3]
	v_cmp_ne_u32_e64 s[20:21], 0, v4
	s_or_b64 s[20:21], s[20:21], vcc
                                        ; implicit-def: $vgpr5
	s_and_saveexec_b64 s[94:95], s[20:21]
	s_xor_b64 s[20:21], exec, s[94:95]
; %bb.3536:                             ;   in Loop: Header=BB6_2990 Depth=2
	v_min_i32_e32 v3, 31, v4
	v_lshl_or_b32 v3, v3, 2, v8
	v_and_or_b32 v5, v2, 3, v3
                                        ; implicit-def: $vgpr8
; %bb.3537:                             ;   in Loop: Header=BB6_2990 Depth=2
	s_andn2_saveexec_b64 s[20:21], s[20:21]
; %bb.3538:                             ;   in Loop: Header=BB6_2990 Depth=2
	v_mov_b32_e32 v5, v8
; %bb.3539:                             ;   in Loop: Header=BB6_2990 Depth=2
	s_or_b64 exec, exec, s[20:21]
.LBB6_3540:                             ;   in Loop: Header=BB6_2990 Depth=2
	s_or_b64 exec, exec, s[92:93]
                                        ; implicit-def: $vgpr8
.LBB6_3541:                             ;   in Loop: Header=BB6_2990 Depth=2
	s_andn2_saveexec_b64 s[20:21], s[90:91]
; %bb.3542:                             ;   in Loop: Header=BB6_2990 Depth=2
	v_or_b32_e32 v5, 0x7b, v8
; %bb.3543:                             ;   in Loop: Header=BB6_2990 Depth=2
	s_or_b64 exec, exec, s[20:21]
                                        ; implicit-def: $vgpr2
.LBB6_3544:                             ;   in Loop: Header=BB6_2990 Depth=2
	s_andn2_saveexec_b64 s[20:21], s[88:89]
	s_cbranch_execz .LBB6_3550
; %bb.3545:                             ;   in Loop: Header=BB6_2990 Depth=2
	v_cmp_ne_u64_e32 vcc, 0, v[27:28]
                                        ; implicit-def: $vgpr5
	s_and_saveexec_b64 s[88:89], vcc
	s_xor_b64 s[88:89], exec, s[88:89]
; %bb.3546:                             ;   in Loop: Header=BB6_2990 Depth=2
	v_or_b32_sdwa v5, v2, s65 dst_sel:DWORD dst_unused:UNUSED_PAD src0_sel:BYTE_3 src1_sel:DWORD
                                        ; implicit-def: $vgpr2
; %bb.3547:                             ;   in Loop: Header=BB6_2990 Depth=2
	s_andn2_saveexec_b64 s[88:89], s[88:89]
; %bb.3548:                             ;   in Loop: Header=BB6_2990 Depth=2
	v_cmp_lt_i32_e32 vcc, -1, v2
	v_mov_b32_e32 v2, 0x7c
	v_cndmask_b32_e32 v5, -4, v2, vcc
; %bb.3549:                             ;   in Loop: Header=BB6_2990 Depth=2
	s_or_b64 exec, exec, s[88:89]
.LBB6_3550:                             ;   in Loop: Header=BB6_2990 Depth=2
	s_or_b64 exec, exec, s[20:21]
	v_cmp_ne_u16_e32 vcc, 0, v56
	v_mov_b32_e32 v2, 0
	v_mov_b32_e32 v3, 0
	s_and_saveexec_b64 s[20:21], vcc
	s_cbranch_execz .LBB6_3558
; %bb.3551:                             ;   in Loop: Header=BB6_2990 Depth=2
	v_cmp_ne_u16_e32 vcc, s52, v56
	v_bfrev_b32_e32 v3, 1
	s_and_saveexec_b64 s[88:89], vcc
	s_cbranch_execz .LBB6_3557
; %bb.3552:                             ;   in Loop: Header=BB6_2990 Depth=2
	v_and_b32_e32 v3, 0x7c, v56
	v_and_b32_e32 v4, 3, v56
	v_cmp_ne_u32_e32 vcc, s53, v3
                                        ; implicit-def: $vgpr3
	s_and_saveexec_b64 s[90:91], vcc
	s_xor_b64 s[90:91], exec, s[90:91]
	s_cbranch_execz .LBB6_3554
; %bb.3553:                             ;   in Loop: Header=BB6_2990 Depth=2
	v_ffbh_u32_e32 v8, v4
	v_min_u32_e32 v8, 32, v8
	v_and_b32_e32 v3, 0xff, v56
	v_mov_b32_e32 v57, v28
	v_subrev_u32_e32 v14, 29, v8
	v_bfe_u32 v3, v3, 2, 5
	v_lshlrev_b64 v[26:27], v14, v[56:57]
	v_sub_u32_e32 v8, 30, v8
	v_cmp_eq_u32_e32 vcc, 0, v3
	v_and_b32_e32 v14, 3, v26
	v_cndmask_b32_e32 v3, v3, v8, vcc
	v_and_b32_sdwa v8, sext(v56), s54 dst_sel:DWORD dst_unused:UNUSED_PAD src0_sel:WORD_0 src1_sel:DWORD
	v_cndmask_b32_e32 v4, v4, v14, vcc
	v_lshl_add_u32 v3, v3, 23, v8
	v_lshl_or_b32 v3, v4, 21, v3
	v_add_u32_e32 v3, 0x38000000, v3
                                        ; implicit-def: $vgpr4
                                        ; implicit-def: $vgpr56
.LBB6_3554:                             ;   in Loop: Header=BB6_2990 Depth=2
	s_andn2_saveexec_b64 s[90:91], s[90:91]
; %bb.3555:                             ;   in Loop: Header=BB6_2990 Depth=2
	v_cmp_lt_i16_e32 vcc, -1, v56
	v_mov_b32_e32 v3, 0xff800000
	v_mov_b32_e32 v8, 0x7f800000
	v_cndmask_b32_e32 v3, v3, v8, vcc
	v_cmp_eq_u32_e32 vcc, 0, v4
	v_mov_b32_e32 v4, 0x7f800001
	v_cndmask_b32_e32 v3, v4, v3, vcc
; %bb.3556:                             ;   in Loop: Header=BB6_2990 Depth=2
	s_or_b64 exec, exec, s[90:91]
.LBB6_3557:                             ;   in Loop: Header=BB6_2990 Depth=2
	s_or_b64 exec, exec, s[88:89]
.LBB6_3558:                             ;   in Loop: Header=BB6_2990 Depth=2
	s_or_b64 exec, exec, s[20:21]
	v_cmp_ne_u16_e32 vcc, 0, v55
	s_and_saveexec_b64 s[20:21], vcc
	s_cbranch_execz .LBB6_3566
; %bb.3559:                             ;   in Loop: Header=BB6_2990 Depth=2
	v_cmp_ne_u16_e32 vcc, s52, v55
	v_bfrev_b32_e32 v2, 1
	s_and_saveexec_b64 s[88:89], vcc
	s_cbranch_execz .LBB6_3565
; %bb.3560:                             ;   in Loop: Header=BB6_2990 Depth=2
	v_and_b32_e32 v2, 0x7c, v55
	v_and_b32_e32 v4, 3, v55
	v_cmp_ne_u32_e32 vcc, s53, v2
                                        ; implicit-def: $vgpr2
	s_and_saveexec_b64 s[90:91], vcc
	s_xor_b64 s[90:91], exec, s[90:91]
	s_cbranch_execz .LBB6_3562
; %bb.3561:                             ;   in Loop: Header=BB6_2990 Depth=2
	v_ffbh_u32_e32 v8, v4
	v_min_u32_e32 v8, 32, v8
	v_and_b32_e32 v2, 0xff, v55
	v_mov_b32_e32 v56, v28
	v_subrev_u32_e32 v14, 29, v8
	v_bfe_u32 v2, v2, 2, 5
	v_lshlrev_b64 v[26:27], v14, v[55:56]
	v_sub_u32_e32 v8, 30, v8
	v_cmp_eq_u32_e32 vcc, 0, v2
	v_and_b32_e32 v14, 3, v26
	v_cndmask_b32_e32 v2, v2, v8, vcc
	v_and_b32_sdwa v8, sext(v55), s54 dst_sel:DWORD dst_unused:UNUSED_PAD src0_sel:WORD_0 src1_sel:DWORD
	v_cndmask_b32_e32 v4, v4, v14, vcc
	v_lshl_add_u32 v2, v2, 23, v8
	v_lshl_or_b32 v2, v4, 21, v2
	v_add_u32_e32 v2, 0x38000000, v2
                                        ; implicit-def: $vgpr4
                                        ; implicit-def: $vgpr55
.LBB6_3562:                             ;   in Loop: Header=BB6_2990 Depth=2
	s_andn2_saveexec_b64 s[90:91], s[90:91]
; %bb.3563:                             ;   in Loop: Header=BB6_2990 Depth=2
	v_cmp_lt_i16_e32 vcc, -1, v55
	v_mov_b32_e32 v2, 0xff800000
	v_mov_b32_e32 v8, 0x7f800000
	v_cndmask_b32_e32 v2, v2, v8, vcc
	v_cmp_eq_u32_e32 vcc, 0, v4
	v_mov_b32_e32 v4, 0x7f800001
	v_cndmask_b32_e32 v2, v4, v2, vcc
; %bb.3564:                             ;   in Loop: Header=BB6_2990 Depth=2
	s_or_b64 exec, exec, s[90:91]
.LBB6_3565:                             ;   in Loop: Header=BB6_2990 Depth=2
	s_or_b64 exec, exec, s[88:89]
.LBB6_3566:                             ;   in Loop: Header=BB6_2990 Depth=2
	s_or_b64 exec, exec, s[20:21]
	v_mul_f32_e32 v2, v3, v2
	v_and_b32_e32 v3, 0x7f800000, v2
	v_mov_b32_e32 v4, v28
	v_cmp_ne_u64_e32 vcc, s[60:61], v[3:4]
	v_and_b32_e32 v27, 0x7fffff, v2
                                        ; implicit-def: $vgpr8
	s_and_saveexec_b64 s[20:21], vcc
	s_xor_b64 s[88:89], exec, s[20:21]
	s_cbranch_execz .LBB6_3584
; %bb.3567:                             ;   in Loop: Header=BB6_2990 Depth=2
	v_and_b32_e32 v3, 0x7fffffff, v2
	v_mov_b32_e32 v4, v28
	v_cmp_gt_u64_e32 vcc, s[62:63], v[3:4]
	v_and_b32_sdwa v14, v2, s55 dst_sel:DWORD dst_unused:UNUSED_PAD src0_sel:BYTE_3 src1_sel:DWORD
                                        ; implicit-def: $vgpr8
	s_and_saveexec_b64 s[20:21], vcc
	s_xor_b64 s[90:91], exec, s[20:21]
	s_cbranch_execz .LBB6_3581
; %bb.3568:                             ;   in Loop: Header=BB6_2990 Depth=2
	v_cmp_ne_u32_e32 vcc, 0, v2
	v_mov_b32_e32 v8, 0
	s_and_saveexec_b64 s[92:93], vcc
	s_cbranch_execz .LBB6_3580
; %bb.3569:                             ;   in Loop: Header=BB6_2990 Depth=2
	v_bfe_u32 v8, v2, 23, 8
	v_cmp_gt_u32_e64 s[20:21], s64, v8
	v_sub_u32_e32 v2, 0x71, v8
	v_cmp_eq_u32_e32 vcc, 0, v8
	v_cndmask_b32_e64 v2, 0, v2, s[20:21]
	v_mov_b32_e32 v4, 0x70
	v_cndmask_b32_e32 v16, v2, v4, vcc
	v_or_b32_e32 v3, 0x800000, v27
	v_add_u32_e32 v4, 21, v16
	v_cndmask_b32_e32 v2, v3, v27, vcc
	v_lshlrev_b64 v[26:27], v4, -1
	v_mov_b32_e32 v3, v28
	v_add_u32_e32 v4, 20, v16
	v_bfi_b32 v26, v26, 0, v2
	v_lshlrev_b64 v[33:34], v4, 1
	v_lshrrev_b64 v[2:3], v16, v[2:3]
	v_bfi_b32 v27, v27, 0, 0
	v_cmp_eq_u64_e64 s[20:21], v[26:27], v[33:34]
	v_mov_b32_e32 v4, v3
	v_mov_b32_e32 v3, v2
	s_and_saveexec_b64 s[94:95], s[20:21]
; %bb.3570:                             ;   in Loop: Header=BB6_2990 Depth=2
	v_bfe_u32 v3, v2, 21, 1
	v_add_co_u32_e64 v3, s[20:21], v2, v3
	v_add_co_u32_e64 v3, s[20:21], -1, v3
; %bb.3571:                             ;   in Loop: Header=BB6_2990 Depth=2
	s_or_b64 exec, exec, s[94:95]
	v_add_u32_e32 v4, 0xffffff81, v8
	v_mov_b32_e32 v8, 0xffffff82
	v_cndmask_b32_e32 v4, v4, v8, vcc
	v_lshrrev_b32_e32 v8, 23, v2
	v_add3_u32 v16, v16, v4, v8
	v_add_u32_e32 v8, 14, v16
	v_and_b32_e32 v3, 0x1fffff, v3
	v_add_u32_e32 v27, v3, v2
	v_cmp_ne_u32_e32 vcc, 0, v8
                                        ; implicit-def: $vgpr2_vgpr3
                                        ; implicit-def: $vgpr4
	s_and_saveexec_b64 s[20:21], vcc
	s_xor_b64 s[20:21], exec, s[20:21]
; %bb.3572:                             ;   in Loop: Header=BB6_2990 Depth=2
	v_cmp_lt_u64_e32 vcc, s[72:73], v[27:28]
	v_add_u32_e32 v2, 15, v16
	v_cndmask_b32_e32 v4, v8, v2, vcc
	v_cndmask_b32_e64 v2, 0, 1, vcc
	v_lshrrev_b64 v[2:3], v2, v[27:28]
; %bb.3573:                             ;   in Loop: Header=BB6_2990 Depth=2
	s_andn2_saveexec_b64 s[20:21], s[20:21]
; %bb.3574:                             ;   in Loop: Header=BB6_2990 Depth=2
	v_mov_b32_e32 v2, v27
	v_mov_b32_e32 v3, v28
	v_bfe_u32 v4, v27, 23, 1
; %bb.3575:                             ;   in Loop: Header=BB6_2990 Depth=2
	s_or_b64 exec, exec, s[20:21]
	v_lshrrev_b64 v[2:3], 21, v[2:3]
	v_cmp_gt_i32_e32 vcc, 32, v4
	v_cndmask_b32_e32 v3, 0, v3, vcc
	v_cndmask_b32_e32 v2, 3, v2, vcc
	v_cmp_ne_u64_e32 vcc, 0, v[2:3]
	v_cmp_ne_u32_e64 s[20:21], 0, v4
	s_or_b64 s[20:21], s[20:21], vcc
                                        ; implicit-def: $vgpr8
	s_and_saveexec_b64 s[94:95], s[20:21]
	s_xor_b64 s[20:21], exec, s[94:95]
; %bb.3576:                             ;   in Loop: Header=BB6_2990 Depth=2
	v_min_i32_e32 v3, 31, v4
	v_lshl_or_b32 v3, v3, 2, v14
	v_and_or_b32 v8, v2, 3, v3
                                        ; implicit-def: $vgpr14
; %bb.3577:                             ;   in Loop: Header=BB6_2990 Depth=2
	s_andn2_saveexec_b64 s[20:21], s[20:21]
; %bb.3578:                             ;   in Loop: Header=BB6_2990 Depth=2
	v_mov_b32_e32 v8, v14
; %bb.3579:                             ;   in Loop: Header=BB6_2990 Depth=2
	s_or_b64 exec, exec, s[20:21]
.LBB6_3580:                             ;   in Loop: Header=BB6_2990 Depth=2
	s_or_b64 exec, exec, s[92:93]
                                        ; implicit-def: $vgpr14
.LBB6_3581:                             ;   in Loop: Header=BB6_2990 Depth=2
	s_andn2_saveexec_b64 s[20:21], s[90:91]
; %bb.3582:                             ;   in Loop: Header=BB6_2990 Depth=2
	v_or_b32_e32 v8, 0x7b, v14
; %bb.3583:                             ;   in Loop: Header=BB6_2990 Depth=2
	s_or_b64 exec, exec, s[20:21]
                                        ; implicit-def: $vgpr2
.LBB6_3584:                             ;   in Loop: Header=BB6_2990 Depth=2
	s_andn2_saveexec_b64 s[20:21], s[88:89]
	s_cbranch_execz .LBB6_3590
; %bb.3585:                             ;   in Loop: Header=BB6_2990 Depth=2
	v_cmp_ne_u64_e32 vcc, 0, v[27:28]
                                        ; implicit-def: $vgpr8
	s_and_saveexec_b64 s[88:89], vcc
	s_xor_b64 s[88:89], exec, s[88:89]
; %bb.3586:                             ;   in Loop: Header=BB6_2990 Depth=2
	v_or_b32_sdwa v8, v2, s65 dst_sel:DWORD dst_unused:UNUSED_PAD src0_sel:BYTE_3 src1_sel:DWORD
                                        ; implicit-def: $vgpr2
; %bb.3587:                             ;   in Loop: Header=BB6_2990 Depth=2
	s_andn2_saveexec_b64 s[88:89], s[88:89]
; %bb.3588:                             ;   in Loop: Header=BB6_2990 Depth=2
	v_cmp_lt_i32_e32 vcc, -1, v2
	v_mov_b32_e32 v2, 0x7c
	v_cndmask_b32_e32 v8, -4, v2, vcc
; %bb.3589:                             ;   in Loop: Header=BB6_2990 Depth=2
	s_or_b64 exec, exec, s[88:89]
.LBB6_3590:                             ;   in Loop: Header=BB6_2990 Depth=2
	s_or_b64 exec, exec, s[20:21]
	v_cmp_ne_u16_e32 vcc, 0, v54
	v_mov_b32_e32 v2, 0
	v_mov_b32_e32 v3, 0
	s_and_saveexec_b64 s[20:21], vcc
	s_cbranch_execz .LBB6_3598
; %bb.3591:                             ;   in Loop: Header=BB6_2990 Depth=2
	v_cmp_ne_u16_e32 vcc, s52, v54
	v_bfrev_b32_e32 v3, 1
	s_and_saveexec_b64 s[88:89], vcc
	s_cbranch_execz .LBB6_3597
; %bb.3592:                             ;   in Loop: Header=BB6_2990 Depth=2
	v_and_b32_e32 v3, 0x7c, v54
	v_and_b32_e32 v4, 3, v54
	v_cmp_ne_u32_e32 vcc, s53, v3
                                        ; implicit-def: $vgpr3
	s_and_saveexec_b64 s[90:91], vcc
	s_xor_b64 s[90:91], exec, s[90:91]
	s_cbranch_execz .LBB6_3594
; %bb.3593:                             ;   in Loop: Header=BB6_2990 Depth=2
	v_ffbh_u32_e32 v14, v4
	v_min_u32_e32 v14, 32, v14
	v_and_b32_e32 v3, 0xff, v54
	v_mov_b32_e32 v55, v28
	v_subrev_u32_e32 v16, 29, v14
	v_bfe_u32 v3, v3, 2, 5
	v_lshlrev_b64 v[26:27], v16, v[54:55]
	v_sub_u32_e32 v14, 30, v14
	v_cmp_eq_u32_e32 vcc, 0, v3
	v_and_b32_e32 v16, 3, v26
	v_cndmask_b32_e32 v3, v3, v14, vcc
	v_and_b32_sdwa v14, sext(v54), s54 dst_sel:DWORD dst_unused:UNUSED_PAD src0_sel:WORD_0 src1_sel:DWORD
	v_cndmask_b32_e32 v4, v4, v16, vcc
	v_lshl_add_u32 v3, v3, 23, v14
	v_lshl_or_b32 v3, v4, 21, v3
	v_add_u32_e32 v3, 0x38000000, v3
                                        ; implicit-def: $vgpr4
                                        ; implicit-def: $vgpr54
.LBB6_3594:                             ;   in Loop: Header=BB6_2990 Depth=2
	s_andn2_saveexec_b64 s[90:91], s[90:91]
; %bb.3595:                             ;   in Loop: Header=BB6_2990 Depth=2
	v_cmp_lt_i16_e32 vcc, -1, v54
	v_mov_b32_e32 v3, 0xff800000
	v_mov_b32_e32 v14, 0x7f800000
	v_cndmask_b32_e32 v3, v3, v14, vcc
	v_cmp_eq_u32_e32 vcc, 0, v4
	v_mov_b32_e32 v4, 0x7f800001
	v_cndmask_b32_e32 v3, v4, v3, vcc
; %bb.3596:                             ;   in Loop: Header=BB6_2990 Depth=2
	s_or_b64 exec, exec, s[90:91]
.LBB6_3597:                             ;   in Loop: Header=BB6_2990 Depth=2
	s_or_b64 exec, exec, s[88:89]
.LBB6_3598:                             ;   in Loop: Header=BB6_2990 Depth=2
	s_or_b64 exec, exec, s[20:21]
	v_cmp_ne_u16_e32 vcc, 0, v53
	s_and_saveexec_b64 s[20:21], vcc
	s_cbranch_execz .LBB6_3606
; %bb.3599:                             ;   in Loop: Header=BB6_2990 Depth=2
	v_cmp_ne_u16_e32 vcc, s52, v53
	v_bfrev_b32_e32 v2, 1
	s_and_saveexec_b64 s[88:89], vcc
	s_cbranch_execz .LBB6_3605
; %bb.3600:                             ;   in Loop: Header=BB6_2990 Depth=2
	v_and_b32_e32 v2, 0x7c, v53
	v_and_b32_e32 v4, 3, v53
	v_cmp_ne_u32_e32 vcc, s53, v2
                                        ; implicit-def: $vgpr2
	s_and_saveexec_b64 s[90:91], vcc
	s_xor_b64 s[90:91], exec, s[90:91]
	s_cbranch_execz .LBB6_3602
; %bb.3601:                             ;   in Loop: Header=BB6_2990 Depth=2
	v_ffbh_u32_e32 v14, v4
	v_min_u32_e32 v14, 32, v14
	v_and_b32_e32 v2, 0xff, v53
	v_mov_b32_e32 v54, v28
	v_subrev_u32_e32 v16, 29, v14
	v_bfe_u32 v2, v2, 2, 5
	v_lshlrev_b64 v[26:27], v16, v[53:54]
	v_sub_u32_e32 v14, 30, v14
	v_cmp_eq_u32_e32 vcc, 0, v2
	v_and_b32_e32 v16, 3, v26
	v_cndmask_b32_e32 v2, v2, v14, vcc
	v_and_b32_sdwa v14, sext(v53), s54 dst_sel:DWORD dst_unused:UNUSED_PAD src0_sel:WORD_0 src1_sel:DWORD
	v_cndmask_b32_e32 v4, v4, v16, vcc
	v_lshl_add_u32 v2, v2, 23, v14
	v_lshl_or_b32 v2, v4, 21, v2
	v_add_u32_e32 v2, 0x38000000, v2
                                        ; implicit-def: $vgpr4
                                        ; implicit-def: $vgpr53
.LBB6_3602:                             ;   in Loop: Header=BB6_2990 Depth=2
	s_andn2_saveexec_b64 s[90:91], s[90:91]
; %bb.3603:                             ;   in Loop: Header=BB6_2990 Depth=2
	v_cmp_lt_i16_e32 vcc, -1, v53
	v_mov_b32_e32 v2, 0xff800000
	v_mov_b32_e32 v14, 0x7f800000
	v_cndmask_b32_e32 v2, v2, v14, vcc
	v_cmp_eq_u32_e32 vcc, 0, v4
	v_mov_b32_e32 v4, 0x7f800001
	v_cndmask_b32_e32 v2, v4, v2, vcc
; %bb.3604:                             ;   in Loop: Header=BB6_2990 Depth=2
	s_or_b64 exec, exec, s[90:91]
.LBB6_3605:                             ;   in Loop: Header=BB6_2990 Depth=2
	s_or_b64 exec, exec, s[88:89]
.LBB6_3606:                             ;   in Loop: Header=BB6_2990 Depth=2
	s_or_b64 exec, exec, s[20:21]
	v_mul_f32_e32 v2, v3, v2
	v_and_b32_e32 v3, 0x7f800000, v2
	v_mov_b32_e32 v4, v28
	v_cmp_ne_u64_e32 vcc, s[60:61], v[3:4]
	v_and_b32_e32 v27, 0x7fffff, v2
                                        ; implicit-def: $vgpr14
	s_and_saveexec_b64 s[20:21], vcc
	s_xor_b64 s[88:89], exec, s[20:21]
	s_cbranch_execz .LBB6_3624
; %bb.3607:                             ;   in Loop: Header=BB6_2990 Depth=2
	v_and_b32_e32 v3, 0x7fffffff, v2
	v_mov_b32_e32 v4, v28
	v_cmp_gt_u64_e32 vcc, s[62:63], v[3:4]
	v_and_b32_sdwa v16, v2, s55 dst_sel:DWORD dst_unused:UNUSED_PAD src0_sel:BYTE_3 src1_sel:DWORD
                                        ; implicit-def: $vgpr14
	s_and_saveexec_b64 s[20:21], vcc
	s_xor_b64 s[90:91], exec, s[20:21]
	s_cbranch_execz .LBB6_3621
; %bb.3608:                             ;   in Loop: Header=BB6_2990 Depth=2
	v_cmp_ne_u32_e32 vcc, 0, v2
	v_mov_b32_e32 v14, 0
	s_and_saveexec_b64 s[92:93], vcc
	s_cbranch_execz .LBB6_3620
; %bb.3609:                             ;   in Loop: Header=BB6_2990 Depth=2
	v_bfe_u32 v14, v2, 23, 8
	v_cmp_gt_u32_e64 s[20:21], s64, v14
	v_sub_u32_e32 v2, 0x71, v14
	v_cmp_eq_u32_e32 vcc, 0, v14
	v_cndmask_b32_e64 v2, 0, v2, s[20:21]
	v_mov_b32_e32 v4, 0x70
	v_cndmask_b32_e32 v20, v2, v4, vcc
	v_or_b32_e32 v3, 0x800000, v27
	v_add_u32_e32 v4, 21, v20
	v_cndmask_b32_e32 v2, v3, v27, vcc
	v_lshlrev_b64 v[26:27], v4, -1
	v_mov_b32_e32 v3, v28
	v_add_u32_e32 v4, 20, v20
	v_bfi_b32 v26, v26, 0, v2
	v_lshlrev_b64 v[33:34], v4, 1
	v_lshrrev_b64 v[2:3], v20, v[2:3]
	v_bfi_b32 v27, v27, 0, 0
	v_cmp_eq_u64_e64 s[20:21], v[26:27], v[33:34]
	v_mov_b32_e32 v4, v3
	v_mov_b32_e32 v3, v2
	s_and_saveexec_b64 s[94:95], s[20:21]
; %bb.3610:                             ;   in Loop: Header=BB6_2990 Depth=2
	v_bfe_u32 v3, v2, 21, 1
	v_add_co_u32_e64 v3, s[20:21], v2, v3
	v_add_co_u32_e64 v3, s[20:21], -1, v3
; %bb.3611:                             ;   in Loop: Header=BB6_2990 Depth=2
	s_or_b64 exec, exec, s[94:95]
	v_add_u32_e32 v4, 0xffffff81, v14
	v_mov_b32_e32 v14, 0xffffff82
	v_cndmask_b32_e32 v4, v4, v14, vcc
	v_lshrrev_b32_e32 v14, 23, v2
	v_add3_u32 v20, v20, v4, v14
	v_add_u32_e32 v14, 14, v20
	v_and_b32_e32 v3, 0x1fffff, v3
	v_add_u32_e32 v27, v3, v2
	v_cmp_ne_u32_e32 vcc, 0, v14
                                        ; implicit-def: $vgpr2_vgpr3
                                        ; implicit-def: $vgpr4
	s_and_saveexec_b64 s[20:21], vcc
	s_xor_b64 s[20:21], exec, s[20:21]
; %bb.3612:                             ;   in Loop: Header=BB6_2990 Depth=2
	v_cmp_lt_u64_e32 vcc, s[72:73], v[27:28]
	v_add_u32_e32 v2, 15, v20
	v_cndmask_b32_e32 v4, v14, v2, vcc
	v_cndmask_b32_e64 v2, 0, 1, vcc
	v_lshrrev_b64 v[2:3], v2, v[27:28]
; %bb.3613:                             ;   in Loop: Header=BB6_2990 Depth=2
	s_andn2_saveexec_b64 s[20:21], s[20:21]
; %bb.3614:                             ;   in Loop: Header=BB6_2990 Depth=2
	v_mov_b32_e32 v2, v27
	v_mov_b32_e32 v3, v28
	v_bfe_u32 v4, v27, 23, 1
; %bb.3615:                             ;   in Loop: Header=BB6_2990 Depth=2
	s_or_b64 exec, exec, s[20:21]
	v_lshrrev_b64 v[2:3], 21, v[2:3]
	v_cmp_gt_i32_e32 vcc, 32, v4
	v_cndmask_b32_e32 v3, 0, v3, vcc
	v_cndmask_b32_e32 v2, 3, v2, vcc
	v_cmp_ne_u64_e32 vcc, 0, v[2:3]
	v_cmp_ne_u32_e64 s[20:21], 0, v4
	s_or_b64 s[20:21], s[20:21], vcc
                                        ; implicit-def: $vgpr14
	s_and_saveexec_b64 s[94:95], s[20:21]
	s_xor_b64 s[20:21], exec, s[94:95]
; %bb.3616:                             ;   in Loop: Header=BB6_2990 Depth=2
	v_min_i32_e32 v3, 31, v4
	v_lshl_or_b32 v3, v3, 2, v16
	v_and_or_b32 v14, v2, 3, v3
                                        ; implicit-def: $vgpr16
; %bb.3617:                             ;   in Loop: Header=BB6_2990 Depth=2
	s_andn2_saveexec_b64 s[20:21], s[20:21]
; %bb.3618:                             ;   in Loop: Header=BB6_2990 Depth=2
	v_mov_b32_e32 v14, v16
; %bb.3619:                             ;   in Loop: Header=BB6_2990 Depth=2
	s_or_b64 exec, exec, s[20:21]
.LBB6_3620:                             ;   in Loop: Header=BB6_2990 Depth=2
	s_or_b64 exec, exec, s[92:93]
                                        ; implicit-def: $vgpr16
.LBB6_3621:                             ;   in Loop: Header=BB6_2990 Depth=2
	s_andn2_saveexec_b64 s[20:21], s[90:91]
; %bb.3622:                             ;   in Loop: Header=BB6_2990 Depth=2
	v_or_b32_e32 v14, 0x7b, v16
; %bb.3623:                             ;   in Loop: Header=BB6_2990 Depth=2
	s_or_b64 exec, exec, s[20:21]
                                        ; implicit-def: $vgpr2
.LBB6_3624:                             ;   in Loop: Header=BB6_2990 Depth=2
	s_andn2_saveexec_b64 s[20:21], s[88:89]
	s_cbranch_execz .LBB6_3630
; %bb.3625:                             ;   in Loop: Header=BB6_2990 Depth=2
	v_cmp_ne_u64_e32 vcc, 0, v[27:28]
                                        ; implicit-def: $vgpr14
	s_and_saveexec_b64 s[88:89], vcc
	s_xor_b64 s[88:89], exec, s[88:89]
; %bb.3626:                             ;   in Loop: Header=BB6_2990 Depth=2
	v_or_b32_sdwa v14, v2, s65 dst_sel:DWORD dst_unused:UNUSED_PAD src0_sel:BYTE_3 src1_sel:DWORD
                                        ; implicit-def: $vgpr2
; %bb.3627:                             ;   in Loop: Header=BB6_2990 Depth=2
	s_andn2_saveexec_b64 s[88:89], s[88:89]
; %bb.3628:                             ;   in Loop: Header=BB6_2990 Depth=2
	v_cmp_lt_i32_e32 vcc, -1, v2
	v_mov_b32_e32 v2, 0x7c
	v_cndmask_b32_e32 v14, -4, v2, vcc
; %bb.3629:                             ;   in Loop: Header=BB6_2990 Depth=2
	s_or_b64 exec, exec, s[88:89]
.LBB6_3630:                             ;   in Loop: Header=BB6_2990 Depth=2
	s_or_b64 exec, exec, s[20:21]
	v_cmp_ne_u16_e32 vcc, 0, v29
	v_mov_b32_e32 v2, 0
	v_mov_b32_e32 v3, 0
	s_and_saveexec_b64 s[20:21], vcc
	s_cbranch_execz .LBB6_3638
; %bb.3631:                             ;   in Loop: Header=BB6_2990 Depth=2
	v_cmp_ne_u16_e32 vcc, s52, v29
	v_bfrev_b32_e32 v3, 1
	s_and_saveexec_b64 s[88:89], vcc
	s_cbranch_execz .LBB6_3637
; %bb.3632:                             ;   in Loop: Header=BB6_2990 Depth=2
	v_and_b32_e32 v3, 0x7c, v29
	v_and_b32_e32 v4, 3, v29
	v_cmp_ne_u32_e32 vcc, s53, v3
                                        ; implicit-def: $vgpr3
	s_and_saveexec_b64 s[90:91], vcc
	s_xor_b64 s[90:91], exec, s[90:91]
	s_cbranch_execz .LBB6_3634
; %bb.3633:                             ;   in Loop: Header=BB6_2990 Depth=2
	v_ffbh_u32_e32 v16, v4
	v_min_u32_e32 v16, 32, v16
	v_and_b32_e32 v3, 0xff, v29
	v_mov_b32_e32 v30, v28
	v_subrev_u32_e32 v20, 29, v16
	v_bfe_u32 v3, v3, 2, 5
	v_lshlrev_b64 v[26:27], v20, v[29:30]
	v_sub_u32_e32 v16, 30, v16
	v_cmp_eq_u32_e32 vcc, 0, v3
	v_and_b32_e32 v20, 3, v26
	v_cndmask_b32_e32 v3, v3, v16, vcc
	v_and_b32_sdwa v16, sext(v29), s54 dst_sel:DWORD dst_unused:UNUSED_PAD src0_sel:WORD_0 src1_sel:DWORD
	v_cndmask_b32_e32 v4, v4, v20, vcc
	v_lshl_add_u32 v3, v3, 23, v16
	v_lshl_or_b32 v3, v4, 21, v3
	v_add_u32_e32 v3, 0x38000000, v3
                                        ; implicit-def: $vgpr4
                                        ; implicit-def: $vgpr29
.LBB6_3634:                             ;   in Loop: Header=BB6_2990 Depth=2
	s_andn2_saveexec_b64 s[90:91], s[90:91]
; %bb.3635:                             ;   in Loop: Header=BB6_2990 Depth=2
	v_cmp_lt_i16_e32 vcc, -1, v29
	v_mov_b32_e32 v3, 0xff800000
	v_mov_b32_e32 v16, 0x7f800000
	v_cndmask_b32_e32 v3, v3, v16, vcc
	v_cmp_eq_u32_e32 vcc, 0, v4
	v_mov_b32_e32 v4, 0x7f800001
	v_cndmask_b32_e32 v3, v4, v3, vcc
; %bb.3636:                             ;   in Loop: Header=BB6_2990 Depth=2
	s_or_b64 exec, exec, s[90:91]
.LBB6_3637:                             ;   in Loop: Header=BB6_2990 Depth=2
	s_or_b64 exec, exec, s[88:89]
.LBB6_3638:                             ;   in Loop: Header=BB6_2990 Depth=2
	s_or_b64 exec, exec, s[20:21]
	v_cmp_ne_u16_e32 vcc, 0, v42
	s_and_saveexec_b64 s[20:21], vcc
	s_cbranch_execz .LBB6_3646
; %bb.3639:                             ;   in Loop: Header=BB6_2990 Depth=2
	v_cmp_ne_u16_e32 vcc, s52, v42
	v_bfrev_b32_e32 v2, 1
	s_and_saveexec_b64 s[88:89], vcc
	s_cbranch_execz .LBB6_3645
; %bb.3640:                             ;   in Loop: Header=BB6_2990 Depth=2
	v_and_b32_e32 v2, 0x7c, v42
	v_and_b32_e32 v4, 3, v42
	v_cmp_ne_u32_e32 vcc, s53, v2
                                        ; implicit-def: $vgpr2
	s_and_saveexec_b64 s[90:91], vcc
	s_xor_b64 s[90:91], exec, s[90:91]
	s_cbranch_execz .LBB6_3642
; %bb.3641:                             ;   in Loop: Header=BB6_2990 Depth=2
	v_ffbh_u32_e32 v16, v4
	v_min_u32_e32 v16, 32, v16
	v_and_b32_e32 v2, 0xff, v42
	v_mov_b32_e32 v43, v28
	v_subrev_u32_e32 v20, 29, v16
	v_bfe_u32 v2, v2, 2, 5
	v_lshlrev_b64 v[26:27], v20, v[42:43]
	v_sub_u32_e32 v16, 30, v16
	v_cmp_eq_u32_e32 vcc, 0, v2
	v_and_b32_e32 v20, 3, v26
	v_cndmask_b32_e32 v2, v2, v16, vcc
	v_and_b32_sdwa v16, sext(v42), s54 dst_sel:DWORD dst_unused:UNUSED_PAD src0_sel:WORD_0 src1_sel:DWORD
	v_cndmask_b32_e32 v4, v4, v20, vcc
	v_lshl_add_u32 v2, v2, 23, v16
	v_lshl_or_b32 v2, v4, 21, v2
	v_add_u32_e32 v2, 0x38000000, v2
                                        ; implicit-def: $vgpr4
                                        ; implicit-def: $vgpr42
.LBB6_3642:                             ;   in Loop: Header=BB6_2990 Depth=2
	s_andn2_saveexec_b64 s[90:91], s[90:91]
; %bb.3643:                             ;   in Loop: Header=BB6_2990 Depth=2
	v_cmp_lt_i16_e32 vcc, -1, v42
	v_mov_b32_e32 v2, 0xff800000
	v_mov_b32_e32 v16, 0x7f800000
	v_cndmask_b32_e32 v2, v2, v16, vcc
	v_cmp_eq_u32_e32 vcc, 0, v4
	v_mov_b32_e32 v4, 0x7f800001
	v_cndmask_b32_e32 v2, v4, v2, vcc
; %bb.3644:                             ;   in Loop: Header=BB6_2990 Depth=2
	s_or_b64 exec, exec, s[90:91]
.LBB6_3645:                             ;   in Loop: Header=BB6_2990 Depth=2
	s_or_b64 exec, exec, s[88:89]
.LBB6_3646:                             ;   in Loop: Header=BB6_2990 Depth=2
	s_or_b64 exec, exec, s[20:21]
	v_mul_f32_e32 v2, v3, v2
	v_and_b32_e32 v3, 0x7f800000, v2
	v_mov_b32_e32 v4, v28
	v_cmp_ne_u64_e32 vcc, s[60:61], v[3:4]
	v_and_b32_e32 v27, 0x7fffff, v2
                                        ; implicit-def: $vgpr16
	s_and_saveexec_b64 s[20:21], vcc
	s_xor_b64 s[88:89], exec, s[20:21]
	s_cbranch_execz .LBB6_3664
; %bb.3647:                             ;   in Loop: Header=BB6_2990 Depth=2
	v_and_b32_e32 v3, 0x7fffffff, v2
	v_mov_b32_e32 v4, v28
	v_cmp_gt_u64_e32 vcc, s[62:63], v[3:4]
	v_and_b32_sdwa v20, v2, s55 dst_sel:DWORD dst_unused:UNUSED_PAD src0_sel:BYTE_3 src1_sel:DWORD
                                        ; implicit-def: $vgpr16
	s_and_saveexec_b64 s[20:21], vcc
	s_xor_b64 s[90:91], exec, s[20:21]
	s_cbranch_execz .LBB6_3661
; %bb.3648:                             ;   in Loop: Header=BB6_2990 Depth=2
	v_cmp_ne_u32_e32 vcc, 0, v2
	v_mov_b32_e32 v16, 0
	s_and_saveexec_b64 s[92:93], vcc
	s_cbranch_execz .LBB6_3660
; %bb.3649:                             ;   in Loop: Header=BB6_2990 Depth=2
	v_bfe_u32 v16, v2, 23, 8
	v_cmp_gt_u32_e64 s[20:21], s64, v16
	v_sub_u32_e32 v2, 0x71, v16
	v_cmp_eq_u32_e32 vcc, 0, v16
	v_cndmask_b32_e64 v2, 0, v2, s[20:21]
	v_mov_b32_e32 v4, 0x70
	v_cndmask_b32_e32 v22, v2, v4, vcc
	v_or_b32_e32 v3, 0x800000, v27
	v_add_u32_e32 v4, 21, v22
	v_cndmask_b32_e32 v2, v3, v27, vcc
	v_lshlrev_b64 v[26:27], v4, -1
	v_mov_b32_e32 v3, v28
	v_add_u32_e32 v4, 20, v22
	v_bfi_b32 v26, v26, 0, v2
	v_lshlrev_b64 v[29:30], v4, 1
	v_lshrrev_b64 v[2:3], v22, v[2:3]
	v_bfi_b32 v27, v27, 0, 0
	v_cmp_eq_u64_e64 s[20:21], v[26:27], v[29:30]
	v_mov_b32_e32 v4, v3
	v_mov_b32_e32 v3, v2
	s_and_saveexec_b64 s[94:95], s[20:21]
; %bb.3650:                             ;   in Loop: Header=BB6_2990 Depth=2
	v_bfe_u32 v3, v2, 21, 1
	v_add_co_u32_e64 v3, s[20:21], v2, v3
	v_add_co_u32_e64 v3, s[20:21], -1, v3
; %bb.3651:                             ;   in Loop: Header=BB6_2990 Depth=2
	s_or_b64 exec, exec, s[94:95]
	v_add_u32_e32 v4, 0xffffff81, v16
	v_mov_b32_e32 v16, 0xffffff82
	v_cndmask_b32_e32 v4, v4, v16, vcc
	v_lshrrev_b32_e32 v16, 23, v2
	v_add3_u32 v22, v22, v4, v16
	v_add_u32_e32 v16, 14, v22
	v_and_b32_e32 v3, 0x1fffff, v3
	v_add_u32_e32 v27, v3, v2
	v_cmp_ne_u32_e32 vcc, 0, v16
                                        ; implicit-def: $vgpr2_vgpr3
                                        ; implicit-def: $vgpr4
	s_and_saveexec_b64 s[20:21], vcc
	s_xor_b64 s[20:21], exec, s[20:21]
; %bb.3652:                             ;   in Loop: Header=BB6_2990 Depth=2
	v_cmp_lt_u64_e32 vcc, s[72:73], v[27:28]
	v_add_u32_e32 v2, 15, v22
	v_cndmask_b32_e32 v4, v16, v2, vcc
	v_cndmask_b32_e64 v2, 0, 1, vcc
	v_lshrrev_b64 v[2:3], v2, v[27:28]
; %bb.3653:                             ;   in Loop: Header=BB6_2990 Depth=2
	s_andn2_saveexec_b64 s[20:21], s[20:21]
; %bb.3654:                             ;   in Loop: Header=BB6_2990 Depth=2
	v_mov_b32_e32 v2, v27
	v_mov_b32_e32 v3, v28
	v_bfe_u32 v4, v27, 23, 1
; %bb.3655:                             ;   in Loop: Header=BB6_2990 Depth=2
	s_or_b64 exec, exec, s[20:21]
	v_lshrrev_b64 v[2:3], 21, v[2:3]
	v_cmp_gt_i32_e32 vcc, 32, v4
	v_cndmask_b32_e32 v3, 0, v3, vcc
	v_cndmask_b32_e32 v2, 3, v2, vcc
	v_cmp_ne_u64_e32 vcc, 0, v[2:3]
	v_cmp_ne_u32_e64 s[20:21], 0, v4
	s_or_b64 s[20:21], s[20:21], vcc
                                        ; implicit-def: $vgpr16
	s_and_saveexec_b64 s[94:95], s[20:21]
	s_xor_b64 s[20:21], exec, s[94:95]
; %bb.3656:                             ;   in Loop: Header=BB6_2990 Depth=2
	v_min_i32_e32 v3, 31, v4
	v_lshl_or_b32 v3, v3, 2, v20
	v_and_or_b32 v16, v2, 3, v3
                                        ; implicit-def: $vgpr20
; %bb.3657:                             ;   in Loop: Header=BB6_2990 Depth=2
	s_andn2_saveexec_b64 s[20:21], s[20:21]
; %bb.3658:                             ;   in Loop: Header=BB6_2990 Depth=2
	v_mov_b32_e32 v16, v20
; %bb.3659:                             ;   in Loop: Header=BB6_2990 Depth=2
	s_or_b64 exec, exec, s[20:21]
.LBB6_3660:                             ;   in Loop: Header=BB6_2990 Depth=2
	s_or_b64 exec, exec, s[92:93]
                                        ; implicit-def: $vgpr20
.LBB6_3661:                             ;   in Loop: Header=BB6_2990 Depth=2
	s_andn2_saveexec_b64 s[20:21], s[90:91]
; %bb.3662:                             ;   in Loop: Header=BB6_2990 Depth=2
	v_or_b32_e32 v16, 0x7b, v20
; %bb.3663:                             ;   in Loop: Header=BB6_2990 Depth=2
	s_or_b64 exec, exec, s[20:21]
                                        ; implicit-def: $vgpr2
.LBB6_3664:                             ;   in Loop: Header=BB6_2990 Depth=2
	s_andn2_saveexec_b64 s[20:21], s[88:89]
	s_cbranch_execz .LBB6_3670
; %bb.3665:                             ;   in Loop: Header=BB6_2990 Depth=2
	v_cmp_ne_u64_e32 vcc, 0, v[27:28]
                                        ; implicit-def: $vgpr16
	s_and_saveexec_b64 s[88:89], vcc
	s_xor_b64 s[88:89], exec, s[88:89]
; %bb.3666:                             ;   in Loop: Header=BB6_2990 Depth=2
	v_or_b32_sdwa v16, v2, s65 dst_sel:DWORD dst_unused:UNUSED_PAD src0_sel:BYTE_3 src1_sel:DWORD
                                        ; implicit-def: $vgpr2
; %bb.3667:                             ;   in Loop: Header=BB6_2990 Depth=2
	s_andn2_saveexec_b64 s[88:89], s[88:89]
; %bb.3668:                             ;   in Loop: Header=BB6_2990 Depth=2
	v_cmp_lt_i32_e32 vcc, -1, v2
	v_mov_b32_e32 v2, 0x7c
	v_cndmask_b32_e32 v16, -4, v2, vcc
; %bb.3669:                             ;   in Loop: Header=BB6_2990 Depth=2
	s_or_b64 exec, exec, s[88:89]
.LBB6_3670:                             ;   in Loop: Header=BB6_2990 Depth=2
	s_or_b64 exec, exec, s[20:21]
	v_cmp_ne_u16_e32 vcc, 0, v59
	v_mov_b32_e32 v2, 0
	v_mov_b32_e32 v3, 0
	s_and_saveexec_b64 s[20:21], vcc
	s_cbranch_execz .LBB6_3678
; %bb.3671:                             ;   in Loop: Header=BB6_2990 Depth=2
	v_cmp_ne_u16_e32 vcc, s52, v59
	v_bfrev_b32_e32 v3, 1
	s_and_saveexec_b64 s[88:89], vcc
	s_cbranch_execz .LBB6_3677
; %bb.3672:                             ;   in Loop: Header=BB6_2990 Depth=2
	v_and_b32_e32 v3, 0x7c, v59
	v_and_b32_e32 v4, 3, v59
	v_cmp_ne_u32_e32 vcc, s53, v3
                                        ; implicit-def: $vgpr3
	s_and_saveexec_b64 s[90:91], vcc
	s_xor_b64 s[90:91], exec, s[90:91]
	s_cbranch_execz .LBB6_3674
; %bb.3673:                             ;   in Loop: Header=BB6_2990 Depth=2
	v_ffbh_u32_e32 v20, v4
	v_min_u32_e32 v20, 32, v20
	v_and_b32_e32 v3, 0xff, v59
	v_mov_b32_e32 v60, v28
	v_subrev_u32_e32 v22, 29, v20
	v_bfe_u32 v3, v3, 2, 5
	v_lshlrev_b64 v[26:27], v22, v[59:60]
	v_sub_u32_e32 v20, 30, v20
	v_cmp_eq_u32_e32 vcc, 0, v3
	v_and_b32_e32 v22, 3, v26
	v_cndmask_b32_e32 v3, v3, v20, vcc
	v_and_b32_sdwa v20, sext(v59), s54 dst_sel:DWORD dst_unused:UNUSED_PAD src0_sel:WORD_0 src1_sel:DWORD
	v_cndmask_b32_e32 v4, v4, v22, vcc
	v_lshl_add_u32 v3, v3, 23, v20
	v_lshl_or_b32 v3, v4, 21, v3
	v_add_u32_e32 v3, 0x38000000, v3
                                        ; implicit-def: $vgpr4
                                        ; implicit-def: $vgpr59
.LBB6_3674:                             ;   in Loop: Header=BB6_2990 Depth=2
	s_andn2_saveexec_b64 s[90:91], s[90:91]
; %bb.3675:                             ;   in Loop: Header=BB6_2990 Depth=2
	v_cmp_lt_i16_e32 vcc, -1, v59
	v_mov_b32_e32 v3, 0xff800000
	v_mov_b32_e32 v20, 0x7f800000
	v_cndmask_b32_e32 v3, v3, v20, vcc
	v_cmp_eq_u32_e32 vcc, 0, v4
	v_mov_b32_e32 v4, 0x7f800001
	v_cndmask_b32_e32 v3, v4, v3, vcc
; %bb.3676:                             ;   in Loop: Header=BB6_2990 Depth=2
	s_or_b64 exec, exec, s[90:91]
.LBB6_3677:                             ;   in Loop: Header=BB6_2990 Depth=2
	s_or_b64 exec, exec, s[88:89]
.LBB6_3678:                             ;   in Loop: Header=BB6_2990 Depth=2
	s_or_b64 exec, exec, s[20:21]
	v_cmp_ne_u16_e32 vcc, 0, v58
	s_and_saveexec_b64 s[20:21], vcc
	s_cbranch_execz .LBB6_3686
; %bb.3679:                             ;   in Loop: Header=BB6_2990 Depth=2
	v_cmp_ne_u16_e32 vcc, s52, v58
	v_bfrev_b32_e32 v2, 1
	s_and_saveexec_b64 s[88:89], vcc
	s_cbranch_execz .LBB6_3685
; %bb.3680:                             ;   in Loop: Header=BB6_2990 Depth=2
	v_and_b32_e32 v2, 0x7c, v58
	v_and_b32_e32 v4, 3, v58
	v_cmp_ne_u32_e32 vcc, s53, v2
                                        ; implicit-def: $vgpr2
	s_and_saveexec_b64 s[90:91], vcc
	s_xor_b64 s[90:91], exec, s[90:91]
	s_cbranch_execz .LBB6_3682
; %bb.3681:                             ;   in Loop: Header=BB6_2990 Depth=2
	v_ffbh_u32_e32 v20, v4
	v_min_u32_e32 v20, 32, v20
	v_and_b32_e32 v2, 0xff, v58
	v_mov_b32_e32 v59, v28
	v_subrev_u32_e32 v22, 29, v20
	v_bfe_u32 v2, v2, 2, 5
	v_lshlrev_b64 v[26:27], v22, v[58:59]
	v_sub_u32_e32 v20, 30, v20
	v_cmp_eq_u32_e32 vcc, 0, v2
	v_and_b32_e32 v22, 3, v26
	v_cndmask_b32_e32 v2, v2, v20, vcc
	v_and_b32_sdwa v20, sext(v58), s54 dst_sel:DWORD dst_unused:UNUSED_PAD src0_sel:WORD_0 src1_sel:DWORD
	v_cndmask_b32_e32 v4, v4, v22, vcc
	v_lshl_add_u32 v2, v2, 23, v20
	v_lshl_or_b32 v2, v4, 21, v2
	v_add_u32_e32 v2, 0x38000000, v2
                                        ; implicit-def: $vgpr4
                                        ; implicit-def: $vgpr58
.LBB6_3682:                             ;   in Loop: Header=BB6_2990 Depth=2
	s_andn2_saveexec_b64 s[90:91], s[90:91]
; %bb.3683:                             ;   in Loop: Header=BB6_2990 Depth=2
	v_cmp_lt_i16_e32 vcc, -1, v58
	v_mov_b32_e32 v2, 0xff800000
	v_mov_b32_e32 v20, 0x7f800000
	v_cndmask_b32_e32 v2, v2, v20, vcc
	v_cmp_eq_u32_e32 vcc, 0, v4
	v_mov_b32_e32 v4, 0x7f800001
	v_cndmask_b32_e32 v2, v4, v2, vcc
; %bb.3684:                             ;   in Loop: Header=BB6_2990 Depth=2
	s_or_b64 exec, exec, s[90:91]
.LBB6_3685:                             ;   in Loop: Header=BB6_2990 Depth=2
	s_or_b64 exec, exec, s[88:89]
.LBB6_3686:                             ;   in Loop: Header=BB6_2990 Depth=2
	s_or_b64 exec, exec, s[20:21]
	v_mul_f32_e32 v2, v3, v2
	v_and_b32_e32 v3, 0x7f800000, v2
	v_mov_b32_e32 v4, v28
	v_cmp_ne_u64_e32 vcc, s[60:61], v[3:4]
	v_and_b32_e32 v27, 0x7fffff, v2
                                        ; implicit-def: $vgpr20
	s_and_saveexec_b64 s[20:21], vcc
	s_xor_b64 s[88:89], exec, s[20:21]
	s_cbranch_execz .LBB6_3704
; %bb.3687:                             ;   in Loop: Header=BB6_2990 Depth=2
	v_and_b32_e32 v3, 0x7fffffff, v2
	v_mov_b32_e32 v4, v28
	v_cmp_gt_u64_e32 vcc, s[62:63], v[3:4]
	v_and_b32_sdwa v22, v2, s55 dst_sel:DWORD dst_unused:UNUSED_PAD src0_sel:BYTE_3 src1_sel:DWORD
                                        ; implicit-def: $vgpr20
	s_and_saveexec_b64 s[20:21], vcc
	s_xor_b64 s[90:91], exec, s[20:21]
	s_cbranch_execz .LBB6_3701
; %bb.3688:                             ;   in Loop: Header=BB6_2990 Depth=2
	v_cmp_ne_u32_e32 vcc, 0, v2
	v_mov_b32_e32 v20, 0
	s_and_saveexec_b64 s[92:93], vcc
	s_cbranch_execz .LBB6_3700
; %bb.3689:                             ;   in Loop: Header=BB6_2990 Depth=2
	v_bfe_u32 v20, v2, 23, 8
	v_cmp_gt_u32_e64 s[20:21], s64, v20
	v_sub_u32_e32 v2, 0x71, v20
	v_cmp_eq_u32_e32 vcc, 0, v20
	v_cndmask_b32_e64 v2, 0, v2, s[20:21]
	v_mov_b32_e32 v4, 0x70
	v_cndmask_b32_e32 v26, v2, v4, vcc
	v_add_u32_e32 v4, 21, v26
	v_or_b32_e32 v3, 0x800000, v27
	v_lshlrev_b64 v[29:30], v4, -1
	v_cndmask_b32_e32 v2, v3, v27, vcc
	v_mov_b32_e32 v3, v28
	v_add_u32_e32 v4, 20, v26
	v_bfi_b32 v29, v29, 0, v2
	v_lshlrev_b64 v[33:34], v4, 1
	v_lshrrev_b64 v[2:3], v26, v[2:3]
	v_bfi_b32 v30, v30, 0, 0
	v_cmp_eq_u64_e64 s[20:21], v[29:30], v[33:34]
	v_mov_b32_e32 v4, v3
	v_mov_b32_e32 v3, v2
	s_and_saveexec_b64 s[94:95], s[20:21]
; %bb.3690:                             ;   in Loop: Header=BB6_2990 Depth=2
	v_bfe_u32 v3, v2, 21, 1
	v_add_co_u32_e64 v3, s[20:21], v2, v3
	v_add_co_u32_e64 v3, s[20:21], -1, v3
; %bb.3691:                             ;   in Loop: Header=BB6_2990 Depth=2
	s_or_b64 exec, exec, s[94:95]
	v_add_u32_e32 v4, 0xffffff81, v20
	v_mov_b32_e32 v20, 0xffffff82
	v_cndmask_b32_e32 v4, v4, v20, vcc
	v_lshrrev_b32_e32 v20, 23, v2
	v_add3_u32 v26, v26, v4, v20
	v_add_u32_e32 v20, 14, v26
	v_and_b32_e32 v3, 0x1fffff, v3
	v_add_u32_e32 v27, v3, v2
	v_cmp_ne_u32_e32 vcc, 0, v20
                                        ; implicit-def: $vgpr2_vgpr3
                                        ; implicit-def: $vgpr4
	s_and_saveexec_b64 s[20:21], vcc
	s_xor_b64 s[20:21], exec, s[20:21]
; %bb.3692:                             ;   in Loop: Header=BB6_2990 Depth=2
	v_cmp_lt_u64_e32 vcc, s[72:73], v[27:28]
	v_add_u32_e32 v2, 15, v26
	v_cndmask_b32_e32 v4, v20, v2, vcc
	v_cndmask_b32_e64 v2, 0, 1, vcc
	v_lshrrev_b64 v[2:3], v2, v[27:28]
; %bb.3693:                             ;   in Loop: Header=BB6_2990 Depth=2
	s_andn2_saveexec_b64 s[20:21], s[20:21]
; %bb.3694:                             ;   in Loop: Header=BB6_2990 Depth=2
	v_mov_b32_e32 v2, v27
	v_mov_b32_e32 v3, v28
	v_bfe_u32 v4, v27, 23, 1
; %bb.3695:                             ;   in Loop: Header=BB6_2990 Depth=2
	s_or_b64 exec, exec, s[20:21]
	v_lshrrev_b64 v[2:3], 21, v[2:3]
	v_cmp_gt_i32_e32 vcc, 32, v4
	v_cndmask_b32_e32 v3, 0, v3, vcc
	v_cndmask_b32_e32 v2, 3, v2, vcc
	v_cmp_ne_u64_e32 vcc, 0, v[2:3]
	v_cmp_ne_u32_e64 s[20:21], 0, v4
	s_or_b64 s[20:21], s[20:21], vcc
                                        ; implicit-def: $vgpr20
	s_and_saveexec_b64 s[94:95], s[20:21]
	s_xor_b64 s[20:21], exec, s[94:95]
; %bb.3696:                             ;   in Loop: Header=BB6_2990 Depth=2
	v_min_i32_e32 v3, 31, v4
	v_lshl_or_b32 v3, v3, 2, v22
	v_and_or_b32 v20, v2, 3, v3
                                        ; implicit-def: $vgpr22
; %bb.3697:                             ;   in Loop: Header=BB6_2990 Depth=2
	s_andn2_saveexec_b64 s[20:21], s[20:21]
; %bb.3698:                             ;   in Loop: Header=BB6_2990 Depth=2
	v_mov_b32_e32 v20, v22
; %bb.3699:                             ;   in Loop: Header=BB6_2990 Depth=2
	s_or_b64 exec, exec, s[20:21]
.LBB6_3700:                             ;   in Loop: Header=BB6_2990 Depth=2
	s_or_b64 exec, exec, s[92:93]
                                        ; implicit-def: $vgpr22
.LBB6_3701:                             ;   in Loop: Header=BB6_2990 Depth=2
	s_andn2_saveexec_b64 s[20:21], s[90:91]
; %bb.3702:                             ;   in Loop: Header=BB6_2990 Depth=2
	v_or_b32_e32 v20, 0x7b, v22
; %bb.3703:                             ;   in Loop: Header=BB6_2990 Depth=2
	s_or_b64 exec, exec, s[20:21]
                                        ; implicit-def: $vgpr2
.LBB6_3704:                             ;   in Loop: Header=BB6_2990 Depth=2
	s_andn2_saveexec_b64 s[20:21], s[88:89]
	s_cbranch_execz .LBB6_3710
; %bb.3705:                             ;   in Loop: Header=BB6_2990 Depth=2
	v_cmp_ne_u64_e32 vcc, 0, v[27:28]
                                        ; implicit-def: $vgpr20
	s_and_saveexec_b64 s[88:89], vcc
	s_xor_b64 s[88:89], exec, s[88:89]
; %bb.3706:                             ;   in Loop: Header=BB6_2990 Depth=2
	v_or_b32_sdwa v20, v2, s65 dst_sel:DWORD dst_unused:UNUSED_PAD src0_sel:BYTE_3 src1_sel:DWORD
                                        ; implicit-def: $vgpr2
; %bb.3707:                             ;   in Loop: Header=BB6_2990 Depth=2
	s_andn2_saveexec_b64 s[88:89], s[88:89]
; %bb.3708:                             ;   in Loop: Header=BB6_2990 Depth=2
	v_cmp_lt_i32_e32 vcc, -1, v2
	v_mov_b32_e32 v2, 0x7c
	v_cndmask_b32_e32 v20, -4, v2, vcc
; %bb.3709:                             ;   in Loop: Header=BB6_2990 Depth=2
	s_or_b64 exec, exec, s[88:89]
.LBB6_3710:                             ;   in Loop: Header=BB6_2990 Depth=2
	s_or_b64 exec, exec, s[20:21]
	v_cmp_ne_u16_e32 vcc, 0, v52
	v_mov_b32_e32 v2, 0
	v_mov_b32_e32 v3, 0
	s_and_saveexec_b64 s[20:21], vcc
	s_cbranch_execz .LBB6_3718
; %bb.3711:                             ;   in Loop: Header=BB6_2990 Depth=2
	v_cmp_ne_u16_e32 vcc, s52, v52
	v_bfrev_b32_e32 v3, 1
	s_and_saveexec_b64 s[88:89], vcc
	s_cbranch_execz .LBB6_3717
; %bb.3712:                             ;   in Loop: Header=BB6_2990 Depth=2
	v_and_b32_e32 v3, 0x7c, v52
	v_and_b32_e32 v4, 3, v52
	v_cmp_ne_u32_e32 vcc, s53, v3
                                        ; implicit-def: $vgpr3
	s_and_saveexec_b64 s[90:91], vcc
	s_xor_b64 s[90:91], exec, s[90:91]
	s_cbranch_execz .LBB6_3714
; %bb.3713:                             ;   in Loop: Header=BB6_2990 Depth=2
	v_ffbh_u32_e32 v22, v4
	v_min_u32_e32 v22, 32, v22
	v_and_b32_e32 v3, 0xff, v52
	v_mov_b32_e32 v53, v28
	v_subrev_u32_e32 v26, 29, v22
	v_bfe_u32 v3, v3, 2, 5
	v_lshlrev_b64 v[26:27], v26, v[52:53]
	v_sub_u32_e32 v22, 30, v22
	v_cmp_eq_u32_e32 vcc, 0, v3
	v_and_b32_e32 v26, 3, v26
	v_cndmask_b32_e32 v3, v3, v22, vcc
	v_and_b32_sdwa v22, sext(v52), s54 dst_sel:DWORD dst_unused:UNUSED_PAD src0_sel:WORD_0 src1_sel:DWORD
	v_cndmask_b32_e32 v4, v4, v26, vcc
	v_lshl_add_u32 v3, v3, 23, v22
	v_lshl_or_b32 v3, v4, 21, v3
	v_add_u32_e32 v3, 0x38000000, v3
                                        ; implicit-def: $vgpr4
                                        ; implicit-def: $vgpr52
.LBB6_3714:                             ;   in Loop: Header=BB6_2990 Depth=2
	s_andn2_saveexec_b64 s[90:91], s[90:91]
; %bb.3715:                             ;   in Loop: Header=BB6_2990 Depth=2
	v_cmp_lt_i16_e32 vcc, -1, v52
	v_mov_b32_e32 v3, 0xff800000
	v_mov_b32_e32 v22, 0x7f800000
	v_cndmask_b32_e32 v3, v3, v22, vcc
	v_cmp_eq_u32_e32 vcc, 0, v4
	v_mov_b32_e32 v4, 0x7f800001
	v_cndmask_b32_e32 v3, v4, v3, vcc
; %bb.3716:                             ;   in Loop: Header=BB6_2990 Depth=2
	s_or_b64 exec, exec, s[90:91]
.LBB6_3717:                             ;   in Loop: Header=BB6_2990 Depth=2
	s_or_b64 exec, exec, s[88:89]
.LBB6_3718:                             ;   in Loop: Header=BB6_2990 Depth=2
	s_or_b64 exec, exec, s[20:21]
	v_cmp_ne_u16_e32 vcc, 0, v51
	s_and_saveexec_b64 s[20:21], vcc
	s_cbranch_execz .LBB6_3726
; %bb.3719:                             ;   in Loop: Header=BB6_2990 Depth=2
	v_cmp_ne_u16_e32 vcc, s52, v51
	v_bfrev_b32_e32 v2, 1
	s_and_saveexec_b64 s[88:89], vcc
	s_cbranch_execz .LBB6_3725
; %bb.3720:                             ;   in Loop: Header=BB6_2990 Depth=2
	v_and_b32_e32 v2, 0x7c, v51
	v_and_b32_e32 v4, 3, v51
	v_cmp_ne_u32_e32 vcc, s53, v2
                                        ; implicit-def: $vgpr2
	s_and_saveexec_b64 s[90:91], vcc
	s_xor_b64 s[90:91], exec, s[90:91]
	s_cbranch_execz .LBB6_3722
; %bb.3721:                             ;   in Loop: Header=BB6_2990 Depth=2
	v_ffbh_u32_e32 v22, v4
	v_min_u32_e32 v22, 32, v22
	v_and_b32_e32 v2, 0xff, v51
	v_mov_b32_e32 v52, v28
	v_subrev_u32_e32 v26, 29, v22
	v_bfe_u32 v2, v2, 2, 5
	v_lshlrev_b64 v[26:27], v26, v[51:52]
	v_sub_u32_e32 v22, 30, v22
	v_cmp_eq_u32_e32 vcc, 0, v2
	v_and_b32_e32 v26, 3, v26
	v_cndmask_b32_e32 v2, v2, v22, vcc
	v_and_b32_sdwa v22, sext(v51), s54 dst_sel:DWORD dst_unused:UNUSED_PAD src0_sel:WORD_0 src1_sel:DWORD
	v_cndmask_b32_e32 v4, v4, v26, vcc
	v_lshl_add_u32 v2, v2, 23, v22
	v_lshl_or_b32 v2, v4, 21, v2
	v_add_u32_e32 v2, 0x38000000, v2
                                        ; implicit-def: $vgpr4
                                        ; implicit-def: $vgpr51
.LBB6_3722:                             ;   in Loop: Header=BB6_2990 Depth=2
	s_andn2_saveexec_b64 s[90:91], s[90:91]
; %bb.3723:                             ;   in Loop: Header=BB6_2990 Depth=2
	v_cmp_lt_i16_e32 vcc, -1, v51
	v_mov_b32_e32 v2, 0xff800000
	v_mov_b32_e32 v22, 0x7f800000
	v_cndmask_b32_e32 v2, v2, v22, vcc
	v_cmp_eq_u32_e32 vcc, 0, v4
	v_mov_b32_e32 v4, 0x7f800001
	v_cndmask_b32_e32 v2, v4, v2, vcc
; %bb.3724:                             ;   in Loop: Header=BB6_2990 Depth=2
	s_or_b64 exec, exec, s[90:91]
.LBB6_3725:                             ;   in Loop: Header=BB6_2990 Depth=2
	s_or_b64 exec, exec, s[88:89]
.LBB6_3726:                             ;   in Loop: Header=BB6_2990 Depth=2
	s_or_b64 exec, exec, s[20:21]
	v_mul_f32_e32 v2, v3, v2
	v_and_b32_e32 v3, 0x7f800000, v2
	v_mov_b32_e32 v4, v28
	v_cmp_ne_u64_e32 vcc, s[60:61], v[3:4]
	v_and_b32_e32 v27, 0x7fffff, v2
                                        ; implicit-def: $vgpr22
	s_and_saveexec_b64 s[20:21], vcc
	s_xor_b64 s[88:89], exec, s[20:21]
	s_cbranch_execz .LBB6_3744
; %bb.3727:                             ;   in Loop: Header=BB6_2990 Depth=2
	v_and_b32_e32 v3, 0x7fffffff, v2
	v_mov_b32_e32 v4, v28
	v_cmp_gt_u64_e32 vcc, s[62:63], v[3:4]
	v_and_b32_sdwa v26, v2, s55 dst_sel:DWORD dst_unused:UNUSED_PAD src0_sel:BYTE_3 src1_sel:DWORD
                                        ; implicit-def: $vgpr22
	s_and_saveexec_b64 s[20:21], vcc
	s_xor_b64 s[90:91], exec, s[20:21]
	s_cbranch_execz .LBB6_3741
; %bb.3728:                             ;   in Loop: Header=BB6_2990 Depth=2
	v_cmp_ne_u32_e32 vcc, 0, v2
	v_mov_b32_e32 v22, 0
	s_and_saveexec_b64 s[92:93], vcc
	s_cbranch_execz .LBB6_3740
; %bb.3729:                             ;   in Loop: Header=BB6_2990 Depth=2
	v_bfe_u32 v22, v2, 23, 8
	v_cmp_gt_u32_e64 s[20:21], s64, v22
	v_sub_u32_e32 v2, 0x71, v22
	v_cmp_eq_u32_e32 vcc, 0, v22
	v_cndmask_b32_e64 v2, 0, v2, s[20:21]
	v_mov_b32_e32 v4, 0x70
	v_cndmask_b32_e32 v29, v2, v4, vcc
	v_add_u32_e32 v4, 21, v29
	v_or_b32_e32 v3, 0x800000, v27
	v_lshlrev_b64 v[33:34], v4, -1
	v_cndmask_b32_e32 v2, v3, v27, vcc
	v_mov_b32_e32 v3, v28
	v_add_u32_e32 v4, 20, v29
	v_mov_b32_e32 v30, v35
	v_bfi_b32 v33, v33, 0, v2
	v_lshlrev_b64 v[35:36], v4, 1
	v_lshrrev_b64 v[2:3], v29, v[2:3]
	v_bfi_b32 v34, v34, 0, 0
	v_cmp_eq_u64_e64 s[20:21], v[33:34], v[35:36]
	v_mov_b32_e32 v4, v3
	v_mov_b32_e32 v3, v2
	s_and_saveexec_b64 s[94:95], s[20:21]
; %bb.3730:                             ;   in Loop: Header=BB6_2990 Depth=2
	v_bfe_u32 v3, v2, 21, 1
	v_add_co_u32_e64 v3, s[20:21], v2, v3
	v_add_co_u32_e64 v3, s[20:21], -1, v3
; %bb.3731:                             ;   in Loop: Header=BB6_2990 Depth=2
	s_or_b64 exec, exec, s[94:95]
	v_add_u32_e32 v4, 0xffffff81, v22
	v_mov_b32_e32 v22, 0xffffff82
	v_cndmask_b32_e32 v4, v4, v22, vcc
	v_lshrrev_b32_e32 v22, 23, v2
	v_add3_u32 v29, v29, v4, v22
	v_add_u32_e32 v22, 14, v29
	v_and_b32_e32 v3, 0x1fffff, v3
	v_add_u32_e32 v27, v3, v2
	v_cmp_ne_u32_e32 vcc, 0, v22
                                        ; implicit-def: $vgpr2_vgpr3
                                        ; implicit-def: $vgpr4
	s_and_saveexec_b64 s[20:21], vcc
	s_xor_b64 s[20:21], exec, s[20:21]
; %bb.3732:                             ;   in Loop: Header=BB6_2990 Depth=2
	v_cmp_lt_u64_e32 vcc, s[72:73], v[27:28]
	v_add_u32_e32 v2, 15, v29
	v_cndmask_b32_e32 v4, v22, v2, vcc
	v_cndmask_b32_e64 v2, 0, 1, vcc
	v_lshrrev_b64 v[2:3], v2, v[27:28]
; %bb.3733:                             ;   in Loop: Header=BB6_2990 Depth=2
	s_or_saveexec_b64 s[20:21], s[20:21]
	v_mov_b32_e32 v35, v30
	s_xor_b64 exec, exec, s[20:21]
; %bb.3734:                             ;   in Loop: Header=BB6_2990 Depth=2
	v_mov_b32_e32 v2, v27
	v_mov_b32_e32 v3, v28
	v_bfe_u32 v4, v27, 23, 1
; %bb.3735:                             ;   in Loop: Header=BB6_2990 Depth=2
	s_or_b64 exec, exec, s[20:21]
	v_lshrrev_b64 v[2:3], 21, v[2:3]
	v_cmp_gt_i32_e32 vcc, 32, v4
	v_cndmask_b32_e32 v3, 0, v3, vcc
	v_cndmask_b32_e32 v2, 3, v2, vcc
	v_cmp_ne_u64_e32 vcc, 0, v[2:3]
	v_cmp_ne_u32_e64 s[20:21], 0, v4
	s_or_b64 s[20:21], s[20:21], vcc
                                        ; implicit-def: $vgpr22
	s_and_saveexec_b64 s[94:95], s[20:21]
	s_xor_b64 s[20:21], exec, s[94:95]
; %bb.3736:                             ;   in Loop: Header=BB6_2990 Depth=2
	v_min_i32_e32 v3, 31, v4
	v_lshl_or_b32 v3, v3, 2, v26
	v_and_or_b32 v22, v2, 3, v3
                                        ; implicit-def: $vgpr26
; %bb.3737:                             ;   in Loop: Header=BB6_2990 Depth=2
	s_andn2_saveexec_b64 s[20:21], s[20:21]
; %bb.3738:                             ;   in Loop: Header=BB6_2990 Depth=2
	v_mov_b32_e32 v22, v26
; %bb.3739:                             ;   in Loop: Header=BB6_2990 Depth=2
	s_or_b64 exec, exec, s[20:21]
.LBB6_3740:                             ;   in Loop: Header=BB6_2990 Depth=2
	s_or_b64 exec, exec, s[92:93]
                                        ; implicit-def: $vgpr26
.LBB6_3741:                             ;   in Loop: Header=BB6_2990 Depth=2
	s_andn2_saveexec_b64 s[20:21], s[90:91]
; %bb.3742:                             ;   in Loop: Header=BB6_2990 Depth=2
	v_or_b32_e32 v22, 0x7b, v26
; %bb.3743:                             ;   in Loop: Header=BB6_2990 Depth=2
	s_or_b64 exec, exec, s[20:21]
                                        ; implicit-def: $vgpr2
.LBB6_3744:                             ;   in Loop: Header=BB6_2990 Depth=2
	s_andn2_saveexec_b64 s[20:21], s[88:89]
	s_cbranch_execz .LBB6_3750
; %bb.3745:                             ;   in Loop: Header=BB6_2990 Depth=2
	v_cmp_ne_u64_e32 vcc, 0, v[27:28]
                                        ; implicit-def: $vgpr22
	s_and_saveexec_b64 s[88:89], vcc
	s_xor_b64 s[88:89], exec, s[88:89]
; %bb.3746:                             ;   in Loop: Header=BB6_2990 Depth=2
	v_or_b32_sdwa v22, v2, s65 dst_sel:DWORD dst_unused:UNUSED_PAD src0_sel:BYTE_3 src1_sel:DWORD
                                        ; implicit-def: $vgpr2
; %bb.3747:                             ;   in Loop: Header=BB6_2990 Depth=2
	s_andn2_saveexec_b64 s[88:89], s[88:89]
; %bb.3748:                             ;   in Loop: Header=BB6_2990 Depth=2
	v_cmp_lt_i32_e32 vcc, -1, v2
	v_mov_b32_e32 v2, 0x7c
	v_cndmask_b32_e32 v22, -4, v2, vcc
; %bb.3749:                             ;   in Loop: Header=BB6_2990 Depth=2
	s_or_b64 exec, exec, s[88:89]
.LBB6_3750:                             ;   in Loop: Header=BB6_2990 Depth=2
	s_or_b64 exec, exec, s[20:21]
	v_cmp_ne_u16_e32 vcc, 0, v50
	v_mov_b32_e32 v2, 0
	v_mov_b32_e32 v3, 0
	s_and_saveexec_b64 s[20:21], vcc
	s_cbranch_execz .LBB6_3758
; %bb.3751:                             ;   in Loop: Header=BB6_2990 Depth=2
	v_cmp_ne_u16_e32 vcc, s52, v50
	v_bfrev_b32_e32 v3, 1
	s_and_saveexec_b64 s[88:89], vcc
	s_cbranch_execz .LBB6_3757
; %bb.3752:                             ;   in Loop: Header=BB6_2990 Depth=2
	v_and_b32_e32 v3, 0x7c, v50
	v_and_b32_e32 v4, 3, v50
	v_cmp_ne_u32_e32 vcc, s53, v3
                                        ; implicit-def: $vgpr3
	s_and_saveexec_b64 s[90:91], vcc
	s_xor_b64 s[90:91], exec, s[90:91]
	s_cbranch_execz .LBB6_3754
; %bb.3753:                             ;   in Loop: Header=BB6_2990 Depth=2
	v_ffbh_u32_e32 v26, v4
	v_min_u32_e32 v29, 32, v26
	v_mov_b32_e32 v51, v28
	v_subrev_u32_e32 v26, 29, v29
	v_and_b32_e32 v3, 0xff, v50
	v_lshlrev_b64 v[26:27], v26, v[50:51]
	v_bfe_u32 v3, v3, 2, 5
	v_sub_u32_e32 v27, 30, v29
	v_and_b32_e32 v26, 3, v26
	v_cmp_eq_u32_e32 vcc, 0, v3
	v_cndmask_b32_e32 v3, v3, v27, vcc
	v_cndmask_b32_e32 v4, v4, v26, vcc
	v_and_b32_sdwa v26, sext(v50), s54 dst_sel:DWORD dst_unused:UNUSED_PAD src0_sel:WORD_0 src1_sel:DWORD
	v_lshl_add_u32 v3, v3, 23, v26
	v_lshl_or_b32 v3, v4, 21, v3
	v_add_u32_e32 v3, 0x38000000, v3
                                        ; implicit-def: $vgpr4
                                        ; implicit-def: $vgpr50
.LBB6_3754:                             ;   in Loop: Header=BB6_2990 Depth=2
	s_andn2_saveexec_b64 s[90:91], s[90:91]
; %bb.3755:                             ;   in Loop: Header=BB6_2990 Depth=2
	v_cmp_lt_i16_e32 vcc, -1, v50
	v_mov_b32_e32 v3, 0xff800000
	v_mov_b32_e32 v26, 0x7f800000
	v_cndmask_b32_e32 v3, v3, v26, vcc
	v_cmp_eq_u32_e32 vcc, 0, v4
	v_mov_b32_e32 v4, 0x7f800001
	v_cndmask_b32_e32 v3, v4, v3, vcc
; %bb.3756:                             ;   in Loop: Header=BB6_2990 Depth=2
	s_or_b64 exec, exec, s[90:91]
.LBB6_3757:                             ;   in Loop: Header=BB6_2990 Depth=2
	s_or_b64 exec, exec, s[88:89]
.LBB6_3758:                             ;   in Loop: Header=BB6_2990 Depth=2
	s_or_b64 exec, exec, s[20:21]
	v_cmp_ne_u16_e32 vcc, 0, v49
	s_and_saveexec_b64 s[20:21], vcc
	s_cbranch_execz .LBB6_3766
; %bb.3759:                             ;   in Loop: Header=BB6_2990 Depth=2
	v_cmp_ne_u16_e32 vcc, s52, v49
	v_bfrev_b32_e32 v2, 1
	s_and_saveexec_b64 s[88:89], vcc
	s_cbranch_execz .LBB6_3765
; %bb.3760:                             ;   in Loop: Header=BB6_2990 Depth=2
	v_and_b32_e32 v2, 0x7c, v49
	v_and_b32_e32 v4, 3, v49
	v_cmp_ne_u32_e32 vcc, s53, v2
                                        ; implicit-def: $vgpr2
	s_and_saveexec_b64 s[90:91], vcc
	s_xor_b64 s[90:91], exec, s[90:91]
	s_cbranch_execz .LBB6_3762
; %bb.3761:                             ;   in Loop: Header=BB6_2990 Depth=2
	v_ffbh_u32_e32 v26, v4
	v_min_u32_e32 v29, 32, v26
	v_mov_b32_e32 v50, v28
	v_subrev_u32_e32 v26, 29, v29
	v_and_b32_e32 v2, 0xff, v49
	v_lshlrev_b64 v[26:27], v26, v[49:50]
	v_bfe_u32 v2, v2, 2, 5
	v_sub_u32_e32 v27, 30, v29
	v_and_b32_e32 v26, 3, v26
	v_cmp_eq_u32_e32 vcc, 0, v2
	v_cndmask_b32_e32 v2, v2, v27, vcc
	v_cndmask_b32_e32 v4, v4, v26, vcc
	v_and_b32_sdwa v26, sext(v49), s54 dst_sel:DWORD dst_unused:UNUSED_PAD src0_sel:WORD_0 src1_sel:DWORD
	v_lshl_add_u32 v2, v2, 23, v26
	v_lshl_or_b32 v2, v4, 21, v2
	v_add_u32_e32 v2, 0x38000000, v2
                                        ; implicit-def: $vgpr4
                                        ; implicit-def: $vgpr49
.LBB6_3762:                             ;   in Loop: Header=BB6_2990 Depth=2
	s_andn2_saveexec_b64 s[90:91], s[90:91]
; %bb.3763:                             ;   in Loop: Header=BB6_2990 Depth=2
	v_cmp_lt_i16_e32 vcc, -1, v49
	v_mov_b32_e32 v2, 0xff800000
	v_mov_b32_e32 v26, 0x7f800000
	v_cndmask_b32_e32 v2, v2, v26, vcc
	v_cmp_eq_u32_e32 vcc, 0, v4
	v_mov_b32_e32 v4, 0x7f800001
	v_cndmask_b32_e32 v2, v4, v2, vcc
; %bb.3764:                             ;   in Loop: Header=BB6_2990 Depth=2
	s_or_b64 exec, exec, s[90:91]
.LBB6_3765:                             ;   in Loop: Header=BB6_2990 Depth=2
	s_or_b64 exec, exec, s[88:89]
.LBB6_3766:                             ;   in Loop: Header=BB6_2990 Depth=2
	s_or_b64 exec, exec, s[20:21]
	v_mul_f32_e32 v2, v3, v2
	v_and_b32_e32 v3, 0x7f800000, v2
	v_mov_b32_e32 v4, v28
	v_cmp_ne_u64_e32 vcc, s[60:61], v[3:4]
	v_and_b32_e32 v27, 0x7fffff, v2
                                        ; implicit-def: $vgpr26
	s_and_saveexec_b64 s[20:21], vcc
	s_xor_b64 s[88:89], exec, s[20:21]
	s_cbranch_execz .LBB6_3784
; %bb.3767:                             ;   in Loop: Header=BB6_2990 Depth=2
	v_and_b32_e32 v3, 0x7fffffff, v2
	v_mov_b32_e32 v4, v28
	v_cmp_gt_u64_e32 vcc, s[62:63], v[3:4]
	v_and_b32_sdwa v29, v2, s55 dst_sel:DWORD dst_unused:UNUSED_PAD src0_sel:BYTE_3 src1_sel:DWORD
                                        ; implicit-def: $vgpr26
	s_and_saveexec_b64 s[20:21], vcc
	s_xor_b64 s[90:91], exec, s[20:21]
	s_cbranch_execz .LBB6_3781
; %bb.3768:                             ;   in Loop: Header=BB6_2990 Depth=2
	v_cmp_ne_u32_e32 vcc, 0, v2
	v_mov_b32_e32 v26, 0
	s_and_saveexec_b64 s[92:93], vcc
	s_cbranch_execz .LBB6_3780
; %bb.3769:                             ;   in Loop: Header=BB6_2990 Depth=2
	v_bfe_u32 v26, v2, 23, 8
	v_cmp_gt_u32_e64 s[20:21], s64, v26
	v_sub_u32_e32 v2, 0x71, v26
	v_cmp_eq_u32_e32 vcc, 0, v26
	v_cndmask_b32_e64 v2, 0, v2, s[20:21]
	v_mov_b32_e32 v4, 0x70
	v_cndmask_b32_e32 v30, v2, v4, vcc
	v_add_u32_e32 v4, 21, v30
	v_or_b32_e32 v3, 0x800000, v27
	v_lshlrev_b64 v[33:34], v4, -1
	v_cndmask_b32_e32 v2, v3, v27, vcc
	v_mov_b32_e32 v3, v28
	v_add_u32_e32 v4, 20, v30
	v_mov_b32_e32 v49, v35
	v_bfi_b32 v33, v33, 0, v2
	v_lshlrev_b64 v[35:36], v4, 1
	v_lshrrev_b64 v[2:3], v30, v[2:3]
	v_bfi_b32 v34, v34, 0, 0
	v_cmp_eq_u64_e64 s[20:21], v[33:34], v[35:36]
	v_mov_b32_e32 v4, v3
	v_mov_b32_e32 v3, v2
	s_and_saveexec_b64 s[94:95], s[20:21]
; %bb.3770:                             ;   in Loop: Header=BB6_2990 Depth=2
	v_bfe_u32 v3, v2, 21, 1
	v_add_co_u32_e64 v3, s[20:21], v2, v3
	v_add_co_u32_e64 v3, s[20:21], -1, v3
; %bb.3771:                             ;   in Loop: Header=BB6_2990 Depth=2
	s_or_b64 exec, exec, s[94:95]
	v_add_u32_e32 v4, 0xffffff81, v26
	v_mov_b32_e32 v26, 0xffffff82
	v_cndmask_b32_e32 v4, v4, v26, vcc
	v_lshrrev_b32_e32 v26, 23, v2
	v_add3_u32 v30, v30, v4, v26
	v_add_u32_e32 v26, 14, v30
	v_and_b32_e32 v3, 0x1fffff, v3
	v_add_u32_e32 v27, v3, v2
	v_cmp_ne_u32_e32 vcc, 0, v26
                                        ; implicit-def: $vgpr2_vgpr3
                                        ; implicit-def: $vgpr4
	s_and_saveexec_b64 s[20:21], vcc
	s_xor_b64 s[20:21], exec, s[20:21]
; %bb.3772:                             ;   in Loop: Header=BB6_2990 Depth=2
	v_cmp_lt_u64_e32 vcc, s[72:73], v[27:28]
	v_add_u32_e32 v2, 15, v30
	v_cndmask_b32_e32 v4, v26, v2, vcc
	v_cndmask_b32_e64 v2, 0, 1, vcc
	v_lshrrev_b64 v[2:3], v2, v[27:28]
; %bb.3773:                             ;   in Loop: Header=BB6_2990 Depth=2
	s_or_saveexec_b64 s[20:21], s[20:21]
	v_mov_b32_e32 v35, v49
	s_xor_b64 exec, exec, s[20:21]
; %bb.3774:                             ;   in Loop: Header=BB6_2990 Depth=2
	v_mov_b32_e32 v2, v27
	v_mov_b32_e32 v3, v28
	v_bfe_u32 v4, v27, 23, 1
; %bb.3775:                             ;   in Loop: Header=BB6_2990 Depth=2
	s_or_b64 exec, exec, s[20:21]
	v_lshrrev_b64 v[2:3], 21, v[2:3]
	v_cmp_gt_i32_e32 vcc, 32, v4
	v_cndmask_b32_e32 v3, 0, v3, vcc
	v_cndmask_b32_e32 v2, 3, v2, vcc
	v_cmp_ne_u64_e32 vcc, 0, v[2:3]
	v_cmp_ne_u32_e64 s[20:21], 0, v4
	s_or_b64 s[20:21], s[20:21], vcc
                                        ; implicit-def: $vgpr26
	s_and_saveexec_b64 s[94:95], s[20:21]
	s_xor_b64 s[20:21], exec, s[94:95]
; %bb.3776:                             ;   in Loop: Header=BB6_2990 Depth=2
	v_min_i32_e32 v3, 31, v4
	v_lshl_or_b32 v3, v3, 2, v29
	v_and_or_b32 v26, v2, 3, v3
                                        ; implicit-def: $vgpr29
; %bb.3777:                             ;   in Loop: Header=BB6_2990 Depth=2
	s_andn2_saveexec_b64 s[20:21], s[20:21]
; %bb.3778:                             ;   in Loop: Header=BB6_2990 Depth=2
	v_mov_b32_e32 v26, v29
; %bb.3779:                             ;   in Loop: Header=BB6_2990 Depth=2
	s_or_b64 exec, exec, s[20:21]
.LBB6_3780:                             ;   in Loop: Header=BB6_2990 Depth=2
	s_or_b64 exec, exec, s[92:93]
                                        ; implicit-def: $vgpr29
.LBB6_3781:                             ;   in Loop: Header=BB6_2990 Depth=2
	s_andn2_saveexec_b64 s[20:21], s[90:91]
; %bb.3782:                             ;   in Loop: Header=BB6_2990 Depth=2
	v_or_b32_e32 v26, 0x7b, v29
; %bb.3783:                             ;   in Loop: Header=BB6_2990 Depth=2
	s_or_b64 exec, exec, s[20:21]
                                        ; implicit-def: $vgpr2
.LBB6_3784:                             ;   in Loop: Header=BB6_2990 Depth=2
	s_andn2_saveexec_b64 s[20:21], s[88:89]
	s_cbranch_execz .LBB6_3790
; %bb.3785:                             ;   in Loop: Header=BB6_2990 Depth=2
	v_cmp_ne_u64_e32 vcc, 0, v[27:28]
                                        ; implicit-def: $vgpr26
	s_and_saveexec_b64 s[88:89], vcc
	s_xor_b64 s[88:89], exec, s[88:89]
; %bb.3786:                             ;   in Loop: Header=BB6_2990 Depth=2
	v_or_b32_sdwa v26, v2, s65 dst_sel:DWORD dst_unused:UNUSED_PAD src0_sel:BYTE_3 src1_sel:DWORD
                                        ; implicit-def: $vgpr2
; %bb.3787:                             ;   in Loop: Header=BB6_2990 Depth=2
	s_andn2_saveexec_b64 s[88:89], s[88:89]
; %bb.3788:                             ;   in Loop: Header=BB6_2990 Depth=2
	v_cmp_lt_i32_e32 vcc, -1, v2
	v_mov_b32_e32 v2, 0x7c
	v_cndmask_b32_e32 v26, -4, v2, vcc
; %bb.3789:                             ;   in Loop: Header=BB6_2990 Depth=2
	s_or_b64 exec, exec, s[88:89]
.LBB6_3790:                             ;   in Loop: Header=BB6_2990 Depth=2
	s_or_b64 exec, exec, s[20:21]
	v_cmp_ne_u16_e32 vcc, 0, v48
	v_mov_b32_e32 v2, 0
	v_mov_b32_e32 v3, 0
	s_and_saveexec_b64 s[20:21], vcc
	s_cbranch_execz .LBB6_3798
; %bb.3791:                             ;   in Loop: Header=BB6_2990 Depth=2
	v_cmp_ne_u16_e32 vcc, s52, v48
	v_bfrev_b32_e32 v3, 1
	s_and_saveexec_b64 s[88:89], vcc
	s_cbranch_execz .LBB6_3797
; %bb.3792:                             ;   in Loop: Header=BB6_2990 Depth=2
	v_and_b32_e32 v3, 0x7c, v48
	v_and_b32_e32 v4, 3, v48
	v_cmp_ne_u32_e32 vcc, s53, v3
                                        ; implicit-def: $vgpr3
	s_and_saveexec_b64 s[90:91], vcc
	s_xor_b64 s[90:91], exec, s[90:91]
	s_cbranch_execz .LBB6_3794
; %bb.3793:                             ;   in Loop: Header=BB6_2990 Depth=2
	v_ffbh_u32_e32 v27, v4
	v_min_u32_e32 v27, 32, v27
	v_and_b32_e32 v3, 0xff, v48
	v_mov_b32_e32 v49, v28
	v_subrev_u32_e32 v29, 29, v27
	v_bfe_u32 v3, v3, 2, 5
	v_lshlrev_b64 v[29:30], v29, v[48:49]
	v_sub_u32_e32 v27, 30, v27
	v_cmp_eq_u32_e32 vcc, 0, v3
	v_and_b32_e32 v29, 3, v29
	v_cndmask_b32_e32 v3, v3, v27, vcc
	v_and_b32_sdwa v27, sext(v48), s54 dst_sel:DWORD dst_unused:UNUSED_PAD src0_sel:WORD_0 src1_sel:DWORD
	v_cndmask_b32_e32 v4, v4, v29, vcc
	v_lshl_add_u32 v3, v3, 23, v27
	v_lshl_or_b32 v3, v4, 21, v3
	v_add_u32_e32 v3, 0x38000000, v3
                                        ; implicit-def: $vgpr4
                                        ; implicit-def: $vgpr48
.LBB6_3794:                             ;   in Loop: Header=BB6_2990 Depth=2
	s_andn2_saveexec_b64 s[90:91], s[90:91]
; %bb.3795:                             ;   in Loop: Header=BB6_2990 Depth=2
	v_cmp_lt_i16_e32 vcc, -1, v48
	v_mov_b32_e32 v3, 0xff800000
	v_mov_b32_e32 v27, 0x7f800000
	v_cndmask_b32_e32 v3, v3, v27, vcc
	v_cmp_eq_u32_e32 vcc, 0, v4
	v_mov_b32_e32 v4, 0x7f800001
	v_cndmask_b32_e32 v3, v4, v3, vcc
; %bb.3796:                             ;   in Loop: Header=BB6_2990 Depth=2
	s_or_b64 exec, exec, s[90:91]
.LBB6_3797:                             ;   in Loop: Header=BB6_2990 Depth=2
	s_or_b64 exec, exec, s[88:89]
.LBB6_3798:                             ;   in Loop: Header=BB6_2990 Depth=2
	s_or_b64 exec, exec, s[20:21]
	v_cmp_ne_u16_e32 vcc, 0, v38
	s_and_saveexec_b64 s[20:21], vcc
	s_cbranch_execz .LBB6_3806
; %bb.3799:                             ;   in Loop: Header=BB6_2990 Depth=2
	v_cmp_ne_u16_e32 vcc, s52, v38
	v_bfrev_b32_e32 v2, 1
	s_and_saveexec_b64 s[88:89], vcc
	s_cbranch_execz .LBB6_3805
; %bb.3800:                             ;   in Loop: Header=BB6_2990 Depth=2
	v_and_b32_e32 v2, 0x7c, v38
	v_and_b32_e32 v4, 3, v38
	v_cmp_ne_u32_e32 vcc, s53, v2
                                        ; implicit-def: $vgpr2
	s_and_saveexec_b64 s[90:91], vcc
	s_xor_b64 s[90:91], exec, s[90:91]
	s_cbranch_execz .LBB6_3802
; %bb.3801:                             ;   in Loop: Header=BB6_2990 Depth=2
	v_ffbh_u32_e32 v27, v4
	v_min_u32_e32 v27, 32, v27
	v_and_b32_e32 v2, 0xff, v38
	v_mov_b32_e32 v39, v28
	v_subrev_u32_e32 v29, 29, v27
	v_bfe_u32 v2, v2, 2, 5
	v_lshlrev_b64 v[29:30], v29, v[38:39]
	v_sub_u32_e32 v27, 30, v27
	v_cmp_eq_u32_e32 vcc, 0, v2
	v_and_b32_e32 v29, 3, v29
	v_cndmask_b32_e32 v2, v2, v27, vcc
	v_and_b32_sdwa v27, sext(v38), s54 dst_sel:DWORD dst_unused:UNUSED_PAD src0_sel:WORD_0 src1_sel:DWORD
	v_cndmask_b32_e32 v4, v4, v29, vcc
	v_lshl_add_u32 v2, v2, 23, v27
	v_lshl_or_b32 v2, v4, 21, v2
	v_add_u32_e32 v2, 0x38000000, v2
                                        ; implicit-def: $vgpr4
                                        ; implicit-def: $vgpr38
.LBB6_3802:                             ;   in Loop: Header=BB6_2990 Depth=2
	s_andn2_saveexec_b64 s[90:91], s[90:91]
; %bb.3803:                             ;   in Loop: Header=BB6_2990 Depth=2
	v_cmp_lt_i16_e32 vcc, -1, v38
	v_mov_b32_e32 v2, 0xff800000
	v_mov_b32_e32 v27, 0x7f800000
	v_cndmask_b32_e32 v2, v2, v27, vcc
	v_cmp_eq_u32_e32 vcc, 0, v4
	v_mov_b32_e32 v4, 0x7f800001
	v_cndmask_b32_e32 v2, v4, v2, vcc
; %bb.3804:                             ;   in Loop: Header=BB6_2990 Depth=2
	s_or_b64 exec, exec, s[90:91]
.LBB6_3805:                             ;   in Loop: Header=BB6_2990 Depth=2
	s_or_b64 exec, exec, s[88:89]
.LBB6_3806:                             ;   in Loop: Header=BB6_2990 Depth=2
	s_or_b64 exec, exec, s[20:21]
	v_mul_f32_e32 v2, v3, v2
	v_and_b32_e32 v3, 0x7f800000, v2
	v_mov_b32_e32 v4, v28
	v_cmp_ne_u64_e32 vcc, s[60:61], v[3:4]
	v_and_b32_e32 v27, 0x7fffff, v2
                                        ; implicit-def: $vgpr29
	s_and_saveexec_b64 s[20:21], vcc
	s_xor_b64 s[88:89], exec, s[20:21]
	s_cbranch_execz .LBB6_3824
; %bb.3807:                             ;   in Loop: Header=BB6_2990 Depth=2
	v_and_b32_e32 v3, 0x7fffffff, v2
	v_mov_b32_e32 v4, v28
	v_cmp_gt_u64_e32 vcc, s[62:63], v[3:4]
	v_and_b32_sdwa v30, v2, s55 dst_sel:DWORD dst_unused:UNUSED_PAD src0_sel:BYTE_3 src1_sel:DWORD
                                        ; implicit-def: $vgpr29
	s_and_saveexec_b64 s[20:21], vcc
	s_xor_b64 s[90:91], exec, s[20:21]
	s_cbranch_execz .LBB6_3821
; %bb.3808:                             ;   in Loop: Header=BB6_2990 Depth=2
	v_cmp_ne_u32_e32 vcc, 0, v2
	v_mov_b32_e32 v29, 0
	s_and_saveexec_b64 s[92:93], vcc
	s_cbranch_execz .LBB6_3820
; %bb.3809:                             ;   in Loop: Header=BB6_2990 Depth=2
	v_bfe_u32 v29, v2, 23, 8
	v_cmp_gt_u32_e64 s[20:21], s64, v29
	v_sub_u32_e32 v2, 0x71, v29
	v_cmp_eq_u32_e32 vcc, 0, v29
	v_cndmask_b32_e64 v2, 0, v2, s[20:21]
	v_mov_b32_e32 v4, 0x70
	v_cndmask_b32_e32 v38, v2, v4, vcc
	v_add_u32_e32 v4, 21, v38
	v_or_b32_e32 v3, 0x800000, v27
	v_lshlrev_b64 v[33:34], v4, -1
	v_cndmask_b32_e32 v2, v3, v27, vcc
	v_mov_b32_e32 v3, v28
	v_add_u32_e32 v4, 20, v38
	v_mov_b32_e32 v48, v35
	v_bfi_b32 v33, v33, 0, v2
	v_lshlrev_b64 v[35:36], v4, 1
	v_lshrrev_b64 v[2:3], v38, v[2:3]
	v_bfi_b32 v34, v34, 0, 0
	v_cmp_eq_u64_e64 s[20:21], v[33:34], v[35:36]
	v_mov_b32_e32 v4, v3
	v_mov_b32_e32 v3, v2
	s_and_saveexec_b64 s[94:95], s[20:21]
; %bb.3810:                             ;   in Loop: Header=BB6_2990 Depth=2
	v_bfe_u32 v3, v2, 21, 1
	v_add_co_u32_e64 v3, s[20:21], v2, v3
	v_add_co_u32_e64 v3, s[20:21], -1, v3
; %bb.3811:                             ;   in Loop: Header=BB6_2990 Depth=2
	s_or_b64 exec, exec, s[94:95]
	v_add_u32_e32 v4, 0xffffff81, v29
	v_mov_b32_e32 v27, 0xffffff82
	v_cndmask_b32_e32 v4, v4, v27, vcc
	v_lshrrev_b32_e32 v27, 23, v2
	v_add3_u32 v38, v38, v4, v27
	v_add_u32_e32 v29, 14, v38
	v_and_b32_e32 v3, 0x1fffff, v3
	v_add_u32_e32 v27, v3, v2
	v_cmp_ne_u32_e32 vcc, 0, v29
                                        ; implicit-def: $vgpr2_vgpr3
                                        ; implicit-def: $vgpr4
	s_and_saveexec_b64 s[20:21], vcc
	s_xor_b64 s[20:21], exec, s[20:21]
; %bb.3812:                             ;   in Loop: Header=BB6_2990 Depth=2
	v_cmp_lt_u64_e32 vcc, s[72:73], v[27:28]
	v_add_u32_e32 v2, 15, v38
	v_cndmask_b32_e32 v4, v29, v2, vcc
	v_cndmask_b32_e64 v2, 0, 1, vcc
	v_lshrrev_b64 v[2:3], v2, v[27:28]
; %bb.3813:                             ;   in Loop: Header=BB6_2990 Depth=2
	s_or_saveexec_b64 s[20:21], s[20:21]
	v_mov_b32_e32 v35, v48
	s_xor_b64 exec, exec, s[20:21]
; %bb.3814:                             ;   in Loop: Header=BB6_2990 Depth=2
	v_mov_b32_e32 v2, v27
	v_mov_b32_e32 v3, v28
	v_bfe_u32 v4, v27, 23, 1
; %bb.3815:                             ;   in Loop: Header=BB6_2990 Depth=2
	s_or_b64 exec, exec, s[20:21]
	v_lshrrev_b64 v[2:3], 21, v[2:3]
	v_cmp_gt_i32_e32 vcc, 32, v4
	v_cndmask_b32_e32 v3, 0, v3, vcc
	v_cndmask_b32_e32 v2, 3, v2, vcc
	v_cmp_ne_u64_e32 vcc, 0, v[2:3]
	v_cmp_ne_u32_e64 s[20:21], 0, v4
	s_or_b64 s[20:21], s[20:21], vcc
                                        ; implicit-def: $vgpr29
	s_and_saveexec_b64 s[94:95], s[20:21]
	s_xor_b64 s[20:21], exec, s[94:95]
; %bb.3816:                             ;   in Loop: Header=BB6_2990 Depth=2
	v_min_i32_e32 v3, 31, v4
	v_lshl_or_b32 v3, v3, 2, v30
	v_and_or_b32 v29, v2, 3, v3
                                        ; implicit-def: $vgpr30
; %bb.3817:                             ;   in Loop: Header=BB6_2990 Depth=2
	s_andn2_saveexec_b64 s[20:21], s[20:21]
; %bb.3818:                             ;   in Loop: Header=BB6_2990 Depth=2
	v_mov_b32_e32 v29, v30
; %bb.3819:                             ;   in Loop: Header=BB6_2990 Depth=2
	s_or_b64 exec, exec, s[20:21]
.LBB6_3820:                             ;   in Loop: Header=BB6_2990 Depth=2
	s_or_b64 exec, exec, s[92:93]
                                        ; implicit-def: $vgpr30
.LBB6_3821:                             ;   in Loop: Header=BB6_2990 Depth=2
	s_andn2_saveexec_b64 s[20:21], s[90:91]
; %bb.3822:                             ;   in Loop: Header=BB6_2990 Depth=2
	v_or_b32_e32 v29, 0x7b, v30
; %bb.3823:                             ;   in Loop: Header=BB6_2990 Depth=2
	s_or_b64 exec, exec, s[20:21]
                                        ; implicit-def: $vgpr2
.LBB6_3824:                             ;   in Loop: Header=BB6_2990 Depth=2
	s_andn2_saveexec_b64 s[20:21], s[88:89]
	s_cbranch_execz .LBB6_3830
; %bb.3825:                             ;   in Loop: Header=BB6_2990 Depth=2
	v_cmp_ne_u64_e32 vcc, 0, v[27:28]
                                        ; implicit-def: $vgpr29
	s_and_saveexec_b64 s[88:89], vcc
	s_xor_b64 s[88:89], exec, s[88:89]
; %bb.3826:                             ;   in Loop: Header=BB6_2990 Depth=2
	v_or_b32_sdwa v29, v2, s65 dst_sel:DWORD dst_unused:UNUSED_PAD src0_sel:BYTE_3 src1_sel:DWORD
                                        ; implicit-def: $vgpr2
; %bb.3827:                             ;   in Loop: Header=BB6_2990 Depth=2
	s_andn2_saveexec_b64 s[88:89], s[88:89]
; %bb.3828:                             ;   in Loop: Header=BB6_2990 Depth=2
	v_cmp_lt_i32_e32 vcc, -1, v2
	v_mov_b32_e32 v2, 0x7c
	v_cndmask_b32_e32 v29, -4, v2, vcc
; %bb.3829:                             ;   in Loop: Header=BB6_2990 Depth=2
	s_or_b64 exec, exec, s[88:89]
.LBB6_3830:                             ;   in Loop: Header=BB6_2990 Depth=2
	s_or_b64 exec, exec, s[20:21]
	v_cmp_ne_u16_e32 vcc, 0, v37
	v_mov_b32_e32 v2, 0
	v_mov_b32_e32 v3, 0
	s_and_saveexec_b64 s[20:21], vcc
	s_cbranch_execz .LBB6_3838
; %bb.3831:                             ;   in Loop: Header=BB6_2990 Depth=2
	v_cmp_ne_u16_e32 vcc, s52, v37
	v_bfrev_b32_e32 v3, 1
	s_and_saveexec_b64 s[88:89], vcc
	s_cbranch_execz .LBB6_3837
; %bb.3832:                             ;   in Loop: Header=BB6_2990 Depth=2
	v_and_b32_e32 v3, 0x7c, v37
	v_and_b32_e32 v4, 3, v37
	v_cmp_ne_u32_e32 vcc, s53, v3
                                        ; implicit-def: $vgpr3
	s_and_saveexec_b64 s[90:91], vcc
	s_xor_b64 s[90:91], exec, s[90:91]
	s_cbranch_execz .LBB6_3834
; %bb.3833:                             ;   in Loop: Header=BB6_2990 Depth=2
	v_ffbh_u32_e32 v27, v4
	v_min_u32_e32 v27, 32, v27
	v_and_b32_e32 v3, 0xff, v37
	v_mov_b32_e32 v38, v28
	v_subrev_u32_e32 v30, 29, v27
	v_bfe_u32 v3, v3, 2, 5
	v_lshlrev_b64 v[33:34], v30, v[37:38]
	v_sub_u32_e32 v27, 30, v27
	v_cmp_eq_u32_e32 vcc, 0, v3
	v_and_b32_e32 v30, 3, v33
	v_cndmask_b32_e32 v3, v3, v27, vcc
	v_and_b32_sdwa v27, sext(v37), s54 dst_sel:DWORD dst_unused:UNUSED_PAD src0_sel:WORD_0 src1_sel:DWORD
	v_cndmask_b32_e32 v4, v4, v30, vcc
	v_lshl_add_u32 v3, v3, 23, v27
	v_lshl_or_b32 v3, v4, 21, v3
	v_add_u32_e32 v3, 0x38000000, v3
                                        ; implicit-def: $vgpr4
                                        ; implicit-def: $vgpr37
.LBB6_3834:                             ;   in Loop: Header=BB6_2990 Depth=2
	s_andn2_saveexec_b64 s[90:91], s[90:91]
; %bb.3835:                             ;   in Loop: Header=BB6_2990 Depth=2
	v_cmp_lt_i16_e32 vcc, -1, v37
	v_mov_b32_e32 v3, 0xff800000
	v_mov_b32_e32 v27, 0x7f800000
	v_cndmask_b32_e32 v3, v3, v27, vcc
	v_cmp_eq_u32_e32 vcc, 0, v4
	v_mov_b32_e32 v4, 0x7f800001
	v_cndmask_b32_e32 v3, v4, v3, vcc
; %bb.3836:                             ;   in Loop: Header=BB6_2990 Depth=2
	s_or_b64 exec, exec, s[90:91]
.LBB6_3837:                             ;   in Loop: Header=BB6_2990 Depth=2
	s_or_b64 exec, exec, s[88:89]
.LBB6_3838:                             ;   in Loop: Header=BB6_2990 Depth=2
	s_or_b64 exec, exec, s[20:21]
	v_cmp_ne_u16_e32 vcc, 0, v35
	s_and_saveexec_b64 s[20:21], vcc
	s_cbranch_execz .LBB6_3846
; %bb.3839:                             ;   in Loop: Header=BB6_2990 Depth=2
	v_cmp_ne_u16_e32 vcc, s52, v35
	v_bfrev_b32_e32 v2, 1
	s_and_saveexec_b64 s[88:89], vcc
	s_cbranch_execz .LBB6_3845
; %bb.3840:                             ;   in Loop: Header=BB6_2990 Depth=2
	v_and_b32_e32 v2, 0x7c, v35
	v_and_b32_e32 v4, 3, v35
	v_cmp_ne_u32_e32 vcc, s53, v2
                                        ; implicit-def: $vgpr2
	s_and_saveexec_b64 s[90:91], vcc
	s_xor_b64 s[90:91], exec, s[90:91]
	s_cbranch_execz .LBB6_3842
; %bb.3841:                             ;   in Loop: Header=BB6_2990 Depth=2
	v_ffbh_u32_e32 v27, v4
	v_min_u32_e32 v27, 32, v27
	v_and_b32_e32 v2, 0xff, v35
	v_mov_b32_e32 v36, v28
	v_subrev_u32_e32 v30, 29, v27
	v_bfe_u32 v2, v2, 2, 5
	v_lshlrev_b64 v[33:34], v30, v[35:36]
	v_sub_u32_e32 v27, 30, v27
	v_cmp_eq_u32_e32 vcc, 0, v2
	v_and_b32_e32 v30, 3, v33
	v_cndmask_b32_e32 v2, v2, v27, vcc
	v_and_b32_sdwa v27, sext(v35), s54 dst_sel:DWORD dst_unused:UNUSED_PAD src0_sel:WORD_0 src1_sel:DWORD
	v_cndmask_b32_e32 v4, v4, v30, vcc
	v_lshl_add_u32 v2, v2, 23, v27
	v_lshl_or_b32 v2, v4, 21, v2
	v_add_u32_e32 v2, 0x38000000, v2
                                        ; implicit-def: $vgpr4
                                        ; implicit-def: $vgpr35
.LBB6_3842:                             ;   in Loop: Header=BB6_2990 Depth=2
	s_andn2_saveexec_b64 s[90:91], s[90:91]
; %bb.3843:                             ;   in Loop: Header=BB6_2990 Depth=2
	v_cmp_lt_i16_e32 vcc, -1, v35
	v_mov_b32_e32 v2, 0xff800000
	v_mov_b32_e32 v27, 0x7f800000
	v_cndmask_b32_e32 v2, v2, v27, vcc
	v_cmp_eq_u32_e32 vcc, 0, v4
	v_mov_b32_e32 v4, 0x7f800001
	v_cndmask_b32_e32 v2, v4, v2, vcc
; %bb.3844:                             ;   in Loop: Header=BB6_2990 Depth=2
	s_or_b64 exec, exec, s[90:91]
.LBB6_3845:                             ;   in Loop: Header=BB6_2990 Depth=2
	s_or_b64 exec, exec, s[88:89]
.LBB6_3846:                             ;   in Loop: Header=BB6_2990 Depth=2
	s_or_b64 exec, exec, s[20:21]
	v_mul_f32_e32 v2, v3, v2
	v_and_b32_e32 v3, 0x7f800000, v2
	v_mov_b32_e32 v4, v28
	v_cmp_ne_u64_e32 vcc, s[60:61], v[3:4]
	v_and_b32_e32 v27, 0x7fffff, v2
                                        ; implicit-def: $vgpr30
	s_and_saveexec_b64 s[20:21], vcc
	s_xor_b64 s[88:89], exec, s[20:21]
	s_cbranch_execz .LBB6_3864
; %bb.3847:                             ;   in Loop: Header=BB6_2990 Depth=2
	v_and_b32_e32 v3, 0x7fffffff, v2
	v_mov_b32_e32 v4, v28
	v_cmp_gt_u64_e32 vcc, s[62:63], v[3:4]
	v_and_b32_sdwa v36, v2, s55 dst_sel:DWORD dst_unused:UNUSED_PAD src0_sel:BYTE_3 src1_sel:DWORD
                                        ; implicit-def: $vgpr30
	s_and_saveexec_b64 s[20:21], vcc
	s_xor_b64 s[90:91], exec, s[20:21]
	s_cbranch_execz .LBB6_3861
; %bb.3848:                             ;   in Loop: Header=BB6_2990 Depth=2
	v_cmp_ne_u32_e32 vcc, 0, v2
	v_mov_b32_e32 v30, 0
	s_and_saveexec_b64 s[92:93], vcc
	s_cbranch_execz .LBB6_3860
; %bb.3849:                             ;   in Loop: Header=BB6_2990 Depth=2
	v_bfe_u32 v30, v2, 23, 8
	v_cmp_gt_u32_e64 s[20:21], s64, v30
	v_sub_u32_e32 v2, 0x71, v30
	v_cmp_eq_u32_e32 vcc, 0, v30
	v_cndmask_b32_e64 v2, 0, v2, s[20:21]
	v_mov_b32_e32 v4, 0x70
	v_cndmask_b32_e32 v37, v2, v4, vcc
	v_add_u32_e32 v4, 21, v37
	v_or_b32_e32 v3, 0x800000, v27
	v_lshlrev_b64 v[33:34], v4, -1
	v_cndmask_b32_e32 v2, v3, v27, vcc
	v_mov_b32_e32 v3, v28
	v_add_u32_e32 v4, 20, v37
	v_bfi_b32 v33, v33, 0, v2
	v_lshlrev_b64 v[38:39], v4, 1
	v_lshrrev_b64 v[2:3], v37, v[2:3]
	v_bfi_b32 v34, v34, 0, 0
	v_cmp_eq_u64_e64 s[20:21], v[33:34], v[38:39]
	v_mov_b32_e32 v4, v3
	v_mov_b32_e32 v3, v2
	s_and_saveexec_b64 s[94:95], s[20:21]
; %bb.3850:                             ;   in Loop: Header=BB6_2990 Depth=2
	v_bfe_u32 v3, v2, 21, 1
	v_add_co_u32_e64 v3, s[20:21], v2, v3
	v_add_co_u32_e64 v3, s[20:21], -1, v3
; %bb.3851:                             ;   in Loop: Header=BB6_2990 Depth=2
	s_or_b64 exec, exec, s[94:95]
	v_add_u32_e32 v4, 0xffffff81, v30
	v_mov_b32_e32 v27, 0xffffff82
	v_cndmask_b32_e32 v4, v4, v27, vcc
	v_lshrrev_b32_e32 v27, 23, v2
	v_add3_u32 v37, v37, v4, v27
	v_add_u32_e32 v30, 14, v37
	v_and_b32_e32 v3, 0x1fffff, v3
	v_add_u32_e32 v27, v3, v2
	v_cmp_ne_u32_e32 vcc, 0, v30
                                        ; implicit-def: $vgpr2_vgpr3
                                        ; implicit-def: $vgpr4
	s_and_saveexec_b64 s[20:21], vcc
	s_xor_b64 s[20:21], exec, s[20:21]
; %bb.3852:                             ;   in Loop: Header=BB6_2990 Depth=2
	v_cmp_lt_u64_e32 vcc, s[72:73], v[27:28]
	v_add_u32_e32 v2, 15, v37
	v_cndmask_b32_e32 v4, v30, v2, vcc
	v_cndmask_b32_e64 v2, 0, 1, vcc
	v_lshrrev_b64 v[2:3], v2, v[27:28]
; %bb.3853:                             ;   in Loop: Header=BB6_2990 Depth=2
	s_andn2_saveexec_b64 s[20:21], s[20:21]
; %bb.3854:                             ;   in Loop: Header=BB6_2990 Depth=2
	v_mov_b32_e32 v2, v27
	v_mov_b32_e32 v3, v28
	v_bfe_u32 v4, v27, 23, 1
; %bb.3855:                             ;   in Loop: Header=BB6_2990 Depth=2
	s_or_b64 exec, exec, s[20:21]
	v_lshrrev_b64 v[2:3], 21, v[2:3]
	v_cmp_gt_i32_e32 vcc, 32, v4
	v_cndmask_b32_e32 v3, 0, v3, vcc
	v_cndmask_b32_e32 v2, 3, v2, vcc
	v_cmp_ne_u64_e32 vcc, 0, v[2:3]
	v_cmp_ne_u32_e64 s[20:21], 0, v4
	s_or_b64 s[20:21], s[20:21], vcc
                                        ; implicit-def: $vgpr30
	s_and_saveexec_b64 s[94:95], s[20:21]
	s_xor_b64 s[20:21], exec, s[94:95]
; %bb.3856:                             ;   in Loop: Header=BB6_2990 Depth=2
	v_min_i32_e32 v3, 31, v4
	v_lshl_or_b32 v3, v3, 2, v36
	v_and_or_b32 v30, v2, 3, v3
                                        ; implicit-def: $vgpr36
; %bb.3857:                             ;   in Loop: Header=BB6_2990 Depth=2
	s_andn2_saveexec_b64 s[20:21], s[20:21]
; %bb.3858:                             ;   in Loop: Header=BB6_2990 Depth=2
	v_mov_b32_e32 v30, v36
; %bb.3859:                             ;   in Loop: Header=BB6_2990 Depth=2
	s_or_b64 exec, exec, s[20:21]
.LBB6_3860:                             ;   in Loop: Header=BB6_2990 Depth=2
	s_or_b64 exec, exec, s[92:93]
                                        ; implicit-def: $vgpr36
.LBB6_3861:                             ;   in Loop: Header=BB6_2990 Depth=2
	s_andn2_saveexec_b64 s[20:21], s[90:91]
; %bb.3862:                             ;   in Loop: Header=BB6_2990 Depth=2
	v_or_b32_e32 v30, 0x7b, v36
; %bb.3863:                             ;   in Loop: Header=BB6_2990 Depth=2
	s_or_b64 exec, exec, s[20:21]
                                        ; implicit-def: $vgpr2
.LBB6_3864:                             ;   in Loop: Header=BB6_2990 Depth=2
	s_andn2_saveexec_b64 s[20:21], s[88:89]
	s_cbranch_execz .LBB6_3870
; %bb.3865:                             ;   in Loop: Header=BB6_2990 Depth=2
	v_cmp_ne_u64_e32 vcc, 0, v[27:28]
                                        ; implicit-def: $vgpr30
	s_and_saveexec_b64 s[88:89], vcc
	s_xor_b64 s[88:89], exec, s[88:89]
; %bb.3866:                             ;   in Loop: Header=BB6_2990 Depth=2
	v_or_b32_sdwa v30, v2, s65 dst_sel:DWORD dst_unused:UNUSED_PAD src0_sel:BYTE_3 src1_sel:DWORD
                                        ; implicit-def: $vgpr2
; %bb.3867:                             ;   in Loop: Header=BB6_2990 Depth=2
	s_andn2_saveexec_b64 s[88:89], s[88:89]
; %bb.3868:                             ;   in Loop: Header=BB6_2990 Depth=2
	v_cmp_lt_i32_e32 vcc, -1, v2
	v_mov_b32_e32 v2, 0x7c
	v_cndmask_b32_e32 v30, -4, v2, vcc
; %bb.3869:                             ;   in Loop: Header=BB6_2990 Depth=2
	s_or_b64 exec, exec, s[88:89]
.LBB6_3870:                             ;   in Loop: Header=BB6_2990 Depth=2
	s_or_b64 exec, exec, s[20:21]
	buffer_load_dword v2, off, s[0:3], s33 offset:228 ; 4-byte Folded Reload
	buffer_load_dword v3, off, s[0:3], s33 offset:232 ; 4-byte Folded Reload
	s_waitcnt vmcnt(0)
	v_mov_b32_e32 v3, 0
	v_mov_b32_e32 v27, v2
	v_cmp_ne_u16_e32 vcc, 0, v27
	v_mov_b32_e32 v2, 0
	s_and_saveexec_b64 s[20:21], vcc
	s_cbranch_execz .LBB6_3878
; %bb.3871:                             ;   in Loop: Header=BB6_2990 Depth=2
	v_cmp_ne_u16_e32 vcc, s52, v27
	v_bfrev_b32_e32 v3, 1
	s_and_saveexec_b64 s[88:89], vcc
	s_cbranch_execz .LBB6_3877
; %bb.3872:                             ;   in Loop: Header=BB6_2990 Depth=2
	v_and_b32_e32 v3, 0x7c, v27
	v_and_b32_e32 v4, 3, v27
	v_cmp_ne_u32_e32 vcc, s53, v3
                                        ; implicit-def: $vgpr3
	s_and_saveexec_b64 s[90:91], vcc
	s_xor_b64 s[90:91], exec, s[90:91]
	s_cbranch_execz .LBB6_3874
; %bb.3873:                             ;   in Loop: Header=BB6_2990 Depth=2
	buffer_load_dword v35, off, s[0:3], s33 offset:228 ; 4-byte Folded Reload
	buffer_load_dword v36, off, s[0:3], s33 offset:232 ; 4-byte Folded Reload
	v_ffbh_u32_e32 v27, v4
	v_min_u32_e32 v27, 32, v27
	s_waitcnt vmcnt(0)
	v_mov_b32_e32 v36, v28
	v_subrev_u32_e32 v33, 29, v27
	v_sub_u32_e32 v27, 30, v27
	v_and_b32_e32 v3, 0xff, v35
	v_bfe_u32 v3, v3, 2, 5
	v_lshlrev_b64 v[33:34], v33, v[35:36]
	v_cmp_eq_u32_e32 vcc, 0, v3
	v_and_b32_e32 v33, 3, v33
	v_cndmask_b32_e32 v3, v3, v27, vcc
	v_and_b32_sdwa v27, sext(v35), s54 dst_sel:DWORD dst_unused:UNUSED_PAD src0_sel:WORD_0 src1_sel:DWORD
	v_cndmask_b32_e32 v4, v4, v33, vcc
	v_lshl_add_u32 v3, v3, 23, v27
	v_lshl_or_b32 v3, v4, 21, v3
	v_add_u32_e32 v3, 0x38000000, v3
                                        ; implicit-def: $vgpr27
                                        ; implicit-def: $vgpr4
	buffer_store_dword v27, off, s[0:3], s33 offset:228 ; 4-byte Folded Spill
	s_nop 0
	buffer_store_dword v28, off, s[0:3], s33 offset:232 ; 4-byte Folded Spill
.LBB6_3874:                             ;   in Loop: Header=BB6_2990 Depth=2
	s_andn2_saveexec_b64 s[90:91], s[90:91]
	s_cbranch_execz .LBB6_3876
; %bb.3875:                             ;   in Loop: Header=BB6_2990 Depth=2
	buffer_load_dword v33, off, s[0:3], s33 offset:228 ; 4-byte Folded Reload
	buffer_load_dword v34, off, s[0:3], s33 offset:232 ; 4-byte Folded Reload
	v_mov_b32_e32 v3, 0xff800000
	v_mov_b32_e32 v27, 0x7f800000
	s_waitcnt vmcnt(1)
	v_cmp_lt_i16_e32 vcc, -1, v33
	v_cndmask_b32_e32 v3, v3, v27, vcc
	v_cmp_eq_u32_e32 vcc, 0, v4
	v_mov_b32_e32 v4, 0x7f800001
	v_cndmask_b32_e32 v3, v4, v3, vcc
.LBB6_3876:                             ;   in Loop: Header=BB6_2990 Depth=2
	s_or_b64 exec, exec, s[90:91]
.LBB6_3877:                             ;   in Loop: Header=BB6_2990 Depth=2
	s_or_b64 exec, exec, s[88:89]
.LBB6_3878:                             ;   in Loop: Header=BB6_2990 Depth=2
	s_or_b64 exec, exec, s[20:21]
	buffer_load_dword v33, off, s[0:3], s33 offset:220 ; 4-byte Folded Reload
	buffer_load_dword v34, off, s[0:3], s33 offset:224 ; 4-byte Folded Reload
	s_waitcnt vmcnt(1)
	v_mov_b32_e32 v27, v33
	v_cmp_ne_u16_e32 vcc, 0, v27
	s_and_saveexec_b64 s[20:21], vcc
	s_cbranch_execz .LBB6_3886
; %bb.3879:                             ;   in Loop: Header=BB6_2990 Depth=2
	v_cmp_ne_u16_e32 vcc, s52, v27
	v_bfrev_b32_e32 v2, 1
	s_and_saveexec_b64 s[88:89], vcc
	s_cbranch_execz .LBB6_3885
; %bb.3880:                             ;   in Loop: Header=BB6_2990 Depth=2
	v_and_b32_e32 v2, 0x7c, v27
	v_and_b32_e32 v4, 3, v27
	v_cmp_ne_u32_e32 vcc, s53, v2
                                        ; implicit-def: $vgpr2
	s_and_saveexec_b64 s[90:91], vcc
	s_xor_b64 s[90:91], exec, s[90:91]
	s_cbranch_execz .LBB6_3882
; %bb.3881:                             ;   in Loop: Header=BB6_2990 Depth=2
	buffer_load_dword v35, off, s[0:3], s33 offset:220 ; 4-byte Folded Reload
	buffer_load_dword v36, off, s[0:3], s33 offset:224 ; 4-byte Folded Reload
	v_ffbh_u32_e32 v27, v4
	v_min_u32_e32 v27, 32, v27
	s_waitcnt vmcnt(0)
	v_mov_b32_e32 v36, v28
	v_subrev_u32_e32 v33, 29, v27
	v_sub_u32_e32 v27, 30, v27
	v_and_b32_e32 v2, 0xff, v35
	v_bfe_u32 v2, v2, 2, 5
	v_lshlrev_b64 v[33:34], v33, v[35:36]
	v_cmp_eq_u32_e32 vcc, 0, v2
	v_and_b32_e32 v33, 3, v33
	v_cndmask_b32_e32 v2, v2, v27, vcc
	v_and_b32_sdwa v27, sext(v35), s54 dst_sel:DWORD dst_unused:UNUSED_PAD src0_sel:WORD_0 src1_sel:DWORD
	v_cndmask_b32_e32 v4, v4, v33, vcc
	v_lshl_add_u32 v2, v2, 23, v27
	v_lshl_or_b32 v2, v4, 21, v2
	v_add_u32_e32 v2, 0x38000000, v2
                                        ; implicit-def: $vgpr27
                                        ; implicit-def: $vgpr4
	buffer_store_dword v27, off, s[0:3], s33 offset:220 ; 4-byte Folded Spill
	s_nop 0
	buffer_store_dword v28, off, s[0:3], s33 offset:224 ; 4-byte Folded Spill
.LBB6_3882:                             ;   in Loop: Header=BB6_2990 Depth=2
	s_andn2_saveexec_b64 s[90:91], s[90:91]
	s_cbranch_execz .LBB6_3884
; %bb.3883:                             ;   in Loop: Header=BB6_2990 Depth=2
	buffer_load_dword v33, off, s[0:3], s33 offset:220 ; 4-byte Folded Reload
	buffer_load_dword v34, off, s[0:3], s33 offset:224 ; 4-byte Folded Reload
	v_mov_b32_e32 v2, 0xff800000
	v_mov_b32_e32 v27, 0x7f800000
	s_waitcnt vmcnt(1)
	v_cmp_lt_i16_e32 vcc, -1, v33
	v_cndmask_b32_e32 v2, v2, v27, vcc
	v_cmp_eq_u32_e32 vcc, 0, v4
	v_mov_b32_e32 v4, 0x7f800001
	v_cndmask_b32_e32 v2, v4, v2, vcc
.LBB6_3884:                             ;   in Loop: Header=BB6_2990 Depth=2
	s_or_b64 exec, exec, s[90:91]
.LBB6_3885:                             ;   in Loop: Header=BB6_2990 Depth=2
	s_or_b64 exec, exec, s[88:89]
.LBB6_3886:                             ;   in Loop: Header=BB6_2990 Depth=2
	s_or_b64 exec, exec, s[20:21]
	v_mul_f32_e32 v2, v3, v2
	v_and_b32_e32 v3, 0x7f800000, v2
	v_mov_b32_e32 v4, v28
	v_cmp_ne_u64_e32 vcc, s[60:61], v[3:4]
	v_and_b32_e32 v27, 0x7fffff, v2
                                        ; implicit-def: $vgpr35
	s_and_saveexec_b64 s[20:21], vcc
	s_xor_b64 s[88:89], exec, s[20:21]
	s_cbranch_execz .LBB6_3904
; %bb.3887:                             ;   in Loop: Header=BB6_2990 Depth=2
	v_and_b32_e32 v3, 0x7fffffff, v2
	v_mov_b32_e32 v4, v28
	v_cmp_gt_u64_e32 vcc, s[62:63], v[3:4]
	s_waitcnt vmcnt(0)
	v_and_b32_sdwa v34, v2, s55 dst_sel:DWORD dst_unused:UNUSED_PAD src0_sel:BYTE_3 src1_sel:DWORD
                                        ; implicit-def: $vgpr35
	s_and_saveexec_b64 s[20:21], vcc
	s_xor_b64 s[90:91], exec, s[20:21]
	s_cbranch_execz .LBB6_3901
; %bb.3888:                             ;   in Loop: Header=BB6_2990 Depth=2
	v_cmp_ne_u32_e32 vcc, 0, v2
	v_mov_b32_e32 v35, 0
	s_and_saveexec_b64 s[92:93], vcc
	s_cbranch_execz .LBB6_3900
; %bb.3889:                             ;   in Loop: Header=BB6_2990 Depth=2
	v_bfe_u32 v35, v2, 23, 8
	v_cmp_gt_u32_e64 s[20:21], s64, v35
	v_sub_u32_e32 v2, 0x71, v35
	v_cmp_eq_u32_e32 vcc, 0, v35
	v_cndmask_b32_e64 v2, 0, v2, s[20:21]
	v_mov_b32_e32 v4, 0x70
	v_cndmask_b32_e32 v36, v2, v4, vcc
	v_add_u32_e32 v4, 21, v36
	v_or_b32_e32 v3, 0x800000, v27
	v_lshlrev_b64 v[37:38], v4, -1
	v_cndmask_b32_e32 v2, v3, v27, vcc
	v_mov_b32_e32 v3, v28
	v_add_u32_e32 v4, 20, v36
	v_bfi_b32 v37, v37, 0, v2
	v_lshlrev_b64 v[48:49], v4, 1
	v_lshrrev_b64 v[2:3], v36, v[2:3]
	v_bfi_b32 v38, v38, 0, 0
	v_cmp_eq_u64_e64 s[20:21], v[37:38], v[48:49]
	v_mov_b32_e32 v4, v3
	v_mov_b32_e32 v3, v2
	s_and_saveexec_b64 s[94:95], s[20:21]
; %bb.3890:                             ;   in Loop: Header=BB6_2990 Depth=2
	v_bfe_u32 v3, v2, 21, 1
	v_add_co_u32_e64 v3, s[20:21], v2, v3
	v_add_co_u32_e64 v3, s[20:21], -1, v3
; %bb.3891:                             ;   in Loop: Header=BB6_2990 Depth=2
	s_or_b64 exec, exec, s[94:95]
	v_add_u32_e32 v4, 0xffffff81, v35
	v_mov_b32_e32 v27, 0xffffff82
	v_cndmask_b32_e32 v4, v4, v27, vcc
	v_lshrrev_b32_e32 v27, 23, v2
	v_add3_u32 v36, v36, v4, v27
	v_add_u32_e32 v35, 14, v36
	v_and_b32_e32 v3, 0x1fffff, v3
	v_add_u32_e32 v27, v3, v2
	v_cmp_ne_u32_e32 vcc, 0, v35
                                        ; implicit-def: $vgpr2_vgpr3
                                        ; implicit-def: $vgpr4
	s_and_saveexec_b64 s[20:21], vcc
	s_xor_b64 s[20:21], exec, s[20:21]
; %bb.3892:                             ;   in Loop: Header=BB6_2990 Depth=2
	v_cmp_lt_u64_e32 vcc, s[72:73], v[27:28]
	v_add_u32_e32 v2, 15, v36
	v_cndmask_b32_e32 v4, v35, v2, vcc
	v_cndmask_b32_e64 v2, 0, 1, vcc
	v_lshrrev_b64 v[2:3], v2, v[27:28]
; %bb.3893:                             ;   in Loop: Header=BB6_2990 Depth=2
	s_andn2_saveexec_b64 s[20:21], s[20:21]
; %bb.3894:                             ;   in Loop: Header=BB6_2990 Depth=2
	v_mov_b32_e32 v2, v27
	v_mov_b32_e32 v3, v28
	v_bfe_u32 v4, v27, 23, 1
; %bb.3895:                             ;   in Loop: Header=BB6_2990 Depth=2
	s_or_b64 exec, exec, s[20:21]
	v_lshrrev_b64 v[2:3], 21, v[2:3]
	v_cmp_gt_i32_e32 vcc, 32, v4
	v_cndmask_b32_e32 v3, 0, v3, vcc
	v_cndmask_b32_e32 v2, 3, v2, vcc
	v_cmp_ne_u64_e32 vcc, 0, v[2:3]
	v_cmp_ne_u32_e64 s[20:21], 0, v4
	s_or_b64 s[20:21], s[20:21], vcc
                                        ; implicit-def: $vgpr35
	s_and_saveexec_b64 s[94:95], s[20:21]
	s_xor_b64 s[20:21], exec, s[94:95]
; %bb.3896:                             ;   in Loop: Header=BB6_2990 Depth=2
	v_min_i32_e32 v3, 31, v4
	v_lshl_or_b32 v3, v3, 2, v34
	v_and_or_b32 v35, v2, 3, v3
                                        ; implicit-def: $vgpr34
; %bb.3897:                             ;   in Loop: Header=BB6_2990 Depth=2
	s_andn2_saveexec_b64 s[20:21], s[20:21]
; %bb.3898:                             ;   in Loop: Header=BB6_2990 Depth=2
	v_mov_b32_e32 v35, v34
; %bb.3899:                             ;   in Loop: Header=BB6_2990 Depth=2
	s_or_b64 exec, exec, s[20:21]
.LBB6_3900:                             ;   in Loop: Header=BB6_2990 Depth=2
	s_or_b64 exec, exec, s[92:93]
                                        ; implicit-def: $vgpr34
.LBB6_3901:                             ;   in Loop: Header=BB6_2990 Depth=2
	s_andn2_saveexec_b64 s[20:21], s[90:91]
; %bb.3902:                             ;   in Loop: Header=BB6_2990 Depth=2
	v_or_b32_e32 v35, 0x7b, v34
; %bb.3903:                             ;   in Loop: Header=BB6_2990 Depth=2
	s_or_b64 exec, exec, s[20:21]
                                        ; implicit-def: $vgpr2
.LBB6_3904:                             ;   in Loop: Header=BB6_2990 Depth=2
	s_andn2_saveexec_b64 s[20:21], s[88:89]
	s_cbranch_execz .LBB6_3910
; %bb.3905:                             ;   in Loop: Header=BB6_2990 Depth=2
	v_cmp_ne_u64_e32 vcc, 0, v[27:28]
                                        ; implicit-def: $vgpr35
	s_and_saveexec_b64 s[88:89], vcc
	s_xor_b64 s[88:89], exec, s[88:89]
; %bb.3906:                             ;   in Loop: Header=BB6_2990 Depth=2
	v_or_b32_sdwa v35, v2, s65 dst_sel:DWORD dst_unused:UNUSED_PAD src0_sel:BYTE_3 src1_sel:DWORD
                                        ; implicit-def: $vgpr2
; %bb.3907:                             ;   in Loop: Header=BB6_2990 Depth=2
	s_andn2_saveexec_b64 s[88:89], s[88:89]
; %bb.3908:                             ;   in Loop: Header=BB6_2990 Depth=2
	v_cmp_lt_i32_e32 vcc, -1, v2
	v_mov_b32_e32 v2, 0x7c
	v_cndmask_b32_e32 v35, -4, v2, vcc
; %bb.3909:                             ;   in Loop: Header=BB6_2990 Depth=2
	s_or_b64 exec, exec, s[88:89]
.LBB6_3910:                             ;   in Loop: Header=BB6_2990 Depth=2
	s_or_b64 exec, exec, s[20:21]
	buffer_load_dword v2, off, s[0:3], s33 offset:212 ; 4-byte Folded Reload
	buffer_load_dword v3, off, s[0:3], s33 offset:216 ; 4-byte Folded Reload
	s_waitcnt vmcnt(0)
	v_mov_b32_e32 v3, 0
	v_mov_b32_e32 v27, v2
	v_cmp_ne_u16_e32 vcc, 0, v27
	v_mov_b32_e32 v2, 0
	s_and_saveexec_b64 s[20:21], vcc
	s_cbranch_execz .LBB6_3918
; %bb.3911:                             ;   in Loop: Header=BB6_2990 Depth=2
	v_cmp_ne_u16_e32 vcc, s52, v27
	v_bfrev_b32_e32 v3, 1
	s_and_saveexec_b64 s[88:89], vcc
	s_cbranch_execz .LBB6_3917
; %bb.3912:                             ;   in Loop: Header=BB6_2990 Depth=2
	v_and_b32_e32 v3, 0x7c, v27
	v_and_b32_e32 v4, 3, v27
	v_cmp_ne_u32_e32 vcc, s53, v3
                                        ; implicit-def: $vgpr3
	s_and_saveexec_b64 s[90:91], vcc
	s_xor_b64 s[90:91], exec, s[90:91]
	s_cbranch_execz .LBB6_3914
; %bb.3913:                             ;   in Loop: Header=BB6_2990 Depth=2
	buffer_load_dword v36, off, s[0:3], s33 offset:212 ; 4-byte Folded Reload
	buffer_load_dword v37, off, s[0:3], s33 offset:216 ; 4-byte Folded Reload
	v_ffbh_u32_e32 v27, v4
	v_min_u32_e32 v27, 32, v27
	s_waitcnt vmcnt(0)
	v_mov_b32_e32 v37, v28
	v_subrev_u32_e32 v33, 29, v27
	v_sub_u32_e32 v27, 30, v27
	v_and_b32_e32 v3, 0xff, v36
	v_bfe_u32 v3, v3, 2, 5
	v_lshlrev_b64 v[33:34], v33, v[36:37]
	v_cmp_eq_u32_e32 vcc, 0, v3
	v_and_b32_e32 v33, 3, v33
	v_cndmask_b32_e32 v3, v3, v27, vcc
	v_and_b32_sdwa v27, sext(v36), s54 dst_sel:DWORD dst_unused:UNUSED_PAD src0_sel:WORD_0 src1_sel:DWORD
	v_cndmask_b32_e32 v4, v4, v33, vcc
	v_lshl_add_u32 v3, v3, 23, v27
	v_lshl_or_b32 v3, v4, 21, v3
	v_add_u32_e32 v3, 0x38000000, v3
                                        ; implicit-def: $vgpr27
                                        ; implicit-def: $vgpr4
	buffer_store_dword v27, off, s[0:3], s33 offset:212 ; 4-byte Folded Spill
	s_nop 0
	buffer_store_dword v28, off, s[0:3], s33 offset:216 ; 4-byte Folded Spill
.LBB6_3914:                             ;   in Loop: Header=BB6_2990 Depth=2
	s_andn2_saveexec_b64 s[90:91], s[90:91]
	s_cbranch_execz .LBB6_3916
; %bb.3915:                             ;   in Loop: Header=BB6_2990 Depth=2
	buffer_load_dword v33, off, s[0:3], s33 offset:212 ; 4-byte Folded Reload
	buffer_load_dword v34, off, s[0:3], s33 offset:216 ; 4-byte Folded Reload
	v_mov_b32_e32 v3, 0xff800000
	v_mov_b32_e32 v27, 0x7f800000
	s_waitcnt vmcnt(1)
	v_cmp_lt_i16_e32 vcc, -1, v33
	v_cndmask_b32_e32 v3, v3, v27, vcc
	v_cmp_eq_u32_e32 vcc, 0, v4
	v_mov_b32_e32 v4, 0x7f800001
	v_cndmask_b32_e32 v3, v4, v3, vcc
.LBB6_3916:                             ;   in Loop: Header=BB6_2990 Depth=2
	s_or_b64 exec, exec, s[90:91]
.LBB6_3917:                             ;   in Loop: Header=BB6_2990 Depth=2
	s_or_b64 exec, exec, s[88:89]
.LBB6_3918:                             ;   in Loop: Header=BB6_2990 Depth=2
	s_or_b64 exec, exec, s[20:21]
	buffer_load_dword v33, off, s[0:3], s33 offset:204 ; 4-byte Folded Reload
	buffer_load_dword v34, off, s[0:3], s33 offset:208 ; 4-byte Folded Reload
	s_waitcnt vmcnt(1)
	v_mov_b32_e32 v27, v33
	v_cmp_ne_u16_e32 vcc, 0, v27
	s_and_saveexec_b64 s[20:21], vcc
	s_cbranch_execz .LBB6_3926
; %bb.3919:                             ;   in Loop: Header=BB6_2990 Depth=2
	v_cmp_ne_u16_e32 vcc, s52, v27
	v_bfrev_b32_e32 v2, 1
	s_and_saveexec_b64 s[88:89], vcc
	s_cbranch_execz .LBB6_3925
; %bb.3920:                             ;   in Loop: Header=BB6_2990 Depth=2
	v_and_b32_e32 v2, 0x7c, v27
	v_and_b32_e32 v4, 3, v27
	v_cmp_ne_u32_e32 vcc, s53, v2
                                        ; implicit-def: $vgpr2
	s_and_saveexec_b64 s[90:91], vcc
	s_xor_b64 s[90:91], exec, s[90:91]
	s_cbranch_execz .LBB6_3922
; %bb.3921:                             ;   in Loop: Header=BB6_2990 Depth=2
	buffer_load_dword v36, off, s[0:3], s33 offset:204 ; 4-byte Folded Reload
	buffer_load_dword v37, off, s[0:3], s33 offset:208 ; 4-byte Folded Reload
	v_ffbh_u32_e32 v27, v4
	v_min_u32_e32 v27, 32, v27
	s_waitcnt vmcnt(0)
	v_mov_b32_e32 v37, v28
	v_subrev_u32_e32 v33, 29, v27
	v_sub_u32_e32 v27, 30, v27
	v_and_b32_e32 v2, 0xff, v36
	v_bfe_u32 v2, v2, 2, 5
	v_lshlrev_b64 v[33:34], v33, v[36:37]
	v_cmp_eq_u32_e32 vcc, 0, v2
	v_and_b32_e32 v33, 3, v33
	v_cndmask_b32_e32 v2, v2, v27, vcc
	v_and_b32_sdwa v27, sext(v36), s54 dst_sel:DWORD dst_unused:UNUSED_PAD src0_sel:WORD_0 src1_sel:DWORD
	v_cndmask_b32_e32 v4, v4, v33, vcc
	v_lshl_add_u32 v2, v2, 23, v27
	v_lshl_or_b32 v2, v4, 21, v2
	v_add_u32_e32 v2, 0x38000000, v2
                                        ; implicit-def: $vgpr27
                                        ; implicit-def: $vgpr4
	buffer_store_dword v27, off, s[0:3], s33 offset:204 ; 4-byte Folded Spill
	s_nop 0
	buffer_store_dword v28, off, s[0:3], s33 offset:208 ; 4-byte Folded Spill
.LBB6_3922:                             ;   in Loop: Header=BB6_2990 Depth=2
	s_andn2_saveexec_b64 s[90:91], s[90:91]
	s_cbranch_execz .LBB6_3924
; %bb.3923:                             ;   in Loop: Header=BB6_2990 Depth=2
	buffer_load_dword v33, off, s[0:3], s33 offset:204 ; 4-byte Folded Reload
	buffer_load_dword v34, off, s[0:3], s33 offset:208 ; 4-byte Folded Reload
	v_mov_b32_e32 v2, 0xff800000
	v_mov_b32_e32 v27, 0x7f800000
	s_waitcnt vmcnt(1)
	v_cmp_lt_i16_e32 vcc, -1, v33
	v_cndmask_b32_e32 v2, v2, v27, vcc
	v_cmp_eq_u32_e32 vcc, 0, v4
	v_mov_b32_e32 v4, 0x7f800001
	v_cndmask_b32_e32 v2, v4, v2, vcc
.LBB6_3924:                             ;   in Loop: Header=BB6_2990 Depth=2
	s_or_b64 exec, exec, s[90:91]
.LBB6_3925:                             ;   in Loop: Header=BB6_2990 Depth=2
	s_or_b64 exec, exec, s[88:89]
.LBB6_3926:                             ;   in Loop: Header=BB6_2990 Depth=2
	s_or_b64 exec, exec, s[20:21]
	v_mul_f32_e32 v2, v3, v2
	v_and_b32_e32 v3, 0x7f800000, v2
	v_mov_b32_e32 v4, v28
	v_cmp_ne_u64_e32 vcc, s[60:61], v[3:4]
	v_and_b32_e32 v27, 0x7fffff, v2
                                        ; implicit-def: $vgpr33
	s_and_saveexec_b64 s[20:21], vcc
	s_xor_b64 s[88:89], exec, s[20:21]
	s_cbranch_execz .LBB6_3944
; %bb.3927:                             ;   in Loop: Header=BB6_2990 Depth=2
	v_and_b32_e32 v3, 0x7fffffff, v2
	v_mov_b32_e32 v4, v28
	v_cmp_gt_u64_e32 vcc, s[62:63], v[3:4]
	s_waitcnt vmcnt(0)
	v_and_b32_sdwa v34, v2, s55 dst_sel:DWORD dst_unused:UNUSED_PAD src0_sel:BYTE_3 src1_sel:DWORD
                                        ; implicit-def: $vgpr33
	s_and_saveexec_b64 s[20:21], vcc
	s_xor_b64 s[90:91], exec, s[20:21]
	s_cbranch_execz .LBB6_3941
; %bb.3928:                             ;   in Loop: Header=BB6_2990 Depth=2
	v_cmp_ne_u32_e32 vcc, 0, v2
	v_mov_b32_e32 v33, 0
	s_and_saveexec_b64 s[92:93], vcc
	s_cbranch_execz .LBB6_3940
; %bb.3929:                             ;   in Loop: Header=BB6_2990 Depth=2
	v_bfe_u32 v33, v2, 23, 8
	v_cmp_gt_u32_e64 s[20:21], s64, v33
	v_sub_u32_e32 v2, 0x71, v33
	v_cmp_eq_u32_e32 vcc, 0, v33
	v_cndmask_b32_e64 v2, 0, v2, s[20:21]
	v_mov_b32_e32 v4, 0x70
	v_cndmask_b32_e32 v36, v2, v4, vcc
	v_add_u32_e32 v4, 21, v36
	v_or_b32_e32 v3, 0x800000, v27
	v_lshlrev_b64 v[37:38], v4, -1
	v_cndmask_b32_e32 v2, v3, v27, vcc
	v_mov_b32_e32 v3, v28
	v_add_u32_e32 v4, 20, v36
	v_bfi_b32 v37, v37, 0, v2
	v_lshlrev_b64 v[48:49], v4, 1
	v_lshrrev_b64 v[2:3], v36, v[2:3]
	v_bfi_b32 v38, v38, 0, 0
	v_cmp_eq_u64_e64 s[20:21], v[37:38], v[48:49]
	v_mov_b32_e32 v4, v3
	v_mov_b32_e32 v3, v2
	s_and_saveexec_b64 s[94:95], s[20:21]
; %bb.3930:                             ;   in Loop: Header=BB6_2990 Depth=2
	v_bfe_u32 v3, v2, 21, 1
	v_add_co_u32_e64 v3, s[20:21], v2, v3
	v_add_co_u32_e64 v3, s[20:21], -1, v3
; %bb.3931:                             ;   in Loop: Header=BB6_2990 Depth=2
	s_or_b64 exec, exec, s[94:95]
	v_add_u32_e32 v4, 0xffffff81, v33
	v_mov_b32_e32 v27, 0xffffff82
	v_cndmask_b32_e32 v4, v4, v27, vcc
	v_lshrrev_b32_e32 v27, 23, v2
	v_add3_u32 v36, v36, v4, v27
	v_add_u32_e32 v33, 14, v36
	v_and_b32_e32 v3, 0x1fffff, v3
	v_add_u32_e32 v27, v3, v2
	v_cmp_ne_u32_e32 vcc, 0, v33
                                        ; implicit-def: $vgpr2_vgpr3
                                        ; implicit-def: $vgpr4
	s_and_saveexec_b64 s[20:21], vcc
	s_xor_b64 s[20:21], exec, s[20:21]
; %bb.3932:                             ;   in Loop: Header=BB6_2990 Depth=2
	v_cmp_lt_u64_e32 vcc, s[72:73], v[27:28]
	v_add_u32_e32 v2, 15, v36
	v_cndmask_b32_e32 v4, v33, v2, vcc
	v_cndmask_b32_e64 v2, 0, 1, vcc
	v_lshrrev_b64 v[2:3], v2, v[27:28]
; %bb.3933:                             ;   in Loop: Header=BB6_2990 Depth=2
	s_andn2_saveexec_b64 s[20:21], s[20:21]
; %bb.3934:                             ;   in Loop: Header=BB6_2990 Depth=2
	v_mov_b32_e32 v2, v27
	v_mov_b32_e32 v3, v28
	v_bfe_u32 v4, v27, 23, 1
; %bb.3935:                             ;   in Loop: Header=BB6_2990 Depth=2
	s_or_b64 exec, exec, s[20:21]
	v_lshrrev_b64 v[2:3], 21, v[2:3]
	v_cmp_gt_i32_e32 vcc, 32, v4
	v_cndmask_b32_e32 v3, 0, v3, vcc
	v_cndmask_b32_e32 v2, 3, v2, vcc
	v_cmp_ne_u64_e32 vcc, 0, v[2:3]
	v_cmp_ne_u32_e64 s[20:21], 0, v4
	s_or_b64 s[20:21], s[20:21], vcc
                                        ; implicit-def: $vgpr33
	s_and_saveexec_b64 s[94:95], s[20:21]
	s_xor_b64 s[20:21], exec, s[94:95]
; %bb.3936:                             ;   in Loop: Header=BB6_2990 Depth=2
	v_min_i32_e32 v3, 31, v4
	v_lshl_or_b32 v3, v3, 2, v34
	v_and_or_b32 v33, v2, 3, v3
                                        ; implicit-def: $vgpr34
; %bb.3937:                             ;   in Loop: Header=BB6_2990 Depth=2
	s_andn2_saveexec_b64 s[20:21], s[20:21]
; %bb.3938:                             ;   in Loop: Header=BB6_2990 Depth=2
	v_mov_b32_e32 v33, v34
; %bb.3939:                             ;   in Loop: Header=BB6_2990 Depth=2
	s_or_b64 exec, exec, s[20:21]
.LBB6_3940:                             ;   in Loop: Header=BB6_2990 Depth=2
	s_or_b64 exec, exec, s[92:93]
                                        ; implicit-def: $vgpr34
.LBB6_3941:                             ;   in Loop: Header=BB6_2990 Depth=2
	s_andn2_saveexec_b64 s[20:21], s[90:91]
; %bb.3942:                             ;   in Loop: Header=BB6_2990 Depth=2
	v_or_b32_e32 v33, 0x7b, v34
; %bb.3943:                             ;   in Loop: Header=BB6_2990 Depth=2
	s_or_b64 exec, exec, s[20:21]
                                        ; implicit-def: $vgpr2
.LBB6_3944:                             ;   in Loop: Header=BB6_2990 Depth=2
	s_andn2_saveexec_b64 s[20:21], s[88:89]
	s_cbranch_execz .LBB6_3950
; %bb.3945:                             ;   in Loop: Header=BB6_2990 Depth=2
	v_cmp_ne_u64_e32 vcc, 0, v[27:28]
                                        ; implicit-def: $vgpr33
	s_and_saveexec_b64 s[88:89], vcc
	s_xor_b64 s[88:89], exec, s[88:89]
; %bb.3946:                             ;   in Loop: Header=BB6_2990 Depth=2
	v_or_b32_sdwa v33, v2, s65 dst_sel:DWORD dst_unused:UNUSED_PAD src0_sel:BYTE_3 src1_sel:DWORD
                                        ; implicit-def: $vgpr2
; %bb.3947:                             ;   in Loop: Header=BB6_2990 Depth=2
	s_andn2_saveexec_b64 s[88:89], s[88:89]
; %bb.3948:                             ;   in Loop: Header=BB6_2990 Depth=2
	v_cmp_lt_i32_e32 vcc, -1, v2
	v_mov_b32_e32 v2, 0x7c
	v_cndmask_b32_e32 v33, -4, v2, vcc
; %bb.3949:                             ;   in Loop: Header=BB6_2990 Depth=2
	s_or_b64 exec, exec, s[88:89]
.LBB6_3950:                             ;   in Loop: Header=BB6_2990 Depth=2
	s_or_b64 exec, exec, s[20:21]
	buffer_load_dword v2, off, s[0:3], s33 offset:196 ; 4-byte Folded Reload
	buffer_load_dword v3, off, s[0:3], s33 offset:200 ; 4-byte Folded Reload
	s_waitcnt vmcnt(0)
	v_mov_b32_e32 v3, 0
	v_mov_b32_e32 v27, v2
	v_cmp_ne_u16_e32 vcc, 0, v27
	v_mov_b32_e32 v2, 0
	s_and_saveexec_b64 s[20:21], vcc
	s_cbranch_execz .LBB6_3958
; %bb.3951:                             ;   in Loop: Header=BB6_2990 Depth=2
	v_cmp_ne_u16_e32 vcc, s52, v27
	v_bfrev_b32_e32 v3, 1
	s_and_saveexec_b64 s[88:89], vcc
	s_cbranch_execz .LBB6_3957
; %bb.3952:                             ;   in Loop: Header=BB6_2990 Depth=2
	v_and_b32_e32 v3, 0x7c, v27
	v_and_b32_e32 v4, 3, v27
	v_cmp_ne_u32_e32 vcc, s53, v3
                                        ; implicit-def: $vgpr3
	s_and_saveexec_b64 s[90:91], vcc
	s_xor_b64 s[90:91], exec, s[90:91]
	s_cbranch_execz .LBB6_3954
; %bb.3953:                             ;   in Loop: Header=BB6_2990 Depth=2
	buffer_load_dword v38, off, s[0:3], s33 offset:196 ; 4-byte Folded Reload
	buffer_load_dword v39, off, s[0:3], s33 offset:200 ; 4-byte Folded Reload
	v_ffbh_u32_e32 v27, v4
	v_min_u32_e32 v27, 32, v27
	s_waitcnt vmcnt(0)
	v_mov_b32_e32 v39, v28
	v_subrev_u32_e32 v34, 29, v27
	v_sub_u32_e32 v27, 30, v27
	v_and_b32_e32 v3, 0xff, v38
	v_bfe_u32 v3, v3, 2, 5
	v_lshlrev_b64 v[36:37], v34, v[38:39]
	v_cmp_eq_u32_e32 vcc, 0, v3
	v_and_b32_e32 v34, 3, v36
	v_cndmask_b32_e32 v3, v3, v27, vcc
	v_and_b32_sdwa v27, sext(v38), s54 dst_sel:DWORD dst_unused:UNUSED_PAD src0_sel:WORD_0 src1_sel:DWORD
	v_cndmask_b32_e32 v4, v4, v34, vcc
	v_lshl_add_u32 v3, v3, 23, v27
	v_lshl_or_b32 v3, v4, 21, v3
	v_add_u32_e32 v3, 0x38000000, v3
                                        ; implicit-def: $vgpr27
                                        ; implicit-def: $vgpr4
	buffer_store_dword v27, off, s[0:3], s33 offset:196 ; 4-byte Folded Spill
	s_nop 0
	buffer_store_dword v28, off, s[0:3], s33 offset:200 ; 4-byte Folded Spill
.LBB6_3954:                             ;   in Loop: Header=BB6_2990 Depth=2
	s_andn2_saveexec_b64 s[90:91], s[90:91]
	s_cbranch_execz .LBB6_3956
; %bb.3955:                             ;   in Loop: Header=BB6_2990 Depth=2
	buffer_load_dword v36, off, s[0:3], s33 offset:196 ; 4-byte Folded Reload
	buffer_load_dword v37, off, s[0:3], s33 offset:200 ; 4-byte Folded Reload
	v_mov_b32_e32 v3, 0xff800000
	v_mov_b32_e32 v27, 0x7f800000
	s_waitcnt vmcnt(1)
	v_cmp_lt_i16_e32 vcc, -1, v36
	v_cndmask_b32_e32 v3, v3, v27, vcc
	v_cmp_eq_u32_e32 vcc, 0, v4
	v_mov_b32_e32 v4, 0x7f800001
	v_cndmask_b32_e32 v3, v4, v3, vcc
.LBB6_3956:                             ;   in Loop: Header=BB6_2990 Depth=2
	s_or_b64 exec, exec, s[90:91]
.LBB6_3957:                             ;   in Loop: Header=BB6_2990 Depth=2
	s_or_b64 exec, exec, s[88:89]
.LBB6_3958:                             ;   in Loop: Header=BB6_2990 Depth=2
	s_or_b64 exec, exec, s[20:21]
	buffer_load_dword v36, off, s[0:3], s33 offset:188 ; 4-byte Folded Reload
	buffer_load_dword v37, off, s[0:3], s33 offset:192 ; 4-byte Folded Reload
	s_waitcnt vmcnt(1)
	v_mov_b32_e32 v27, v36
	v_cmp_ne_u16_e32 vcc, 0, v27
	s_and_saveexec_b64 s[20:21], vcc
	s_cbranch_execz .LBB6_3966
; %bb.3959:                             ;   in Loop: Header=BB6_2990 Depth=2
	v_cmp_ne_u16_e32 vcc, s52, v27
	v_bfrev_b32_e32 v2, 1
	s_and_saveexec_b64 s[88:89], vcc
	s_cbranch_execz .LBB6_3965
; %bb.3960:                             ;   in Loop: Header=BB6_2990 Depth=2
	v_and_b32_e32 v2, 0x7c, v27
	v_and_b32_e32 v4, 3, v27
	v_cmp_ne_u32_e32 vcc, s53, v2
                                        ; implicit-def: $vgpr2
	s_and_saveexec_b64 s[90:91], vcc
	s_xor_b64 s[90:91], exec, s[90:91]
	s_cbranch_execz .LBB6_3962
; %bb.3961:                             ;   in Loop: Header=BB6_2990 Depth=2
	buffer_load_dword v38, off, s[0:3], s33 offset:188 ; 4-byte Folded Reload
	buffer_load_dword v39, off, s[0:3], s33 offset:192 ; 4-byte Folded Reload
	v_ffbh_u32_e32 v27, v4
	v_min_u32_e32 v27, 32, v27
	s_waitcnt vmcnt(0)
	v_mov_b32_e32 v39, v28
	v_subrev_u32_e32 v34, 29, v27
	v_sub_u32_e32 v27, 30, v27
	v_and_b32_e32 v2, 0xff, v38
	v_bfe_u32 v2, v2, 2, 5
	v_lshlrev_b64 v[36:37], v34, v[38:39]
	v_cmp_eq_u32_e32 vcc, 0, v2
	v_and_b32_e32 v34, 3, v36
	v_cndmask_b32_e32 v2, v2, v27, vcc
	v_and_b32_sdwa v27, sext(v38), s54 dst_sel:DWORD dst_unused:UNUSED_PAD src0_sel:WORD_0 src1_sel:DWORD
	v_cndmask_b32_e32 v4, v4, v34, vcc
	v_lshl_add_u32 v2, v2, 23, v27
	v_lshl_or_b32 v2, v4, 21, v2
	v_add_u32_e32 v2, 0x38000000, v2
                                        ; implicit-def: $vgpr27
                                        ; implicit-def: $vgpr4
	buffer_store_dword v27, off, s[0:3], s33 offset:188 ; 4-byte Folded Spill
	s_nop 0
	buffer_store_dword v28, off, s[0:3], s33 offset:192 ; 4-byte Folded Spill
.LBB6_3962:                             ;   in Loop: Header=BB6_2990 Depth=2
	s_andn2_saveexec_b64 s[90:91], s[90:91]
	s_cbranch_execz .LBB6_3964
; %bb.3963:                             ;   in Loop: Header=BB6_2990 Depth=2
	buffer_load_dword v36, off, s[0:3], s33 offset:188 ; 4-byte Folded Reload
	buffer_load_dword v37, off, s[0:3], s33 offset:192 ; 4-byte Folded Reload
	v_mov_b32_e32 v2, 0xff800000
	v_mov_b32_e32 v27, 0x7f800000
	s_waitcnt vmcnt(1)
	v_cmp_lt_i16_e32 vcc, -1, v36
	v_cndmask_b32_e32 v2, v2, v27, vcc
	v_cmp_eq_u32_e32 vcc, 0, v4
	v_mov_b32_e32 v4, 0x7f800001
	v_cndmask_b32_e32 v2, v4, v2, vcc
.LBB6_3964:                             ;   in Loop: Header=BB6_2990 Depth=2
	s_or_b64 exec, exec, s[90:91]
.LBB6_3965:                             ;   in Loop: Header=BB6_2990 Depth=2
	s_or_b64 exec, exec, s[88:89]
.LBB6_3966:                             ;   in Loop: Header=BB6_2990 Depth=2
	s_or_b64 exec, exec, s[20:21]
	v_mul_f32_e32 v2, v3, v2
	v_and_b32_e32 v3, 0x7f800000, v2
	v_mov_b32_e32 v4, v28
	v_cmp_ne_u64_e32 vcc, s[60:61], v[3:4]
	v_and_b32_e32 v27, 0x7fffff, v2
                                        ; implicit-def: $vgpr34
	s_and_saveexec_b64 s[20:21], vcc
	s_xor_b64 s[88:89], exec, s[20:21]
	s_cbranch_execz .LBB6_3984
; %bb.3967:                             ;   in Loop: Header=BB6_2990 Depth=2
	v_and_b32_e32 v3, 0x7fffffff, v2
	v_mov_b32_e32 v4, v28
	v_cmp_gt_u64_e32 vcc, s[62:63], v[3:4]
	v_and_b32_sdwa v36, v2, s55 dst_sel:DWORD dst_unused:UNUSED_PAD src0_sel:BYTE_3 src1_sel:DWORD
                                        ; implicit-def: $vgpr34
	s_and_saveexec_b64 s[20:21], vcc
	s_xor_b64 s[90:91], exec, s[20:21]
	s_cbranch_execz .LBB6_3981
; %bb.3968:                             ;   in Loop: Header=BB6_2990 Depth=2
	v_cmp_ne_u32_e32 vcc, 0, v2
	v_mov_b32_e32 v34, 0
	s_and_saveexec_b64 s[92:93], vcc
	s_cbranch_execz .LBB6_3980
; %bb.3969:                             ;   in Loop: Header=BB6_2990 Depth=2
	v_bfe_u32 v34, v2, 23, 8
	v_cmp_gt_u32_e64 s[20:21], s64, v34
	v_sub_u32_e32 v2, 0x71, v34
	v_cmp_eq_u32_e32 vcc, 0, v34
	v_cndmask_b32_e64 v2, 0, v2, s[20:21]
	v_mov_b32_e32 v4, 0x70
	s_waitcnt vmcnt(0)
	v_cndmask_b32_e32 v37, v2, v4, vcc
	v_add_u32_e32 v4, 21, v37
	v_or_b32_e32 v3, 0x800000, v27
	v_lshlrev_b64 v[38:39], v4, -1
	v_cndmask_b32_e32 v2, v3, v27, vcc
	v_mov_b32_e32 v3, v28
	v_add_u32_e32 v4, 20, v37
	v_bfi_b32 v38, v38, 0, v2
	v_lshlrev_b64 v[48:49], v4, 1
	v_lshrrev_b64 v[2:3], v37, v[2:3]
	v_bfi_b32 v39, v39, 0, 0
	v_cmp_eq_u64_e64 s[20:21], v[38:39], v[48:49]
	v_mov_b32_e32 v4, v3
	v_mov_b32_e32 v3, v2
	s_and_saveexec_b64 s[94:95], s[20:21]
; %bb.3970:                             ;   in Loop: Header=BB6_2990 Depth=2
	v_bfe_u32 v3, v2, 21, 1
	v_add_co_u32_e64 v3, s[20:21], v2, v3
	v_add_co_u32_e64 v3, s[20:21], -1, v3
; %bb.3971:                             ;   in Loop: Header=BB6_2990 Depth=2
	s_or_b64 exec, exec, s[94:95]
	v_add_u32_e32 v4, 0xffffff81, v34
	v_mov_b32_e32 v27, 0xffffff82
	v_cndmask_b32_e32 v4, v4, v27, vcc
	v_lshrrev_b32_e32 v27, 23, v2
	v_add3_u32 v37, v37, v4, v27
	v_add_u32_e32 v34, 14, v37
	v_and_b32_e32 v3, 0x1fffff, v3
	v_add_u32_e32 v27, v3, v2
	v_cmp_ne_u32_e32 vcc, 0, v34
                                        ; implicit-def: $vgpr2_vgpr3
                                        ; implicit-def: $vgpr4
	s_and_saveexec_b64 s[20:21], vcc
	s_xor_b64 s[20:21], exec, s[20:21]
; %bb.3972:                             ;   in Loop: Header=BB6_2990 Depth=2
	v_cmp_lt_u64_e32 vcc, s[72:73], v[27:28]
	v_add_u32_e32 v2, 15, v37
	v_cndmask_b32_e32 v4, v34, v2, vcc
	v_cndmask_b32_e64 v2, 0, 1, vcc
	v_lshrrev_b64 v[2:3], v2, v[27:28]
; %bb.3973:                             ;   in Loop: Header=BB6_2990 Depth=2
	s_andn2_saveexec_b64 s[20:21], s[20:21]
; %bb.3974:                             ;   in Loop: Header=BB6_2990 Depth=2
	v_mov_b32_e32 v2, v27
	v_mov_b32_e32 v3, v28
	v_bfe_u32 v4, v27, 23, 1
; %bb.3975:                             ;   in Loop: Header=BB6_2990 Depth=2
	s_or_b64 exec, exec, s[20:21]
	v_lshrrev_b64 v[2:3], 21, v[2:3]
	v_cmp_gt_i32_e32 vcc, 32, v4
	v_cndmask_b32_e32 v3, 0, v3, vcc
	v_cndmask_b32_e32 v2, 3, v2, vcc
	v_cmp_ne_u64_e32 vcc, 0, v[2:3]
	v_cmp_ne_u32_e64 s[20:21], 0, v4
	s_or_b64 s[20:21], s[20:21], vcc
                                        ; implicit-def: $vgpr34
	s_and_saveexec_b64 s[94:95], s[20:21]
	s_xor_b64 s[20:21], exec, s[94:95]
; %bb.3976:                             ;   in Loop: Header=BB6_2990 Depth=2
	v_min_i32_e32 v3, 31, v4
	v_lshl_or_b32 v3, v3, 2, v36
	v_and_or_b32 v34, v2, 3, v3
                                        ; implicit-def: $vgpr36
; %bb.3977:                             ;   in Loop: Header=BB6_2990 Depth=2
	s_andn2_saveexec_b64 s[20:21], s[20:21]
; %bb.3978:                             ;   in Loop: Header=BB6_2990 Depth=2
	v_mov_b32_e32 v34, v36
; %bb.3979:                             ;   in Loop: Header=BB6_2990 Depth=2
	s_or_b64 exec, exec, s[20:21]
.LBB6_3980:                             ;   in Loop: Header=BB6_2990 Depth=2
	s_or_b64 exec, exec, s[92:93]
                                        ; implicit-def: $vgpr36
.LBB6_3981:                             ;   in Loop: Header=BB6_2990 Depth=2
	s_andn2_saveexec_b64 s[20:21], s[90:91]
; %bb.3982:                             ;   in Loop: Header=BB6_2990 Depth=2
	v_or_b32_e32 v34, 0x7b, v36
; %bb.3983:                             ;   in Loop: Header=BB6_2990 Depth=2
	s_or_b64 exec, exec, s[20:21]
                                        ; implicit-def: $vgpr2
.LBB6_3984:                             ;   in Loop: Header=BB6_2990 Depth=2
	s_andn2_saveexec_b64 s[20:21], s[88:89]
	s_cbranch_execz .LBB6_3990
; %bb.3985:                             ;   in Loop: Header=BB6_2990 Depth=2
	v_cmp_ne_u64_e32 vcc, 0, v[27:28]
                                        ; implicit-def: $vgpr34
	s_and_saveexec_b64 s[88:89], vcc
	s_xor_b64 s[88:89], exec, s[88:89]
; %bb.3986:                             ;   in Loop: Header=BB6_2990 Depth=2
	v_or_b32_sdwa v34, v2, s65 dst_sel:DWORD dst_unused:UNUSED_PAD src0_sel:BYTE_3 src1_sel:DWORD
                                        ; implicit-def: $vgpr2
; %bb.3987:                             ;   in Loop: Header=BB6_2990 Depth=2
	s_andn2_saveexec_b64 s[88:89], s[88:89]
; %bb.3988:                             ;   in Loop: Header=BB6_2990 Depth=2
	v_cmp_lt_i32_e32 vcc, -1, v2
	v_mov_b32_e32 v2, 0x7c
	v_cndmask_b32_e32 v34, -4, v2, vcc
; %bb.3989:                             ;   in Loop: Header=BB6_2990 Depth=2
	s_or_b64 exec, exec, s[88:89]
.LBB6_3990:                             ;   in Loop: Header=BB6_2990 Depth=2
	s_or_b64 exec, exec, s[20:21]
	buffer_load_dword v2, off, s[0:3], s33 offset:180 ; 4-byte Folded Reload
	buffer_load_dword v3, off, s[0:3], s33 offset:184 ; 4-byte Folded Reload
	s_waitcnt vmcnt(0)
	v_mov_b32_e32 v3, 0
	v_mov_b32_e32 v27, v2
	v_cmp_ne_u16_e32 vcc, 0, v27
	v_mov_b32_e32 v2, 0
	s_and_saveexec_b64 s[20:21], vcc
	s_cbranch_execz .LBB6_3998
; %bb.3991:                             ;   in Loop: Header=BB6_2990 Depth=2
	v_cmp_ne_u16_e32 vcc, s52, v27
	v_bfrev_b32_e32 v3, 1
	s_and_saveexec_b64 s[88:89], vcc
	s_cbranch_execz .LBB6_3997
; %bb.3992:                             ;   in Loop: Header=BB6_2990 Depth=2
	v_and_b32_e32 v3, 0x7c, v27
	v_and_b32_e32 v4, 3, v27
	v_cmp_ne_u32_e32 vcc, s53, v3
                                        ; implicit-def: $vgpr3
	s_and_saveexec_b64 s[90:91], vcc
	s_xor_b64 s[90:91], exec, s[90:91]
	s_cbranch_execz .LBB6_3994
; %bb.3993:                             ;   in Loop: Header=BB6_2990 Depth=2
	buffer_load_dword v38, off, s[0:3], s33 offset:180 ; 4-byte Folded Reload
	buffer_load_dword v39, off, s[0:3], s33 offset:184 ; 4-byte Folded Reload
	v_ffbh_u32_e32 v27, v4
	v_min_u32_e32 v27, 32, v27
	s_waitcnt vmcnt(0)
	v_mov_b32_e32 v39, v28
	v_subrev_u32_e32 v36, 29, v27
	v_sub_u32_e32 v27, 30, v27
	v_and_b32_e32 v3, 0xff, v38
	v_bfe_u32 v3, v3, 2, 5
	v_lshlrev_b64 v[36:37], v36, v[38:39]
	v_cmp_eq_u32_e32 vcc, 0, v3
	v_and_b32_e32 v36, 3, v36
	v_cndmask_b32_e32 v3, v3, v27, vcc
	v_and_b32_sdwa v27, sext(v38), s54 dst_sel:DWORD dst_unused:UNUSED_PAD src0_sel:WORD_0 src1_sel:DWORD
	v_cndmask_b32_e32 v4, v4, v36, vcc
	v_lshl_add_u32 v3, v3, 23, v27
	v_lshl_or_b32 v3, v4, 21, v3
	v_add_u32_e32 v3, 0x38000000, v3
                                        ; implicit-def: $vgpr27
                                        ; implicit-def: $vgpr4
	buffer_store_dword v27, off, s[0:3], s33 offset:180 ; 4-byte Folded Spill
	s_nop 0
	buffer_store_dword v28, off, s[0:3], s33 offset:184 ; 4-byte Folded Spill
.LBB6_3994:                             ;   in Loop: Header=BB6_2990 Depth=2
	s_andn2_saveexec_b64 s[90:91], s[90:91]
	s_cbranch_execz .LBB6_3996
; %bb.3995:                             ;   in Loop: Header=BB6_2990 Depth=2
	buffer_load_dword v36, off, s[0:3], s33 offset:180 ; 4-byte Folded Reload
	buffer_load_dword v37, off, s[0:3], s33 offset:184 ; 4-byte Folded Reload
	v_mov_b32_e32 v3, 0xff800000
	v_mov_b32_e32 v27, 0x7f800000
	s_waitcnt vmcnt(1)
	v_cmp_lt_i16_e32 vcc, -1, v36
	v_cndmask_b32_e32 v3, v3, v27, vcc
	v_cmp_eq_u32_e32 vcc, 0, v4
	v_mov_b32_e32 v4, 0x7f800001
	v_cndmask_b32_e32 v3, v4, v3, vcc
.LBB6_3996:                             ;   in Loop: Header=BB6_2990 Depth=2
	s_or_b64 exec, exec, s[90:91]
.LBB6_3997:                             ;   in Loop: Header=BB6_2990 Depth=2
	s_or_b64 exec, exec, s[88:89]
.LBB6_3998:                             ;   in Loop: Header=BB6_2990 Depth=2
	s_or_b64 exec, exec, s[20:21]
	buffer_load_dword v36, off, s[0:3], s33 offset:172 ; 4-byte Folded Reload
	buffer_load_dword v37, off, s[0:3], s33 offset:176 ; 4-byte Folded Reload
	s_waitcnt vmcnt(1)
	v_mov_b32_e32 v27, v36
	v_cmp_ne_u16_e32 vcc, 0, v27
	s_and_saveexec_b64 s[20:21], vcc
	s_cbranch_execz .LBB6_4006
; %bb.3999:                             ;   in Loop: Header=BB6_2990 Depth=2
	v_cmp_ne_u16_e32 vcc, s52, v27
	v_bfrev_b32_e32 v2, 1
	s_and_saveexec_b64 s[88:89], vcc
	s_cbranch_execz .LBB6_4005
; %bb.4000:                             ;   in Loop: Header=BB6_2990 Depth=2
	v_and_b32_e32 v2, 0x7c, v27
	v_and_b32_e32 v4, 3, v27
	v_cmp_ne_u32_e32 vcc, s53, v2
                                        ; implicit-def: $vgpr2
	s_and_saveexec_b64 s[90:91], vcc
	s_xor_b64 s[90:91], exec, s[90:91]
	s_cbranch_execz .LBB6_4002
; %bb.4001:                             ;   in Loop: Header=BB6_2990 Depth=2
	buffer_load_dword v38, off, s[0:3], s33 offset:172 ; 4-byte Folded Reload
	buffer_load_dword v39, off, s[0:3], s33 offset:176 ; 4-byte Folded Reload
	v_ffbh_u32_e32 v27, v4
	v_min_u32_e32 v27, 32, v27
	s_waitcnt vmcnt(0)
	v_mov_b32_e32 v39, v28
	v_subrev_u32_e32 v36, 29, v27
	v_sub_u32_e32 v27, 30, v27
	v_and_b32_e32 v2, 0xff, v38
	v_bfe_u32 v2, v2, 2, 5
	v_lshlrev_b64 v[36:37], v36, v[38:39]
	v_cmp_eq_u32_e32 vcc, 0, v2
	v_and_b32_e32 v36, 3, v36
	v_cndmask_b32_e32 v2, v2, v27, vcc
	v_and_b32_sdwa v27, sext(v38), s54 dst_sel:DWORD dst_unused:UNUSED_PAD src0_sel:WORD_0 src1_sel:DWORD
	v_cndmask_b32_e32 v4, v4, v36, vcc
	v_lshl_add_u32 v2, v2, 23, v27
	v_lshl_or_b32 v2, v4, 21, v2
	v_add_u32_e32 v2, 0x38000000, v2
                                        ; implicit-def: $vgpr27
                                        ; implicit-def: $vgpr4
	buffer_store_dword v27, off, s[0:3], s33 offset:172 ; 4-byte Folded Spill
	s_nop 0
	buffer_store_dword v28, off, s[0:3], s33 offset:176 ; 4-byte Folded Spill
.LBB6_4002:                             ;   in Loop: Header=BB6_2990 Depth=2
	s_andn2_saveexec_b64 s[90:91], s[90:91]
	s_cbranch_execz .LBB6_4004
; %bb.4003:                             ;   in Loop: Header=BB6_2990 Depth=2
	buffer_load_dword v36, off, s[0:3], s33 offset:172 ; 4-byte Folded Reload
	buffer_load_dword v37, off, s[0:3], s33 offset:176 ; 4-byte Folded Reload
	v_mov_b32_e32 v2, 0xff800000
	v_mov_b32_e32 v27, 0x7f800000
	s_waitcnt vmcnt(1)
	v_cmp_lt_i16_e32 vcc, -1, v36
	v_cndmask_b32_e32 v2, v2, v27, vcc
	v_cmp_eq_u32_e32 vcc, 0, v4
	v_mov_b32_e32 v4, 0x7f800001
	v_cndmask_b32_e32 v2, v4, v2, vcc
.LBB6_4004:                             ;   in Loop: Header=BB6_2990 Depth=2
	s_or_b64 exec, exec, s[90:91]
.LBB6_4005:                             ;   in Loop: Header=BB6_2990 Depth=2
	s_or_b64 exec, exec, s[88:89]
.LBB6_4006:                             ;   in Loop: Header=BB6_2990 Depth=2
	s_or_b64 exec, exec, s[20:21]
	v_mul_f32_e32 v2, v3, v2
	v_and_b32_e32 v3, 0x7f800000, v2
	v_mov_b32_e32 v4, v28
	v_cmp_ne_u64_e32 vcc, s[60:61], v[3:4]
	v_and_b32_e32 v27, 0x7fffff, v2
                                        ; implicit-def: $vgpr36
	s_and_saveexec_b64 s[20:21], vcc
	s_xor_b64 s[88:89], exec, s[20:21]
	s_cbranch_execz .LBB6_4024
; %bb.4007:                             ;   in Loop: Header=BB6_2990 Depth=2
	v_and_b32_e32 v3, 0x7fffffff, v2
	v_mov_b32_e32 v4, v28
	v_cmp_gt_u64_e32 vcc, s[62:63], v[3:4]
	s_waitcnt vmcnt(0)
	v_and_b32_sdwa v37, v2, s55 dst_sel:DWORD dst_unused:UNUSED_PAD src0_sel:BYTE_3 src1_sel:DWORD
                                        ; implicit-def: $vgpr36
	s_and_saveexec_b64 s[20:21], vcc
	s_xor_b64 s[90:91], exec, s[20:21]
	s_cbranch_execz .LBB6_4021
; %bb.4008:                             ;   in Loop: Header=BB6_2990 Depth=2
	v_cmp_ne_u32_e32 vcc, 0, v2
	v_mov_b32_e32 v36, 0
	s_and_saveexec_b64 s[92:93], vcc
	s_cbranch_execz .LBB6_4020
; %bb.4009:                             ;   in Loop: Header=BB6_2990 Depth=2
	v_bfe_u32 v36, v2, 23, 8
	v_cmp_gt_u32_e64 s[20:21], s64, v36
	v_sub_u32_e32 v2, 0x71, v36
	v_cmp_eq_u32_e32 vcc, 0, v36
	v_cndmask_b32_e64 v2, 0, v2, s[20:21]
	v_mov_b32_e32 v4, 0x70
	v_cndmask_b32_e32 v38, v2, v4, vcc
	v_add_u32_e32 v4, 21, v38
	v_or_b32_e32 v3, 0x800000, v27
	v_lshlrev_b64 v[48:49], v4, -1
	v_cndmask_b32_e32 v2, v3, v27, vcc
	v_mov_b32_e32 v3, v28
	v_add_u32_e32 v4, 20, v38
	v_bfi_b32 v48, v48, 0, v2
	v_lshlrev_b64 v[50:51], v4, 1
	v_lshrrev_b64 v[2:3], v38, v[2:3]
	v_bfi_b32 v49, v49, 0, 0
	v_cmp_eq_u64_e64 s[20:21], v[48:49], v[50:51]
	v_mov_b32_e32 v4, v3
	v_mov_b32_e32 v3, v2
	s_and_saveexec_b64 s[94:95], s[20:21]
; %bb.4010:                             ;   in Loop: Header=BB6_2990 Depth=2
	v_bfe_u32 v3, v2, 21, 1
	v_add_co_u32_e64 v3, s[20:21], v2, v3
	v_add_co_u32_e64 v3, s[20:21], -1, v3
; %bb.4011:                             ;   in Loop: Header=BB6_2990 Depth=2
	s_or_b64 exec, exec, s[94:95]
	v_add_u32_e32 v4, 0xffffff81, v36
	v_mov_b32_e32 v27, 0xffffff82
	v_cndmask_b32_e32 v4, v4, v27, vcc
	v_lshrrev_b32_e32 v27, 23, v2
	v_add3_u32 v38, v38, v4, v27
	v_add_u32_e32 v36, 14, v38
	v_and_b32_e32 v3, 0x1fffff, v3
	v_add_u32_e32 v27, v3, v2
	v_cmp_ne_u32_e32 vcc, 0, v36
                                        ; implicit-def: $vgpr2_vgpr3
                                        ; implicit-def: $vgpr4
	s_and_saveexec_b64 s[20:21], vcc
	s_xor_b64 s[20:21], exec, s[20:21]
; %bb.4012:                             ;   in Loop: Header=BB6_2990 Depth=2
	v_cmp_lt_u64_e32 vcc, s[72:73], v[27:28]
	v_add_u32_e32 v2, 15, v38
	v_cndmask_b32_e32 v4, v36, v2, vcc
	v_cndmask_b32_e64 v2, 0, 1, vcc
	v_lshrrev_b64 v[2:3], v2, v[27:28]
; %bb.4013:                             ;   in Loop: Header=BB6_2990 Depth=2
	s_andn2_saveexec_b64 s[20:21], s[20:21]
; %bb.4014:                             ;   in Loop: Header=BB6_2990 Depth=2
	v_mov_b32_e32 v2, v27
	v_mov_b32_e32 v3, v28
	v_bfe_u32 v4, v27, 23, 1
; %bb.4015:                             ;   in Loop: Header=BB6_2990 Depth=2
	s_or_b64 exec, exec, s[20:21]
	v_lshrrev_b64 v[2:3], 21, v[2:3]
	v_cmp_gt_i32_e32 vcc, 32, v4
	v_cndmask_b32_e32 v3, 0, v3, vcc
	v_cndmask_b32_e32 v2, 3, v2, vcc
	v_cmp_ne_u64_e32 vcc, 0, v[2:3]
	v_cmp_ne_u32_e64 s[20:21], 0, v4
	s_or_b64 s[20:21], s[20:21], vcc
                                        ; implicit-def: $vgpr36
	s_and_saveexec_b64 s[94:95], s[20:21]
	s_xor_b64 s[20:21], exec, s[94:95]
; %bb.4016:                             ;   in Loop: Header=BB6_2990 Depth=2
	v_min_i32_e32 v3, 31, v4
	v_lshl_or_b32 v3, v3, 2, v37
	v_and_or_b32 v36, v2, 3, v3
                                        ; implicit-def: $vgpr37
; %bb.4017:                             ;   in Loop: Header=BB6_2990 Depth=2
	s_andn2_saveexec_b64 s[20:21], s[20:21]
; %bb.4018:                             ;   in Loop: Header=BB6_2990 Depth=2
	v_mov_b32_e32 v36, v37
; %bb.4019:                             ;   in Loop: Header=BB6_2990 Depth=2
	s_or_b64 exec, exec, s[20:21]
.LBB6_4020:                             ;   in Loop: Header=BB6_2990 Depth=2
	s_or_b64 exec, exec, s[92:93]
                                        ; implicit-def: $vgpr37
.LBB6_4021:                             ;   in Loop: Header=BB6_2990 Depth=2
	s_andn2_saveexec_b64 s[20:21], s[90:91]
; %bb.4022:                             ;   in Loop: Header=BB6_2990 Depth=2
	v_or_b32_e32 v36, 0x7b, v37
; %bb.4023:                             ;   in Loop: Header=BB6_2990 Depth=2
	s_or_b64 exec, exec, s[20:21]
                                        ; implicit-def: $vgpr2
.LBB6_4024:                             ;   in Loop: Header=BB6_2990 Depth=2
	s_andn2_saveexec_b64 s[20:21], s[88:89]
	s_cbranch_execz .LBB6_4030
; %bb.4025:                             ;   in Loop: Header=BB6_2990 Depth=2
	v_cmp_ne_u64_e32 vcc, 0, v[27:28]
                                        ; implicit-def: $vgpr36
	s_and_saveexec_b64 s[88:89], vcc
	s_xor_b64 s[88:89], exec, s[88:89]
; %bb.4026:                             ;   in Loop: Header=BB6_2990 Depth=2
	v_or_b32_sdwa v36, v2, s65 dst_sel:DWORD dst_unused:UNUSED_PAD src0_sel:BYTE_3 src1_sel:DWORD
                                        ; implicit-def: $vgpr2
; %bb.4027:                             ;   in Loop: Header=BB6_2990 Depth=2
	s_andn2_saveexec_b64 s[88:89], s[88:89]
; %bb.4028:                             ;   in Loop: Header=BB6_2990 Depth=2
	v_cmp_lt_i32_e32 vcc, -1, v2
	v_mov_b32_e32 v2, 0x7c
	v_cndmask_b32_e32 v36, -4, v2, vcc
; %bb.4029:                             ;   in Loop: Header=BB6_2990 Depth=2
	s_or_b64 exec, exec, s[88:89]
.LBB6_4030:                             ;   in Loop: Header=BB6_2990 Depth=2
	s_or_b64 exec, exec, s[20:21]
	buffer_load_dword v2, off, s[0:3], s33 offset:164 ; 4-byte Folded Reload
	buffer_load_dword v3, off, s[0:3], s33 offset:168 ; 4-byte Folded Reload
	s_waitcnt vmcnt(0)
	v_mov_b32_e32 v3, 0
	v_mov_b32_e32 v27, v2
	v_cmp_ne_u16_e32 vcc, 0, v27
	v_mov_b32_e32 v2, 0
	s_and_saveexec_b64 s[20:21], vcc
	s_cbranch_execz .LBB6_4038
; %bb.4031:                             ;   in Loop: Header=BB6_2990 Depth=2
	v_cmp_ne_u16_e32 vcc, s52, v27
	v_bfrev_b32_e32 v3, 1
	s_and_saveexec_b64 s[88:89], vcc
	s_cbranch_execz .LBB6_4037
; %bb.4032:                             ;   in Loop: Header=BB6_2990 Depth=2
	v_and_b32_e32 v3, 0x7c, v27
	v_and_b32_e32 v4, 3, v27
	v_cmp_ne_u32_e32 vcc, s53, v3
                                        ; implicit-def: $vgpr3
	s_and_saveexec_b64 s[90:91], vcc
	s_xor_b64 s[90:91], exec, s[90:91]
	s_cbranch_execz .LBB6_4034
; %bb.4033:                             ;   in Loop: Header=BB6_2990 Depth=2
	buffer_load_dword v48, off, s[0:3], s33 offset:164 ; 4-byte Folded Reload
	buffer_load_dword v49, off, s[0:3], s33 offset:168 ; 4-byte Folded Reload
	v_ffbh_u32_e32 v27, v4
	v_min_u32_e32 v27, 32, v27
	s_waitcnt vmcnt(0)
	v_mov_b32_e32 v49, v28
	v_subrev_u32_e32 v37, 29, v27
	v_sub_u32_e32 v27, 30, v27
	v_and_b32_e32 v3, 0xff, v48
	v_bfe_u32 v3, v3, 2, 5
	v_lshlrev_b64 v[37:38], v37, v[48:49]
	v_cmp_eq_u32_e32 vcc, 0, v3
	v_and_b32_e32 v37, 3, v37
	v_cndmask_b32_e32 v3, v3, v27, vcc
	v_and_b32_sdwa v27, sext(v48), s54 dst_sel:DWORD dst_unused:UNUSED_PAD src0_sel:WORD_0 src1_sel:DWORD
	v_cndmask_b32_e32 v4, v4, v37, vcc
	v_lshl_add_u32 v3, v3, 23, v27
	v_lshl_or_b32 v3, v4, 21, v3
	v_add_u32_e32 v3, 0x38000000, v3
                                        ; implicit-def: $vgpr27
                                        ; implicit-def: $vgpr4
	buffer_store_dword v27, off, s[0:3], s33 offset:164 ; 4-byte Folded Spill
	s_nop 0
	buffer_store_dword v28, off, s[0:3], s33 offset:168 ; 4-byte Folded Spill
.LBB6_4034:                             ;   in Loop: Header=BB6_2990 Depth=2
	s_andn2_saveexec_b64 s[90:91], s[90:91]
	s_cbranch_execz .LBB6_4036
; %bb.4035:                             ;   in Loop: Header=BB6_2990 Depth=2
	buffer_load_dword v37, off, s[0:3], s33 offset:164 ; 4-byte Folded Reload
	buffer_load_dword v38, off, s[0:3], s33 offset:168 ; 4-byte Folded Reload
	v_mov_b32_e32 v3, 0xff800000
	v_mov_b32_e32 v27, 0x7f800000
	s_waitcnt vmcnt(1)
	v_cmp_lt_i16_e32 vcc, -1, v37
	v_cndmask_b32_e32 v3, v3, v27, vcc
	v_cmp_eq_u32_e32 vcc, 0, v4
	v_mov_b32_e32 v4, 0x7f800001
	v_cndmask_b32_e32 v3, v4, v3, vcc
.LBB6_4036:                             ;   in Loop: Header=BB6_2990 Depth=2
	s_or_b64 exec, exec, s[90:91]
.LBB6_4037:                             ;   in Loop: Header=BB6_2990 Depth=2
	s_or_b64 exec, exec, s[88:89]
.LBB6_4038:                             ;   in Loop: Header=BB6_2990 Depth=2
	s_or_b64 exec, exec, s[20:21]
	buffer_load_dword v37, off, s[0:3], s33 offset:156 ; 4-byte Folded Reload
	buffer_load_dword v38, off, s[0:3], s33 offset:160 ; 4-byte Folded Reload
	s_waitcnt vmcnt(1)
	v_mov_b32_e32 v27, v37
	v_cmp_ne_u16_e32 vcc, 0, v27
	s_and_saveexec_b64 s[20:21], vcc
	s_cbranch_execz .LBB6_4046
; %bb.4039:                             ;   in Loop: Header=BB6_2990 Depth=2
	v_cmp_ne_u16_e32 vcc, s52, v27
	v_bfrev_b32_e32 v2, 1
	s_and_saveexec_b64 s[88:89], vcc
	s_cbranch_execz .LBB6_4045
; %bb.4040:                             ;   in Loop: Header=BB6_2990 Depth=2
	v_and_b32_e32 v2, 0x7c, v27
	v_and_b32_e32 v4, 3, v27
	v_cmp_ne_u32_e32 vcc, s53, v2
                                        ; implicit-def: $vgpr2
	s_and_saveexec_b64 s[90:91], vcc
	s_xor_b64 s[90:91], exec, s[90:91]
	s_cbranch_execz .LBB6_4042
; %bb.4041:                             ;   in Loop: Header=BB6_2990 Depth=2
	buffer_load_dword v48, off, s[0:3], s33 offset:156 ; 4-byte Folded Reload
	buffer_load_dword v49, off, s[0:3], s33 offset:160 ; 4-byte Folded Reload
	v_ffbh_u32_e32 v27, v4
	v_min_u32_e32 v27, 32, v27
	s_waitcnt vmcnt(0)
	v_mov_b32_e32 v49, v28
	v_subrev_u32_e32 v37, 29, v27
	v_sub_u32_e32 v27, 30, v27
	v_and_b32_e32 v2, 0xff, v48
	v_bfe_u32 v2, v2, 2, 5
	v_lshlrev_b64 v[37:38], v37, v[48:49]
	v_cmp_eq_u32_e32 vcc, 0, v2
	v_and_b32_e32 v37, 3, v37
	v_cndmask_b32_e32 v2, v2, v27, vcc
	v_and_b32_sdwa v27, sext(v48), s54 dst_sel:DWORD dst_unused:UNUSED_PAD src0_sel:WORD_0 src1_sel:DWORD
	v_cndmask_b32_e32 v4, v4, v37, vcc
	v_lshl_add_u32 v2, v2, 23, v27
	v_lshl_or_b32 v2, v4, 21, v2
	v_add_u32_e32 v2, 0x38000000, v2
                                        ; implicit-def: $vgpr27
                                        ; implicit-def: $vgpr4
	buffer_store_dword v27, off, s[0:3], s33 offset:156 ; 4-byte Folded Spill
	s_nop 0
	buffer_store_dword v28, off, s[0:3], s33 offset:160 ; 4-byte Folded Spill
.LBB6_4042:                             ;   in Loop: Header=BB6_2990 Depth=2
	s_andn2_saveexec_b64 s[90:91], s[90:91]
	s_cbranch_execz .LBB6_4044
; %bb.4043:                             ;   in Loop: Header=BB6_2990 Depth=2
	buffer_load_dword v37, off, s[0:3], s33 offset:156 ; 4-byte Folded Reload
	buffer_load_dword v38, off, s[0:3], s33 offset:160 ; 4-byte Folded Reload
	v_mov_b32_e32 v2, 0xff800000
	v_mov_b32_e32 v27, 0x7f800000
	s_waitcnt vmcnt(1)
	v_cmp_lt_i16_e32 vcc, -1, v37
	v_cndmask_b32_e32 v2, v2, v27, vcc
	v_cmp_eq_u32_e32 vcc, 0, v4
	v_mov_b32_e32 v4, 0x7f800001
	v_cndmask_b32_e32 v2, v4, v2, vcc
.LBB6_4044:                             ;   in Loop: Header=BB6_2990 Depth=2
	s_or_b64 exec, exec, s[90:91]
.LBB6_4045:                             ;   in Loop: Header=BB6_2990 Depth=2
	s_or_b64 exec, exec, s[88:89]
.LBB6_4046:                             ;   in Loop: Header=BB6_2990 Depth=2
	s_or_b64 exec, exec, s[20:21]
	v_mul_f32_e32 v2, v3, v2
	v_and_b32_e32 v3, 0x7f800000, v2
	v_mov_b32_e32 v4, v28
	v_cmp_ne_u64_e32 vcc, s[60:61], v[3:4]
	v_and_b32_e32 v27, 0x7fffff, v2
                                        ; implicit-def: $vgpr37
	s_and_saveexec_b64 s[20:21], vcc
	s_xor_b64 s[88:89], exec, s[20:21]
	s_cbranch_execz .LBB6_4064
; %bb.4047:                             ;   in Loop: Header=BB6_2990 Depth=2
	v_and_b32_e32 v3, 0x7fffffff, v2
	v_mov_b32_e32 v4, v28
	v_cmp_gt_u64_e32 vcc, s[62:63], v[3:4]
	s_waitcnt vmcnt(0)
	v_and_b32_sdwa v38, v2, s55 dst_sel:DWORD dst_unused:UNUSED_PAD src0_sel:BYTE_3 src1_sel:DWORD
                                        ; implicit-def: $vgpr37
	s_and_saveexec_b64 s[20:21], vcc
	s_xor_b64 s[90:91], exec, s[20:21]
	s_cbranch_execz .LBB6_4061
; %bb.4048:                             ;   in Loop: Header=BB6_2990 Depth=2
	v_cmp_ne_u32_e32 vcc, 0, v2
	v_mov_b32_e32 v37, 0
	s_and_saveexec_b64 s[92:93], vcc
	s_cbranch_execz .LBB6_4060
; %bb.4049:                             ;   in Loop: Header=BB6_2990 Depth=2
	v_bfe_u32 v37, v2, 23, 8
	v_cmp_gt_u32_e64 s[20:21], s64, v37
	v_sub_u32_e32 v2, 0x71, v37
	v_cmp_eq_u32_e32 vcc, 0, v37
	v_cndmask_b32_e64 v2, 0, v2, s[20:21]
	v_mov_b32_e32 v4, 0x70
	v_cndmask_b32_e32 v39, v2, v4, vcc
	v_add_u32_e32 v4, 21, v39
	v_or_b32_e32 v3, 0x800000, v27
	v_lshlrev_b64 v[48:49], v4, -1
	v_cndmask_b32_e32 v2, v3, v27, vcc
	v_mov_b32_e32 v3, v28
	v_add_u32_e32 v4, 20, v39
	v_bfi_b32 v48, v48, 0, v2
	v_lshlrev_b64 v[50:51], v4, 1
	v_lshrrev_b64 v[2:3], v39, v[2:3]
	v_bfi_b32 v49, v49, 0, 0
	v_cmp_eq_u64_e64 s[20:21], v[48:49], v[50:51]
	v_mov_b32_e32 v4, v3
	v_mov_b32_e32 v3, v2
	s_and_saveexec_b64 s[94:95], s[20:21]
; %bb.4050:                             ;   in Loop: Header=BB6_2990 Depth=2
	v_bfe_u32 v3, v2, 21, 1
	v_add_co_u32_e64 v3, s[20:21], v2, v3
	v_add_co_u32_e64 v3, s[20:21], -1, v3
; %bb.4051:                             ;   in Loop: Header=BB6_2990 Depth=2
	s_or_b64 exec, exec, s[94:95]
	v_add_u32_e32 v4, 0xffffff81, v37
	v_mov_b32_e32 v27, 0xffffff82
	v_cndmask_b32_e32 v4, v4, v27, vcc
	v_lshrrev_b32_e32 v27, 23, v2
	v_add3_u32 v39, v39, v4, v27
	v_add_u32_e32 v37, 14, v39
	v_and_b32_e32 v3, 0x1fffff, v3
	v_add_u32_e32 v27, v3, v2
	v_cmp_ne_u32_e32 vcc, 0, v37
                                        ; implicit-def: $vgpr2_vgpr3
                                        ; implicit-def: $vgpr4
	s_and_saveexec_b64 s[20:21], vcc
	s_xor_b64 s[20:21], exec, s[20:21]
; %bb.4052:                             ;   in Loop: Header=BB6_2990 Depth=2
	v_cmp_lt_u64_e32 vcc, s[72:73], v[27:28]
	v_add_u32_e32 v2, 15, v39
	v_cndmask_b32_e32 v4, v37, v2, vcc
	v_cndmask_b32_e64 v2, 0, 1, vcc
	v_lshrrev_b64 v[2:3], v2, v[27:28]
; %bb.4053:                             ;   in Loop: Header=BB6_2990 Depth=2
	s_andn2_saveexec_b64 s[20:21], s[20:21]
; %bb.4054:                             ;   in Loop: Header=BB6_2990 Depth=2
	v_mov_b32_e32 v2, v27
	v_mov_b32_e32 v3, v28
	v_bfe_u32 v4, v27, 23, 1
; %bb.4055:                             ;   in Loop: Header=BB6_2990 Depth=2
	s_or_b64 exec, exec, s[20:21]
	v_lshrrev_b64 v[2:3], 21, v[2:3]
	v_cmp_gt_i32_e32 vcc, 32, v4
	v_cndmask_b32_e32 v3, 0, v3, vcc
	v_cndmask_b32_e32 v2, 3, v2, vcc
	v_cmp_ne_u64_e32 vcc, 0, v[2:3]
	v_cmp_ne_u32_e64 s[20:21], 0, v4
	s_or_b64 s[20:21], s[20:21], vcc
                                        ; implicit-def: $vgpr37
	s_and_saveexec_b64 s[94:95], s[20:21]
	s_xor_b64 s[20:21], exec, s[94:95]
; %bb.4056:                             ;   in Loop: Header=BB6_2990 Depth=2
	v_min_i32_e32 v3, 31, v4
	v_lshl_or_b32 v3, v3, 2, v38
	v_and_or_b32 v37, v2, 3, v3
                                        ; implicit-def: $vgpr38
; %bb.4057:                             ;   in Loop: Header=BB6_2990 Depth=2
	s_andn2_saveexec_b64 s[20:21], s[20:21]
; %bb.4058:                             ;   in Loop: Header=BB6_2990 Depth=2
	v_mov_b32_e32 v37, v38
; %bb.4059:                             ;   in Loop: Header=BB6_2990 Depth=2
	s_or_b64 exec, exec, s[20:21]
.LBB6_4060:                             ;   in Loop: Header=BB6_2990 Depth=2
	s_or_b64 exec, exec, s[92:93]
                                        ; implicit-def: $vgpr38
.LBB6_4061:                             ;   in Loop: Header=BB6_2990 Depth=2
	s_andn2_saveexec_b64 s[20:21], s[90:91]
; %bb.4062:                             ;   in Loop: Header=BB6_2990 Depth=2
	v_or_b32_e32 v37, 0x7b, v38
; %bb.4063:                             ;   in Loop: Header=BB6_2990 Depth=2
	s_or_b64 exec, exec, s[20:21]
                                        ; implicit-def: $vgpr2
.LBB6_4064:                             ;   in Loop: Header=BB6_2990 Depth=2
	s_andn2_saveexec_b64 s[20:21], s[88:89]
	s_cbranch_execz .LBB6_4070
; %bb.4065:                             ;   in Loop: Header=BB6_2990 Depth=2
	v_cmp_ne_u64_e32 vcc, 0, v[27:28]
                                        ; implicit-def: $vgpr37
	s_and_saveexec_b64 s[88:89], vcc
	s_xor_b64 s[88:89], exec, s[88:89]
; %bb.4066:                             ;   in Loop: Header=BB6_2990 Depth=2
	v_or_b32_sdwa v37, v2, s65 dst_sel:DWORD dst_unused:UNUSED_PAD src0_sel:BYTE_3 src1_sel:DWORD
                                        ; implicit-def: $vgpr2
; %bb.4067:                             ;   in Loop: Header=BB6_2990 Depth=2
	s_andn2_saveexec_b64 s[88:89], s[88:89]
; %bb.4068:                             ;   in Loop: Header=BB6_2990 Depth=2
	v_cmp_lt_i32_e32 vcc, -1, v2
	v_mov_b32_e32 v2, 0x7c
	v_cndmask_b32_e32 v37, -4, v2, vcc
; %bb.4069:                             ;   in Loop: Header=BB6_2990 Depth=2
	s_or_b64 exec, exec, s[88:89]
.LBB6_4070:                             ;   in Loop: Header=BB6_2990 Depth=2
	s_or_b64 exec, exec, s[20:21]
	buffer_load_dword v2, off, s[0:3], s33 offset:148 ; 4-byte Folded Reload
	buffer_load_dword v3, off, s[0:3], s33 offset:152 ; 4-byte Folded Reload
	s_waitcnt vmcnt(0)
	v_mov_b32_e32 v3, 0
	v_mov_b32_e32 v27, v2
	v_cmp_ne_u16_e32 vcc, 0, v27
	v_mov_b32_e32 v2, 0
	s_and_saveexec_b64 s[20:21], vcc
	s_cbranch_execz .LBB6_4078
; %bb.4071:                             ;   in Loop: Header=BB6_2990 Depth=2
	v_cmp_ne_u16_e32 vcc, s52, v27
	v_bfrev_b32_e32 v3, 1
	s_and_saveexec_b64 s[88:89], vcc
	s_cbranch_execz .LBB6_4077
; %bb.4072:                             ;   in Loop: Header=BB6_2990 Depth=2
	v_and_b32_e32 v3, 0x7c, v27
	v_and_b32_e32 v4, 3, v27
	v_cmp_ne_u32_e32 vcc, s53, v3
                                        ; implicit-def: $vgpr3
	s_and_saveexec_b64 s[90:91], vcc
	s_xor_b64 s[90:91], exec, s[90:91]
	s_cbranch_execz .LBB6_4074
; %bb.4073:                             ;   in Loop: Header=BB6_2990 Depth=2
	buffer_load_dword v48, off, s[0:3], s33 offset:148 ; 4-byte Folded Reload
	buffer_load_dword v49, off, s[0:3], s33 offset:152 ; 4-byte Folded Reload
	v_ffbh_u32_e32 v27, v4
	v_min_u32_e32 v27, 32, v27
	s_waitcnt vmcnt(0)
	v_mov_b32_e32 v49, v28
	v_subrev_u32_e32 v38, 29, v27
	v_sub_u32_e32 v27, 30, v27
	v_and_b32_e32 v3, 0xff, v48
	v_bfe_u32 v3, v3, 2, 5
	v_lshlrev_b64 v[38:39], v38, v[48:49]
	v_cmp_eq_u32_e32 vcc, 0, v3
	v_and_b32_e32 v38, 3, v38
	v_cndmask_b32_e32 v3, v3, v27, vcc
	v_and_b32_sdwa v27, sext(v48), s54 dst_sel:DWORD dst_unused:UNUSED_PAD src0_sel:WORD_0 src1_sel:DWORD
	v_cndmask_b32_e32 v4, v4, v38, vcc
	v_lshl_add_u32 v3, v3, 23, v27
	v_lshl_or_b32 v3, v4, 21, v3
	v_add_u32_e32 v3, 0x38000000, v3
                                        ; implicit-def: $vgpr27
                                        ; implicit-def: $vgpr4
	buffer_store_dword v27, off, s[0:3], s33 offset:148 ; 4-byte Folded Spill
	s_nop 0
	buffer_store_dword v28, off, s[0:3], s33 offset:152 ; 4-byte Folded Spill
.LBB6_4074:                             ;   in Loop: Header=BB6_2990 Depth=2
	s_andn2_saveexec_b64 s[90:91], s[90:91]
	s_cbranch_execz .LBB6_4076
; %bb.4075:                             ;   in Loop: Header=BB6_2990 Depth=2
	buffer_load_dword v38, off, s[0:3], s33 offset:148 ; 4-byte Folded Reload
	buffer_load_dword v39, off, s[0:3], s33 offset:152 ; 4-byte Folded Reload
	v_mov_b32_e32 v3, 0xff800000
	v_mov_b32_e32 v27, 0x7f800000
	s_waitcnt vmcnt(1)
	v_cmp_lt_i16_e32 vcc, -1, v38
	v_cndmask_b32_e32 v3, v3, v27, vcc
	v_cmp_eq_u32_e32 vcc, 0, v4
	v_mov_b32_e32 v4, 0x7f800001
	v_cndmask_b32_e32 v3, v4, v3, vcc
.LBB6_4076:                             ;   in Loop: Header=BB6_2990 Depth=2
	s_or_b64 exec, exec, s[90:91]
.LBB6_4077:                             ;   in Loop: Header=BB6_2990 Depth=2
	s_or_b64 exec, exec, s[88:89]
.LBB6_4078:                             ;   in Loop: Header=BB6_2990 Depth=2
	s_or_b64 exec, exec, s[20:21]
	buffer_load_dword v38, off, s[0:3], s33 offset:140 ; 4-byte Folded Reload
	buffer_load_dword v39, off, s[0:3], s33 offset:144 ; 4-byte Folded Reload
	s_waitcnt vmcnt(1)
	v_mov_b32_e32 v27, v38
	v_cmp_ne_u16_e32 vcc, 0, v27
	s_and_saveexec_b64 s[20:21], vcc
	s_cbranch_execz .LBB6_4086
; %bb.4079:                             ;   in Loop: Header=BB6_2990 Depth=2
	v_cmp_ne_u16_e32 vcc, s52, v27
	v_bfrev_b32_e32 v2, 1
	s_and_saveexec_b64 s[88:89], vcc
	s_cbranch_execz .LBB6_4085
; %bb.4080:                             ;   in Loop: Header=BB6_2990 Depth=2
	v_and_b32_e32 v2, 0x7c, v27
	v_and_b32_e32 v4, 3, v27
	v_cmp_ne_u32_e32 vcc, s53, v2
                                        ; implicit-def: $vgpr2
	s_and_saveexec_b64 s[90:91], vcc
	s_xor_b64 s[90:91], exec, s[90:91]
	s_cbranch_execz .LBB6_4082
; %bb.4081:                             ;   in Loop: Header=BB6_2990 Depth=2
	buffer_load_dword v48, off, s[0:3], s33 offset:140 ; 4-byte Folded Reload
	buffer_load_dword v49, off, s[0:3], s33 offset:144 ; 4-byte Folded Reload
	v_ffbh_u32_e32 v27, v4
	v_min_u32_e32 v27, 32, v27
	s_waitcnt vmcnt(0)
	v_mov_b32_e32 v49, v28
	v_subrev_u32_e32 v38, 29, v27
	v_sub_u32_e32 v27, 30, v27
	v_and_b32_e32 v2, 0xff, v48
	v_bfe_u32 v2, v2, 2, 5
	v_lshlrev_b64 v[38:39], v38, v[48:49]
	v_cmp_eq_u32_e32 vcc, 0, v2
	v_and_b32_e32 v38, 3, v38
	v_cndmask_b32_e32 v2, v2, v27, vcc
	v_and_b32_sdwa v27, sext(v48), s54 dst_sel:DWORD dst_unused:UNUSED_PAD src0_sel:WORD_0 src1_sel:DWORD
	v_cndmask_b32_e32 v4, v4, v38, vcc
	v_lshl_add_u32 v2, v2, 23, v27
	v_lshl_or_b32 v2, v4, 21, v2
	v_add_u32_e32 v2, 0x38000000, v2
                                        ; implicit-def: $vgpr27
                                        ; implicit-def: $vgpr4
	buffer_store_dword v27, off, s[0:3], s33 offset:140 ; 4-byte Folded Spill
	s_nop 0
	buffer_store_dword v28, off, s[0:3], s33 offset:144 ; 4-byte Folded Spill
.LBB6_4082:                             ;   in Loop: Header=BB6_2990 Depth=2
	s_andn2_saveexec_b64 s[90:91], s[90:91]
	s_cbranch_execz .LBB6_4084
; %bb.4083:                             ;   in Loop: Header=BB6_2990 Depth=2
	buffer_load_dword v38, off, s[0:3], s33 offset:140 ; 4-byte Folded Reload
	buffer_load_dword v39, off, s[0:3], s33 offset:144 ; 4-byte Folded Reload
	v_mov_b32_e32 v2, 0xff800000
	v_mov_b32_e32 v27, 0x7f800000
	s_waitcnt vmcnt(1)
	v_cmp_lt_i16_e32 vcc, -1, v38
	v_cndmask_b32_e32 v2, v2, v27, vcc
	v_cmp_eq_u32_e32 vcc, 0, v4
	v_mov_b32_e32 v4, 0x7f800001
	v_cndmask_b32_e32 v2, v4, v2, vcc
.LBB6_4084:                             ;   in Loop: Header=BB6_2990 Depth=2
	s_or_b64 exec, exec, s[90:91]
.LBB6_4085:                             ;   in Loop: Header=BB6_2990 Depth=2
	s_or_b64 exec, exec, s[88:89]
.LBB6_4086:                             ;   in Loop: Header=BB6_2990 Depth=2
	s_or_b64 exec, exec, s[20:21]
	v_mul_f32_e32 v2, v3, v2
	v_and_b32_e32 v3, 0x7f800000, v2
	v_mov_b32_e32 v4, v28
	v_cmp_ne_u64_e32 vcc, s[60:61], v[3:4]
	v_and_b32_e32 v27, 0x7fffff, v2
                                        ; implicit-def: $vgpr38
	s_and_saveexec_b64 s[20:21], vcc
	s_xor_b64 s[88:89], exec, s[20:21]
	s_cbranch_execz .LBB6_4104
; %bb.4087:                             ;   in Loop: Header=BB6_2990 Depth=2
	v_and_b32_e32 v3, 0x7fffffff, v2
	v_mov_b32_e32 v4, v28
	v_cmp_gt_u64_e32 vcc, s[62:63], v[3:4]
	s_waitcnt vmcnt(0)
	v_and_b32_sdwa v39, v2, s55 dst_sel:DWORD dst_unused:UNUSED_PAD src0_sel:BYTE_3 src1_sel:DWORD
                                        ; implicit-def: $vgpr38
	s_and_saveexec_b64 s[20:21], vcc
	s_xor_b64 s[90:91], exec, s[20:21]
	s_cbranch_execz .LBB6_4101
; %bb.4088:                             ;   in Loop: Header=BB6_2990 Depth=2
	v_cmp_ne_u32_e32 vcc, 0, v2
	v_mov_b32_e32 v38, 0
	s_and_saveexec_b64 s[92:93], vcc
	s_cbranch_execz .LBB6_4100
; %bb.4089:                             ;   in Loop: Header=BB6_2990 Depth=2
	v_bfe_u32 v38, v2, 23, 8
	v_cmp_gt_u32_e64 s[20:21], s64, v38
	v_sub_u32_e32 v2, 0x71, v38
	v_cmp_eq_u32_e32 vcc, 0, v38
	v_cndmask_b32_e64 v2, 0, v2, s[20:21]
	v_mov_b32_e32 v4, 0x70
	v_cndmask_b32_e32 v48, v2, v4, vcc
	v_add_u32_e32 v4, 21, v48
	v_or_b32_e32 v3, 0x800000, v27
	v_lshlrev_b64 v[49:50], v4, -1
	v_cndmask_b32_e32 v2, v3, v27, vcc
	v_mov_b32_e32 v3, v28
	v_add_u32_e32 v4, 20, v48
	v_bfi_b32 v49, v49, 0, v2
	v_lshlrev_b64 v[51:52], v4, 1
	v_lshrrev_b64 v[2:3], v48, v[2:3]
	v_bfi_b32 v50, v50, 0, 0
	v_cmp_eq_u64_e64 s[20:21], v[49:50], v[51:52]
	v_mov_b32_e32 v4, v3
	v_mov_b32_e32 v3, v2
	s_and_saveexec_b64 s[94:95], s[20:21]
; %bb.4090:                             ;   in Loop: Header=BB6_2990 Depth=2
	v_bfe_u32 v3, v2, 21, 1
	v_add_co_u32_e64 v3, s[20:21], v2, v3
	v_add_co_u32_e64 v3, s[20:21], -1, v3
; %bb.4091:                             ;   in Loop: Header=BB6_2990 Depth=2
	s_or_b64 exec, exec, s[94:95]
	v_add_u32_e32 v4, 0xffffff81, v38
	v_mov_b32_e32 v27, 0xffffff82
	v_cndmask_b32_e32 v4, v4, v27, vcc
	v_lshrrev_b32_e32 v27, 23, v2
	v_add3_u32 v48, v48, v4, v27
	v_add_u32_e32 v38, 14, v48
	v_and_b32_e32 v3, 0x1fffff, v3
	v_add_u32_e32 v27, v3, v2
	v_cmp_ne_u32_e32 vcc, 0, v38
                                        ; implicit-def: $vgpr2_vgpr3
                                        ; implicit-def: $vgpr4
	s_and_saveexec_b64 s[20:21], vcc
	s_xor_b64 s[20:21], exec, s[20:21]
; %bb.4092:                             ;   in Loop: Header=BB6_2990 Depth=2
	v_cmp_lt_u64_e32 vcc, s[72:73], v[27:28]
	v_add_u32_e32 v2, 15, v48
	v_cndmask_b32_e32 v4, v38, v2, vcc
	v_cndmask_b32_e64 v2, 0, 1, vcc
	v_lshrrev_b64 v[2:3], v2, v[27:28]
; %bb.4093:                             ;   in Loop: Header=BB6_2990 Depth=2
	s_andn2_saveexec_b64 s[20:21], s[20:21]
; %bb.4094:                             ;   in Loop: Header=BB6_2990 Depth=2
	v_mov_b32_e32 v2, v27
	v_mov_b32_e32 v3, v28
	v_bfe_u32 v4, v27, 23, 1
; %bb.4095:                             ;   in Loop: Header=BB6_2990 Depth=2
	s_or_b64 exec, exec, s[20:21]
	v_lshrrev_b64 v[2:3], 21, v[2:3]
	v_cmp_gt_i32_e32 vcc, 32, v4
	v_cndmask_b32_e32 v3, 0, v3, vcc
	v_cndmask_b32_e32 v2, 3, v2, vcc
	v_cmp_ne_u64_e32 vcc, 0, v[2:3]
	v_cmp_ne_u32_e64 s[20:21], 0, v4
	s_or_b64 s[20:21], s[20:21], vcc
                                        ; implicit-def: $vgpr38
	s_and_saveexec_b64 s[94:95], s[20:21]
	s_xor_b64 s[20:21], exec, s[94:95]
; %bb.4096:                             ;   in Loop: Header=BB6_2990 Depth=2
	v_min_i32_e32 v3, 31, v4
	v_lshl_or_b32 v3, v3, 2, v39
	v_and_or_b32 v38, v2, 3, v3
                                        ; implicit-def: $vgpr39
; %bb.4097:                             ;   in Loop: Header=BB6_2990 Depth=2
	s_andn2_saveexec_b64 s[20:21], s[20:21]
; %bb.4098:                             ;   in Loop: Header=BB6_2990 Depth=2
	v_mov_b32_e32 v38, v39
; %bb.4099:                             ;   in Loop: Header=BB6_2990 Depth=2
	s_or_b64 exec, exec, s[20:21]
.LBB6_4100:                             ;   in Loop: Header=BB6_2990 Depth=2
	s_or_b64 exec, exec, s[92:93]
                                        ; implicit-def: $vgpr39
.LBB6_4101:                             ;   in Loop: Header=BB6_2990 Depth=2
	s_andn2_saveexec_b64 s[20:21], s[90:91]
; %bb.4102:                             ;   in Loop: Header=BB6_2990 Depth=2
	v_or_b32_e32 v38, 0x7b, v39
; %bb.4103:                             ;   in Loop: Header=BB6_2990 Depth=2
	s_or_b64 exec, exec, s[20:21]
                                        ; implicit-def: $vgpr2
.LBB6_4104:                             ;   in Loop: Header=BB6_2990 Depth=2
	s_andn2_saveexec_b64 s[20:21], s[88:89]
	s_cbranch_execz .LBB6_4110
; %bb.4105:                             ;   in Loop: Header=BB6_2990 Depth=2
	v_cmp_ne_u64_e32 vcc, 0, v[27:28]
                                        ; implicit-def: $vgpr38
	s_and_saveexec_b64 s[88:89], vcc
	s_xor_b64 s[88:89], exec, s[88:89]
; %bb.4106:                             ;   in Loop: Header=BB6_2990 Depth=2
	v_or_b32_sdwa v38, v2, s65 dst_sel:DWORD dst_unused:UNUSED_PAD src0_sel:BYTE_3 src1_sel:DWORD
                                        ; implicit-def: $vgpr2
; %bb.4107:                             ;   in Loop: Header=BB6_2990 Depth=2
	s_andn2_saveexec_b64 s[88:89], s[88:89]
; %bb.4108:                             ;   in Loop: Header=BB6_2990 Depth=2
	v_cmp_lt_i32_e32 vcc, -1, v2
	v_mov_b32_e32 v2, 0x7c
	v_cndmask_b32_e32 v38, -4, v2, vcc
; %bb.4109:                             ;   in Loop: Header=BB6_2990 Depth=2
	s_or_b64 exec, exec, s[88:89]
.LBB6_4110:                             ;   in Loop: Header=BB6_2990 Depth=2
	s_or_b64 exec, exec, s[20:21]
	buffer_load_dword v2, off, s[0:3], s33 offset:132 ; 4-byte Folded Reload
	buffer_load_dword v3, off, s[0:3], s33 offset:136 ; 4-byte Folded Reload
	s_waitcnt vmcnt(0)
	v_mov_b32_e32 v3, 0
	v_mov_b32_e32 v27, v2
	v_cmp_ne_u16_e32 vcc, 0, v27
	v_mov_b32_e32 v2, 0
	s_and_saveexec_b64 s[20:21], vcc
	s_cbranch_execz .LBB6_4118
; %bb.4111:                             ;   in Loop: Header=BB6_2990 Depth=2
	v_cmp_ne_u16_e32 vcc, s52, v27
	v_bfrev_b32_e32 v3, 1
	s_and_saveexec_b64 s[88:89], vcc
	s_cbranch_execz .LBB6_4117
; %bb.4112:                             ;   in Loop: Header=BB6_2990 Depth=2
	v_and_b32_e32 v3, 0x7c, v27
	v_and_b32_e32 v4, 3, v27
	v_cmp_ne_u32_e32 vcc, s53, v3
                                        ; implicit-def: $vgpr3
	s_and_saveexec_b64 s[90:91], vcc
	s_xor_b64 s[90:91], exec, s[90:91]
	s_cbranch_execz .LBB6_4114
; %bb.4113:                             ;   in Loop: Header=BB6_2990 Depth=2
	buffer_load_dword v50, off, s[0:3], s33 offset:132 ; 4-byte Folded Reload
	buffer_load_dword v51, off, s[0:3], s33 offset:136 ; 4-byte Folded Reload
	v_ffbh_u32_e32 v27, v4
	v_min_u32_e32 v27, 32, v27
	s_waitcnt vmcnt(0)
	v_mov_b32_e32 v51, v28
	v_subrev_u32_e32 v39, 29, v27
	v_sub_u32_e32 v27, 30, v27
	v_and_b32_e32 v3, 0xff, v50
	v_bfe_u32 v3, v3, 2, 5
	v_lshlrev_b64 v[48:49], v39, v[50:51]
	v_cmp_eq_u32_e32 vcc, 0, v3
	v_and_b32_e32 v39, 3, v48
	v_cndmask_b32_e32 v3, v3, v27, vcc
	v_and_b32_sdwa v27, sext(v50), s54 dst_sel:DWORD dst_unused:UNUSED_PAD src0_sel:WORD_0 src1_sel:DWORD
	v_cndmask_b32_e32 v4, v4, v39, vcc
	v_lshl_add_u32 v3, v3, 23, v27
	v_lshl_or_b32 v3, v4, 21, v3
	v_add_u32_e32 v3, 0x38000000, v3
                                        ; implicit-def: $vgpr27
                                        ; implicit-def: $vgpr4
	buffer_store_dword v27, off, s[0:3], s33 offset:132 ; 4-byte Folded Spill
	s_nop 0
	buffer_store_dword v28, off, s[0:3], s33 offset:136 ; 4-byte Folded Spill
.LBB6_4114:                             ;   in Loop: Header=BB6_2990 Depth=2
	s_andn2_saveexec_b64 s[90:91], s[90:91]
	s_cbranch_execz .LBB6_4116
; %bb.4115:                             ;   in Loop: Header=BB6_2990 Depth=2
	buffer_load_dword v48, off, s[0:3], s33 offset:132 ; 4-byte Folded Reload
	buffer_load_dword v49, off, s[0:3], s33 offset:136 ; 4-byte Folded Reload
	v_mov_b32_e32 v3, 0xff800000
	v_mov_b32_e32 v27, 0x7f800000
	s_waitcnt vmcnt(1)
	v_cmp_lt_i16_e32 vcc, -1, v48
	v_cndmask_b32_e32 v3, v3, v27, vcc
	v_cmp_eq_u32_e32 vcc, 0, v4
	v_mov_b32_e32 v4, 0x7f800001
	v_cndmask_b32_e32 v3, v4, v3, vcc
.LBB6_4116:                             ;   in Loop: Header=BB6_2990 Depth=2
	s_or_b64 exec, exec, s[90:91]
.LBB6_4117:                             ;   in Loop: Header=BB6_2990 Depth=2
	s_or_b64 exec, exec, s[88:89]
.LBB6_4118:                             ;   in Loop: Header=BB6_2990 Depth=2
	s_or_b64 exec, exec, s[20:21]
	buffer_load_dword v48, off, s[0:3], s33 offset:124 ; 4-byte Folded Reload
	buffer_load_dword v49, off, s[0:3], s33 offset:128 ; 4-byte Folded Reload
	s_waitcnt vmcnt(1)
	v_mov_b32_e32 v27, v48
	v_cmp_ne_u16_e32 vcc, 0, v27
	s_and_saveexec_b64 s[20:21], vcc
	s_cbranch_execz .LBB6_4126
; %bb.4119:                             ;   in Loop: Header=BB6_2990 Depth=2
	v_cmp_ne_u16_e32 vcc, s52, v27
	v_bfrev_b32_e32 v2, 1
	s_and_saveexec_b64 s[88:89], vcc
	s_cbranch_execz .LBB6_4125
; %bb.4120:                             ;   in Loop: Header=BB6_2990 Depth=2
	v_and_b32_e32 v2, 0x7c, v27
	v_and_b32_e32 v4, 3, v27
	v_cmp_ne_u32_e32 vcc, s53, v2
                                        ; implicit-def: $vgpr2
	s_and_saveexec_b64 s[90:91], vcc
	s_xor_b64 s[90:91], exec, s[90:91]
	s_cbranch_execz .LBB6_4122
; %bb.4121:                             ;   in Loop: Header=BB6_2990 Depth=2
	buffer_load_dword v50, off, s[0:3], s33 offset:124 ; 4-byte Folded Reload
	buffer_load_dword v51, off, s[0:3], s33 offset:128 ; 4-byte Folded Reload
	v_ffbh_u32_e32 v27, v4
	v_min_u32_e32 v27, 32, v27
	s_waitcnt vmcnt(0)
	v_mov_b32_e32 v51, v28
	v_subrev_u32_e32 v39, 29, v27
	v_sub_u32_e32 v27, 30, v27
	v_and_b32_e32 v2, 0xff, v50
	v_bfe_u32 v2, v2, 2, 5
	v_lshlrev_b64 v[48:49], v39, v[50:51]
	v_cmp_eq_u32_e32 vcc, 0, v2
	v_and_b32_e32 v39, 3, v48
	v_cndmask_b32_e32 v2, v2, v27, vcc
	v_and_b32_sdwa v27, sext(v50), s54 dst_sel:DWORD dst_unused:UNUSED_PAD src0_sel:WORD_0 src1_sel:DWORD
	v_cndmask_b32_e32 v4, v4, v39, vcc
	v_lshl_add_u32 v2, v2, 23, v27
	v_lshl_or_b32 v2, v4, 21, v2
	v_add_u32_e32 v2, 0x38000000, v2
                                        ; implicit-def: $vgpr27
                                        ; implicit-def: $vgpr4
	buffer_store_dword v27, off, s[0:3], s33 offset:124 ; 4-byte Folded Spill
	s_nop 0
	buffer_store_dword v28, off, s[0:3], s33 offset:128 ; 4-byte Folded Spill
.LBB6_4122:                             ;   in Loop: Header=BB6_2990 Depth=2
	s_andn2_saveexec_b64 s[90:91], s[90:91]
	s_cbranch_execz .LBB6_4124
; %bb.4123:                             ;   in Loop: Header=BB6_2990 Depth=2
	buffer_load_dword v48, off, s[0:3], s33 offset:124 ; 4-byte Folded Reload
	buffer_load_dword v49, off, s[0:3], s33 offset:128 ; 4-byte Folded Reload
	v_mov_b32_e32 v2, 0xff800000
	v_mov_b32_e32 v27, 0x7f800000
	s_waitcnt vmcnt(1)
	v_cmp_lt_i16_e32 vcc, -1, v48
	v_cndmask_b32_e32 v2, v2, v27, vcc
	v_cmp_eq_u32_e32 vcc, 0, v4
	v_mov_b32_e32 v4, 0x7f800001
	v_cndmask_b32_e32 v2, v4, v2, vcc
.LBB6_4124:                             ;   in Loop: Header=BB6_2990 Depth=2
	s_or_b64 exec, exec, s[90:91]
.LBB6_4125:                             ;   in Loop: Header=BB6_2990 Depth=2
	s_or_b64 exec, exec, s[88:89]
.LBB6_4126:                             ;   in Loop: Header=BB6_2990 Depth=2
	s_or_b64 exec, exec, s[20:21]
	v_mul_f32_e32 v2, v3, v2
	v_and_b32_e32 v3, 0x7f800000, v2
	v_mov_b32_e32 v4, v28
	v_cmp_ne_u64_e32 vcc, s[60:61], v[3:4]
	v_and_b32_e32 v27, 0x7fffff, v2
                                        ; implicit-def: $vgpr39
	s_and_saveexec_b64 s[20:21], vcc
	s_xor_b64 s[88:89], exec, s[20:21]
	s_cbranch_execz .LBB6_4144
; %bb.4127:                             ;   in Loop: Header=BB6_2990 Depth=2
	v_and_b32_e32 v3, 0x7fffffff, v2
	v_mov_b32_e32 v4, v28
	v_cmp_gt_u64_e32 vcc, s[62:63], v[3:4]
	v_and_b32_sdwa v48, v2, s55 dst_sel:DWORD dst_unused:UNUSED_PAD src0_sel:BYTE_3 src1_sel:DWORD
                                        ; implicit-def: $vgpr39
	s_and_saveexec_b64 s[20:21], vcc
	s_xor_b64 s[90:91], exec, s[20:21]
	s_cbranch_execz .LBB6_4141
; %bb.4128:                             ;   in Loop: Header=BB6_2990 Depth=2
	v_cmp_ne_u32_e32 vcc, 0, v2
	v_mov_b32_e32 v39, 0
	s_and_saveexec_b64 s[92:93], vcc
	s_cbranch_execz .LBB6_4140
; %bb.4129:                             ;   in Loop: Header=BB6_2990 Depth=2
	v_bfe_u32 v39, v2, 23, 8
	v_cmp_gt_u32_e64 s[20:21], s64, v39
	v_sub_u32_e32 v2, 0x71, v39
	v_cmp_eq_u32_e32 vcc, 0, v39
	v_cndmask_b32_e64 v2, 0, v2, s[20:21]
	v_mov_b32_e32 v4, 0x70
	s_waitcnt vmcnt(0)
	v_cndmask_b32_e32 v49, v2, v4, vcc
	v_add_u32_e32 v4, 21, v49
	v_or_b32_e32 v3, 0x800000, v27
	v_lshlrev_b64 v[50:51], v4, -1
	v_cndmask_b32_e32 v2, v3, v27, vcc
	v_mov_b32_e32 v3, v28
	v_add_u32_e32 v4, 20, v49
	v_bfi_b32 v50, v50, 0, v2
	v_lshlrev_b64 v[52:53], v4, 1
	v_lshrrev_b64 v[2:3], v49, v[2:3]
	v_bfi_b32 v51, v51, 0, 0
	v_cmp_eq_u64_e64 s[20:21], v[50:51], v[52:53]
	v_mov_b32_e32 v4, v3
	v_mov_b32_e32 v3, v2
	s_and_saveexec_b64 s[94:95], s[20:21]
; %bb.4130:                             ;   in Loop: Header=BB6_2990 Depth=2
	v_bfe_u32 v3, v2, 21, 1
	v_add_co_u32_e64 v3, s[20:21], v2, v3
	v_add_co_u32_e64 v3, s[20:21], -1, v3
; %bb.4131:                             ;   in Loop: Header=BB6_2990 Depth=2
	s_or_b64 exec, exec, s[94:95]
	v_add_u32_e32 v4, 0xffffff81, v39
	v_mov_b32_e32 v27, 0xffffff82
	v_cndmask_b32_e32 v4, v4, v27, vcc
	v_lshrrev_b32_e32 v27, 23, v2
	v_add3_u32 v49, v49, v4, v27
	v_add_u32_e32 v39, 14, v49
	v_and_b32_e32 v3, 0x1fffff, v3
	v_add_u32_e32 v27, v3, v2
	v_cmp_ne_u32_e32 vcc, 0, v39
                                        ; implicit-def: $vgpr2_vgpr3
                                        ; implicit-def: $vgpr4
	s_and_saveexec_b64 s[20:21], vcc
	s_xor_b64 s[20:21], exec, s[20:21]
; %bb.4132:                             ;   in Loop: Header=BB6_2990 Depth=2
	v_cmp_lt_u64_e32 vcc, s[72:73], v[27:28]
	v_add_u32_e32 v2, 15, v49
	v_cndmask_b32_e32 v4, v39, v2, vcc
	v_cndmask_b32_e64 v2, 0, 1, vcc
	v_lshrrev_b64 v[2:3], v2, v[27:28]
; %bb.4133:                             ;   in Loop: Header=BB6_2990 Depth=2
	s_andn2_saveexec_b64 s[20:21], s[20:21]
; %bb.4134:                             ;   in Loop: Header=BB6_2990 Depth=2
	v_mov_b32_e32 v2, v27
	v_mov_b32_e32 v3, v28
	v_bfe_u32 v4, v27, 23, 1
; %bb.4135:                             ;   in Loop: Header=BB6_2990 Depth=2
	s_or_b64 exec, exec, s[20:21]
	v_lshrrev_b64 v[2:3], 21, v[2:3]
	v_cmp_gt_i32_e32 vcc, 32, v4
	v_cndmask_b32_e32 v3, 0, v3, vcc
	v_cndmask_b32_e32 v2, 3, v2, vcc
	v_cmp_ne_u64_e32 vcc, 0, v[2:3]
	v_cmp_ne_u32_e64 s[20:21], 0, v4
	s_or_b64 s[20:21], s[20:21], vcc
                                        ; implicit-def: $vgpr39
	s_and_saveexec_b64 s[94:95], s[20:21]
	s_xor_b64 s[20:21], exec, s[94:95]
; %bb.4136:                             ;   in Loop: Header=BB6_2990 Depth=2
	v_min_i32_e32 v3, 31, v4
	v_lshl_or_b32 v3, v3, 2, v48
	v_and_or_b32 v39, v2, 3, v3
                                        ; implicit-def: $vgpr48
; %bb.4137:                             ;   in Loop: Header=BB6_2990 Depth=2
	s_andn2_saveexec_b64 s[20:21], s[20:21]
; %bb.4138:                             ;   in Loop: Header=BB6_2990 Depth=2
	v_mov_b32_e32 v39, v48
; %bb.4139:                             ;   in Loop: Header=BB6_2990 Depth=2
	s_or_b64 exec, exec, s[20:21]
.LBB6_4140:                             ;   in Loop: Header=BB6_2990 Depth=2
	s_or_b64 exec, exec, s[92:93]
                                        ; implicit-def: $vgpr48
.LBB6_4141:                             ;   in Loop: Header=BB6_2990 Depth=2
	s_andn2_saveexec_b64 s[20:21], s[90:91]
; %bb.4142:                             ;   in Loop: Header=BB6_2990 Depth=2
	v_or_b32_e32 v39, 0x7b, v48
; %bb.4143:                             ;   in Loop: Header=BB6_2990 Depth=2
	s_or_b64 exec, exec, s[20:21]
                                        ; implicit-def: $vgpr2
.LBB6_4144:                             ;   in Loop: Header=BB6_2990 Depth=2
	s_andn2_saveexec_b64 s[20:21], s[88:89]
	s_cbranch_execz .LBB6_4150
; %bb.4145:                             ;   in Loop: Header=BB6_2990 Depth=2
	v_cmp_ne_u64_e32 vcc, 0, v[27:28]
                                        ; implicit-def: $vgpr39
	s_and_saveexec_b64 s[88:89], vcc
	s_xor_b64 s[88:89], exec, s[88:89]
; %bb.4146:                             ;   in Loop: Header=BB6_2990 Depth=2
	v_or_b32_sdwa v39, v2, s65 dst_sel:DWORD dst_unused:UNUSED_PAD src0_sel:BYTE_3 src1_sel:DWORD
                                        ; implicit-def: $vgpr2
; %bb.4147:                             ;   in Loop: Header=BB6_2990 Depth=2
	s_andn2_saveexec_b64 s[88:89], s[88:89]
; %bb.4148:                             ;   in Loop: Header=BB6_2990 Depth=2
	v_cmp_lt_i32_e32 vcc, -1, v2
	v_mov_b32_e32 v2, 0x7c
	v_cndmask_b32_e32 v39, -4, v2, vcc
; %bb.4149:                             ;   in Loop: Header=BB6_2990 Depth=2
	s_or_b64 exec, exec, s[88:89]
.LBB6_4150:                             ;   in Loop: Header=BB6_2990 Depth=2
	s_or_b64 exec, exec, s[20:21]
	buffer_load_dword v2, off, s[0:3], s33 offset:116 ; 4-byte Folded Reload
	buffer_load_dword v3, off, s[0:3], s33 offset:120 ; 4-byte Folded Reload
	s_waitcnt vmcnt(0)
	v_mov_b32_e32 v3, 0
	v_mov_b32_e32 v27, v2
	v_cmp_ne_u16_e32 vcc, 0, v27
	v_mov_b32_e32 v2, 0
	s_and_saveexec_b64 s[20:21], vcc
	s_cbranch_execz .LBB6_4158
; %bb.4151:                             ;   in Loop: Header=BB6_2990 Depth=2
	v_cmp_ne_u16_e32 vcc, s52, v27
	v_bfrev_b32_e32 v3, 1
	s_and_saveexec_b64 s[88:89], vcc
	s_cbranch_execz .LBB6_4157
; %bb.4152:                             ;   in Loop: Header=BB6_2990 Depth=2
	v_and_b32_e32 v3, 0x7c, v27
	v_and_b32_e32 v4, 3, v27
	v_cmp_ne_u32_e32 vcc, s53, v3
                                        ; implicit-def: $vgpr3
	s_and_saveexec_b64 s[90:91], vcc
	s_xor_b64 s[90:91], exec, s[90:91]
	s_cbranch_execz .LBB6_4154
; %bb.4153:                             ;   in Loop: Header=BB6_2990 Depth=2
	buffer_load_dword v50, off, s[0:3], s33 offset:116 ; 4-byte Folded Reload
	buffer_load_dword v51, off, s[0:3], s33 offset:120 ; 4-byte Folded Reload
	v_ffbh_u32_e32 v27, v4
	v_min_u32_e32 v27, 32, v27
	s_waitcnt vmcnt(0)
	v_mov_b32_e32 v51, v28
	v_subrev_u32_e32 v48, 29, v27
	v_sub_u32_e32 v27, 30, v27
	v_and_b32_e32 v3, 0xff, v50
	v_bfe_u32 v3, v3, 2, 5
	v_lshlrev_b64 v[48:49], v48, v[50:51]
	v_cmp_eq_u32_e32 vcc, 0, v3
	v_and_b32_e32 v48, 3, v48
	v_cndmask_b32_e32 v3, v3, v27, vcc
	v_and_b32_sdwa v27, sext(v50), s54 dst_sel:DWORD dst_unused:UNUSED_PAD src0_sel:WORD_0 src1_sel:DWORD
	v_cndmask_b32_e32 v4, v4, v48, vcc
	v_lshl_add_u32 v3, v3, 23, v27
	v_lshl_or_b32 v3, v4, 21, v3
	v_add_u32_e32 v3, 0x38000000, v3
                                        ; implicit-def: $vgpr27
                                        ; implicit-def: $vgpr4
	buffer_store_dword v27, off, s[0:3], s33 offset:116 ; 4-byte Folded Spill
	s_nop 0
	buffer_store_dword v28, off, s[0:3], s33 offset:120 ; 4-byte Folded Spill
.LBB6_4154:                             ;   in Loop: Header=BB6_2990 Depth=2
	s_andn2_saveexec_b64 s[90:91], s[90:91]
	s_cbranch_execz .LBB6_4156
; %bb.4155:                             ;   in Loop: Header=BB6_2990 Depth=2
	buffer_load_dword v48, off, s[0:3], s33 offset:116 ; 4-byte Folded Reload
	buffer_load_dword v49, off, s[0:3], s33 offset:120 ; 4-byte Folded Reload
	v_mov_b32_e32 v3, 0xff800000
	v_mov_b32_e32 v27, 0x7f800000
	s_waitcnt vmcnt(1)
	v_cmp_lt_i16_e32 vcc, -1, v48
	v_cndmask_b32_e32 v3, v3, v27, vcc
	v_cmp_eq_u32_e32 vcc, 0, v4
	v_mov_b32_e32 v4, 0x7f800001
	v_cndmask_b32_e32 v3, v4, v3, vcc
.LBB6_4156:                             ;   in Loop: Header=BB6_2990 Depth=2
	s_or_b64 exec, exec, s[90:91]
.LBB6_4157:                             ;   in Loop: Header=BB6_2990 Depth=2
	s_or_b64 exec, exec, s[88:89]
.LBB6_4158:                             ;   in Loop: Header=BB6_2990 Depth=2
	s_or_b64 exec, exec, s[20:21]
	buffer_load_dword v48, off, s[0:3], s33 offset:108 ; 4-byte Folded Reload
	buffer_load_dword v49, off, s[0:3], s33 offset:112 ; 4-byte Folded Reload
	s_waitcnt vmcnt(1)
	v_mov_b32_e32 v27, v48
	v_cmp_ne_u16_e32 vcc, 0, v27
	s_and_saveexec_b64 s[20:21], vcc
	s_cbranch_execz .LBB6_4166
; %bb.4159:                             ;   in Loop: Header=BB6_2990 Depth=2
	v_cmp_ne_u16_e32 vcc, s52, v27
	v_bfrev_b32_e32 v2, 1
	s_and_saveexec_b64 s[88:89], vcc
	s_cbranch_execz .LBB6_4165
; %bb.4160:                             ;   in Loop: Header=BB6_2990 Depth=2
	v_and_b32_e32 v2, 0x7c, v27
	v_and_b32_e32 v4, 3, v27
	v_cmp_ne_u32_e32 vcc, s53, v2
                                        ; implicit-def: $vgpr2
	s_and_saveexec_b64 s[90:91], vcc
	s_xor_b64 s[90:91], exec, s[90:91]
	s_cbranch_execz .LBB6_4162
; %bb.4161:                             ;   in Loop: Header=BB6_2990 Depth=2
	buffer_load_dword v50, off, s[0:3], s33 offset:108 ; 4-byte Folded Reload
	buffer_load_dword v51, off, s[0:3], s33 offset:112 ; 4-byte Folded Reload
	v_ffbh_u32_e32 v27, v4
	v_min_u32_e32 v27, 32, v27
	s_waitcnt vmcnt(0)
	v_mov_b32_e32 v51, v28
	v_subrev_u32_e32 v48, 29, v27
	v_sub_u32_e32 v27, 30, v27
	v_and_b32_e32 v2, 0xff, v50
	v_bfe_u32 v2, v2, 2, 5
	v_lshlrev_b64 v[48:49], v48, v[50:51]
	v_cmp_eq_u32_e32 vcc, 0, v2
	v_and_b32_e32 v48, 3, v48
	v_cndmask_b32_e32 v2, v2, v27, vcc
	v_and_b32_sdwa v27, sext(v50), s54 dst_sel:DWORD dst_unused:UNUSED_PAD src0_sel:WORD_0 src1_sel:DWORD
	v_cndmask_b32_e32 v4, v4, v48, vcc
	v_lshl_add_u32 v2, v2, 23, v27
	v_lshl_or_b32 v2, v4, 21, v2
	v_add_u32_e32 v2, 0x38000000, v2
                                        ; implicit-def: $vgpr27
                                        ; implicit-def: $vgpr4
	buffer_store_dword v27, off, s[0:3], s33 offset:108 ; 4-byte Folded Spill
	s_nop 0
	buffer_store_dword v28, off, s[0:3], s33 offset:112 ; 4-byte Folded Spill
.LBB6_4162:                             ;   in Loop: Header=BB6_2990 Depth=2
	s_andn2_saveexec_b64 s[90:91], s[90:91]
	s_cbranch_execz .LBB6_4164
; %bb.4163:                             ;   in Loop: Header=BB6_2990 Depth=2
	buffer_load_dword v48, off, s[0:3], s33 offset:108 ; 4-byte Folded Reload
	buffer_load_dword v49, off, s[0:3], s33 offset:112 ; 4-byte Folded Reload
	v_mov_b32_e32 v2, 0xff800000
	v_mov_b32_e32 v27, 0x7f800000
	s_waitcnt vmcnt(1)
	v_cmp_lt_i16_e32 vcc, -1, v48
	v_cndmask_b32_e32 v2, v2, v27, vcc
	v_cmp_eq_u32_e32 vcc, 0, v4
	v_mov_b32_e32 v4, 0x7f800001
	v_cndmask_b32_e32 v2, v4, v2, vcc
.LBB6_4164:                             ;   in Loop: Header=BB6_2990 Depth=2
	s_or_b64 exec, exec, s[90:91]
.LBB6_4165:                             ;   in Loop: Header=BB6_2990 Depth=2
	s_or_b64 exec, exec, s[88:89]
.LBB6_4166:                             ;   in Loop: Header=BB6_2990 Depth=2
	s_or_b64 exec, exec, s[20:21]
	v_mul_f32_e32 v2, v3, v2
	v_and_b32_e32 v3, 0x7f800000, v2
	v_mov_b32_e32 v4, v28
	v_cmp_ne_u64_e32 vcc, s[60:61], v[3:4]
	v_and_b32_e32 v27, 0x7fffff, v2
                                        ; implicit-def: $vgpr48
	s_and_saveexec_b64 s[20:21], vcc
	s_xor_b64 s[88:89], exec, s[20:21]
	s_cbranch_execz .LBB6_4184
; %bb.4167:                             ;   in Loop: Header=BB6_2990 Depth=2
	v_and_b32_e32 v3, 0x7fffffff, v2
	v_mov_b32_e32 v4, v28
	v_cmp_gt_u64_e32 vcc, s[62:63], v[3:4]
	s_waitcnt vmcnt(0)
	v_and_b32_sdwa v49, v2, s55 dst_sel:DWORD dst_unused:UNUSED_PAD src0_sel:BYTE_3 src1_sel:DWORD
                                        ; implicit-def: $vgpr48
	s_and_saveexec_b64 s[20:21], vcc
	s_xor_b64 s[90:91], exec, s[20:21]
	s_cbranch_execz .LBB6_4181
; %bb.4168:                             ;   in Loop: Header=BB6_2990 Depth=2
	v_cmp_ne_u32_e32 vcc, 0, v2
	v_mov_b32_e32 v48, 0
	s_and_saveexec_b64 s[92:93], vcc
	s_cbranch_execz .LBB6_4180
; %bb.4169:                             ;   in Loop: Header=BB6_2990 Depth=2
	v_bfe_u32 v48, v2, 23, 8
	v_cmp_gt_u32_e64 s[20:21], s64, v48
	v_sub_u32_e32 v2, 0x71, v48
	v_cmp_eq_u32_e32 vcc, 0, v48
	v_cndmask_b32_e64 v2, 0, v2, s[20:21]
	v_mov_b32_e32 v4, 0x70
	v_cndmask_b32_e32 v50, v2, v4, vcc
	v_add_u32_e32 v4, 21, v50
	v_or_b32_e32 v3, 0x800000, v27
	v_lshlrev_b64 v[51:52], v4, -1
	v_cndmask_b32_e32 v2, v3, v27, vcc
	v_mov_b32_e32 v3, v28
	v_add_u32_e32 v4, 20, v50
	v_bfi_b32 v51, v51, 0, v2
	v_lshlrev_b64 v[53:54], v4, 1
	v_lshrrev_b64 v[2:3], v50, v[2:3]
	v_bfi_b32 v52, v52, 0, 0
	v_cmp_eq_u64_e64 s[20:21], v[51:52], v[53:54]
	v_mov_b32_e32 v4, v3
	v_mov_b32_e32 v3, v2
	s_and_saveexec_b64 s[94:95], s[20:21]
; %bb.4170:                             ;   in Loop: Header=BB6_2990 Depth=2
	v_bfe_u32 v3, v2, 21, 1
	v_add_co_u32_e64 v3, s[20:21], v2, v3
	v_add_co_u32_e64 v3, s[20:21], -1, v3
; %bb.4171:                             ;   in Loop: Header=BB6_2990 Depth=2
	s_or_b64 exec, exec, s[94:95]
	v_add_u32_e32 v4, 0xffffff81, v48
	v_mov_b32_e32 v27, 0xffffff82
	v_cndmask_b32_e32 v4, v4, v27, vcc
	v_lshrrev_b32_e32 v27, 23, v2
	v_add3_u32 v50, v50, v4, v27
	v_add_u32_e32 v48, 14, v50
	v_and_b32_e32 v3, 0x1fffff, v3
	v_add_u32_e32 v27, v3, v2
	v_cmp_ne_u32_e32 vcc, 0, v48
                                        ; implicit-def: $vgpr2_vgpr3
                                        ; implicit-def: $vgpr4
	s_and_saveexec_b64 s[20:21], vcc
	s_xor_b64 s[20:21], exec, s[20:21]
; %bb.4172:                             ;   in Loop: Header=BB6_2990 Depth=2
	v_cmp_lt_u64_e32 vcc, s[72:73], v[27:28]
	v_add_u32_e32 v2, 15, v50
	v_cndmask_b32_e32 v4, v48, v2, vcc
	v_cndmask_b32_e64 v2, 0, 1, vcc
	v_lshrrev_b64 v[2:3], v2, v[27:28]
; %bb.4173:                             ;   in Loop: Header=BB6_2990 Depth=2
	s_andn2_saveexec_b64 s[20:21], s[20:21]
; %bb.4174:                             ;   in Loop: Header=BB6_2990 Depth=2
	v_mov_b32_e32 v2, v27
	v_mov_b32_e32 v3, v28
	v_bfe_u32 v4, v27, 23, 1
; %bb.4175:                             ;   in Loop: Header=BB6_2990 Depth=2
	s_or_b64 exec, exec, s[20:21]
	v_lshrrev_b64 v[2:3], 21, v[2:3]
	v_cmp_gt_i32_e32 vcc, 32, v4
	v_cndmask_b32_e32 v3, 0, v3, vcc
	v_cndmask_b32_e32 v2, 3, v2, vcc
	v_cmp_ne_u64_e32 vcc, 0, v[2:3]
	v_cmp_ne_u32_e64 s[20:21], 0, v4
	s_or_b64 s[20:21], s[20:21], vcc
                                        ; implicit-def: $vgpr48
	s_and_saveexec_b64 s[94:95], s[20:21]
	s_xor_b64 s[20:21], exec, s[94:95]
; %bb.4176:                             ;   in Loop: Header=BB6_2990 Depth=2
	v_min_i32_e32 v3, 31, v4
	v_lshl_or_b32 v3, v3, 2, v49
	v_and_or_b32 v48, v2, 3, v3
                                        ; implicit-def: $vgpr49
; %bb.4177:                             ;   in Loop: Header=BB6_2990 Depth=2
	s_andn2_saveexec_b64 s[20:21], s[20:21]
; %bb.4178:                             ;   in Loop: Header=BB6_2990 Depth=2
	v_mov_b32_e32 v48, v49
; %bb.4179:                             ;   in Loop: Header=BB6_2990 Depth=2
	s_or_b64 exec, exec, s[20:21]
.LBB6_4180:                             ;   in Loop: Header=BB6_2990 Depth=2
	s_or_b64 exec, exec, s[92:93]
                                        ; implicit-def: $vgpr49
.LBB6_4181:                             ;   in Loop: Header=BB6_2990 Depth=2
	s_andn2_saveexec_b64 s[20:21], s[90:91]
; %bb.4182:                             ;   in Loop: Header=BB6_2990 Depth=2
	v_or_b32_e32 v48, 0x7b, v49
; %bb.4183:                             ;   in Loop: Header=BB6_2990 Depth=2
	s_or_b64 exec, exec, s[20:21]
                                        ; implicit-def: $vgpr2
.LBB6_4184:                             ;   in Loop: Header=BB6_2990 Depth=2
	s_andn2_saveexec_b64 s[20:21], s[88:89]
	s_cbranch_execz .LBB6_4190
; %bb.4185:                             ;   in Loop: Header=BB6_2990 Depth=2
	v_cmp_ne_u64_e32 vcc, 0, v[27:28]
                                        ; implicit-def: $vgpr48
	s_and_saveexec_b64 s[88:89], vcc
	s_xor_b64 s[88:89], exec, s[88:89]
; %bb.4186:                             ;   in Loop: Header=BB6_2990 Depth=2
	v_or_b32_sdwa v48, v2, s65 dst_sel:DWORD dst_unused:UNUSED_PAD src0_sel:BYTE_3 src1_sel:DWORD
                                        ; implicit-def: $vgpr2
; %bb.4187:                             ;   in Loop: Header=BB6_2990 Depth=2
	s_andn2_saveexec_b64 s[88:89], s[88:89]
; %bb.4188:                             ;   in Loop: Header=BB6_2990 Depth=2
	v_cmp_lt_i32_e32 vcc, -1, v2
	v_mov_b32_e32 v2, 0x7c
	v_cndmask_b32_e32 v48, -4, v2, vcc
; %bb.4189:                             ;   in Loop: Header=BB6_2990 Depth=2
	s_or_b64 exec, exec, s[88:89]
.LBB6_4190:                             ;   in Loop: Header=BB6_2990 Depth=2
	s_or_b64 exec, exec, s[20:21]
	buffer_load_dword v2, off, s[0:3], s33 offset:100 ; 4-byte Folded Reload
	buffer_load_dword v3, off, s[0:3], s33 offset:104 ; 4-byte Folded Reload
	s_waitcnt vmcnt(0)
	v_mov_b32_e32 v3, 0
	v_mov_b32_e32 v27, v2
	v_cmp_ne_u16_e32 vcc, 0, v27
	v_mov_b32_e32 v2, 0
	s_and_saveexec_b64 s[20:21], vcc
	s_cbranch_execz .LBB6_4198
; %bb.4191:                             ;   in Loop: Header=BB6_2990 Depth=2
	v_cmp_ne_u16_e32 vcc, s52, v27
	v_bfrev_b32_e32 v3, 1
	s_and_saveexec_b64 s[88:89], vcc
	s_cbranch_execz .LBB6_4197
; %bb.4192:                             ;   in Loop: Header=BB6_2990 Depth=2
	v_and_b32_e32 v3, 0x7c, v27
	v_and_b32_e32 v4, 3, v27
	v_cmp_ne_u32_e32 vcc, s53, v3
                                        ; implicit-def: $vgpr3
	s_and_saveexec_b64 s[90:91], vcc
	s_xor_b64 s[90:91], exec, s[90:91]
	s_cbranch_execz .LBB6_4194
; %bb.4193:                             ;   in Loop: Header=BB6_2990 Depth=2
	buffer_load_dword v51, off, s[0:3], s33 offset:100 ; 4-byte Folded Reload
	buffer_load_dword v52, off, s[0:3], s33 offset:104 ; 4-byte Folded Reload
	v_ffbh_u32_e32 v27, v4
	v_min_u32_e32 v27, 32, v27
	s_waitcnt vmcnt(0)
	v_mov_b32_e32 v52, v28
	v_subrev_u32_e32 v49, 29, v27
	v_sub_u32_e32 v27, 30, v27
	v_and_b32_e32 v3, 0xff, v51
	v_bfe_u32 v3, v3, 2, 5
	v_lshlrev_b64 v[49:50], v49, v[51:52]
	v_cmp_eq_u32_e32 vcc, 0, v3
	v_and_b32_e32 v49, 3, v49
	v_cndmask_b32_e32 v3, v3, v27, vcc
	v_and_b32_sdwa v27, sext(v51), s54 dst_sel:DWORD dst_unused:UNUSED_PAD src0_sel:WORD_0 src1_sel:DWORD
	v_cndmask_b32_e32 v4, v4, v49, vcc
	v_lshl_add_u32 v3, v3, 23, v27
	v_lshl_or_b32 v3, v4, 21, v3
	v_add_u32_e32 v3, 0x38000000, v3
                                        ; implicit-def: $vgpr27
                                        ; implicit-def: $vgpr4
	buffer_store_dword v27, off, s[0:3], s33 offset:100 ; 4-byte Folded Spill
	s_nop 0
	buffer_store_dword v28, off, s[0:3], s33 offset:104 ; 4-byte Folded Spill
.LBB6_4194:                             ;   in Loop: Header=BB6_2990 Depth=2
	s_andn2_saveexec_b64 s[90:91], s[90:91]
	s_cbranch_execz .LBB6_4196
; %bb.4195:                             ;   in Loop: Header=BB6_2990 Depth=2
	buffer_load_dword v49, off, s[0:3], s33 offset:100 ; 4-byte Folded Reload
	buffer_load_dword v50, off, s[0:3], s33 offset:104 ; 4-byte Folded Reload
	v_mov_b32_e32 v3, 0xff800000
	v_mov_b32_e32 v27, 0x7f800000
	s_waitcnt vmcnt(1)
	v_cmp_lt_i16_e32 vcc, -1, v49
	v_cndmask_b32_e32 v3, v3, v27, vcc
	v_cmp_eq_u32_e32 vcc, 0, v4
	v_mov_b32_e32 v4, 0x7f800001
	v_cndmask_b32_e32 v3, v4, v3, vcc
.LBB6_4196:                             ;   in Loop: Header=BB6_2990 Depth=2
	s_or_b64 exec, exec, s[90:91]
.LBB6_4197:                             ;   in Loop: Header=BB6_2990 Depth=2
	s_or_b64 exec, exec, s[88:89]
.LBB6_4198:                             ;   in Loop: Header=BB6_2990 Depth=2
	s_or_b64 exec, exec, s[20:21]
	buffer_load_dword v49, off, s[0:3], s33 offset:92 ; 4-byte Folded Reload
	buffer_load_dword v50, off, s[0:3], s33 offset:96 ; 4-byte Folded Reload
	s_waitcnt vmcnt(1)
	v_mov_b32_e32 v27, v49
	v_cmp_ne_u16_e32 vcc, 0, v27
	s_and_saveexec_b64 s[20:21], vcc
	s_cbranch_execz .LBB6_4206
; %bb.4199:                             ;   in Loop: Header=BB6_2990 Depth=2
	v_cmp_ne_u16_e32 vcc, s52, v27
	v_bfrev_b32_e32 v2, 1
	s_and_saveexec_b64 s[88:89], vcc
	s_cbranch_execz .LBB6_4205
; %bb.4200:                             ;   in Loop: Header=BB6_2990 Depth=2
	v_and_b32_e32 v2, 0x7c, v27
	v_and_b32_e32 v4, 3, v27
	v_cmp_ne_u32_e32 vcc, s53, v2
                                        ; implicit-def: $vgpr2
	s_and_saveexec_b64 s[90:91], vcc
	s_xor_b64 s[90:91], exec, s[90:91]
	s_cbranch_execz .LBB6_4202
; %bb.4201:                             ;   in Loop: Header=BB6_2990 Depth=2
	buffer_load_dword v51, off, s[0:3], s33 offset:92 ; 4-byte Folded Reload
	buffer_load_dword v52, off, s[0:3], s33 offset:96 ; 4-byte Folded Reload
	v_ffbh_u32_e32 v27, v4
	v_min_u32_e32 v27, 32, v27
	s_waitcnt vmcnt(0)
	v_mov_b32_e32 v52, v28
	v_subrev_u32_e32 v49, 29, v27
	v_sub_u32_e32 v27, 30, v27
	v_and_b32_e32 v2, 0xff, v51
	v_bfe_u32 v2, v2, 2, 5
	v_lshlrev_b64 v[49:50], v49, v[51:52]
	v_cmp_eq_u32_e32 vcc, 0, v2
	v_and_b32_e32 v49, 3, v49
	v_cndmask_b32_e32 v2, v2, v27, vcc
	v_and_b32_sdwa v27, sext(v51), s54 dst_sel:DWORD dst_unused:UNUSED_PAD src0_sel:WORD_0 src1_sel:DWORD
	v_cndmask_b32_e32 v4, v4, v49, vcc
	v_lshl_add_u32 v2, v2, 23, v27
	v_lshl_or_b32 v2, v4, 21, v2
	v_add_u32_e32 v2, 0x38000000, v2
                                        ; implicit-def: $vgpr27
                                        ; implicit-def: $vgpr4
	buffer_store_dword v27, off, s[0:3], s33 offset:92 ; 4-byte Folded Spill
	s_nop 0
	buffer_store_dword v28, off, s[0:3], s33 offset:96 ; 4-byte Folded Spill
.LBB6_4202:                             ;   in Loop: Header=BB6_2990 Depth=2
	s_andn2_saveexec_b64 s[90:91], s[90:91]
	s_cbranch_execz .LBB6_4204
; %bb.4203:                             ;   in Loop: Header=BB6_2990 Depth=2
	buffer_load_dword v49, off, s[0:3], s33 offset:92 ; 4-byte Folded Reload
	buffer_load_dword v50, off, s[0:3], s33 offset:96 ; 4-byte Folded Reload
	v_mov_b32_e32 v2, 0xff800000
	v_mov_b32_e32 v27, 0x7f800000
	s_waitcnt vmcnt(1)
	v_cmp_lt_i16_e32 vcc, -1, v49
	v_cndmask_b32_e32 v2, v2, v27, vcc
	v_cmp_eq_u32_e32 vcc, 0, v4
	v_mov_b32_e32 v4, 0x7f800001
	v_cndmask_b32_e32 v2, v4, v2, vcc
.LBB6_4204:                             ;   in Loop: Header=BB6_2990 Depth=2
	s_or_b64 exec, exec, s[90:91]
.LBB6_4205:                             ;   in Loop: Header=BB6_2990 Depth=2
	s_or_b64 exec, exec, s[88:89]
.LBB6_4206:                             ;   in Loop: Header=BB6_2990 Depth=2
	s_or_b64 exec, exec, s[20:21]
	v_mul_f32_e32 v2, v3, v2
	v_and_b32_e32 v3, 0x7f800000, v2
	v_mov_b32_e32 v4, v28
	v_cmp_ne_u64_e32 vcc, s[60:61], v[3:4]
	v_and_b32_e32 v27, 0x7fffff, v2
                                        ; implicit-def: $vgpr49
	s_and_saveexec_b64 s[20:21], vcc
	s_xor_b64 s[88:89], exec, s[20:21]
	s_cbranch_execz .LBB6_4224
; %bb.4207:                             ;   in Loop: Header=BB6_2990 Depth=2
	v_and_b32_e32 v3, 0x7fffffff, v2
	v_mov_b32_e32 v4, v28
	v_cmp_gt_u64_e32 vcc, s[62:63], v[3:4]
	s_waitcnt vmcnt(0)
	v_and_b32_sdwa v50, v2, s55 dst_sel:DWORD dst_unused:UNUSED_PAD src0_sel:BYTE_3 src1_sel:DWORD
                                        ; implicit-def: $vgpr49
	s_and_saveexec_b64 s[20:21], vcc
	s_xor_b64 s[90:91], exec, s[20:21]
	s_cbranch_execz .LBB6_4221
; %bb.4208:                             ;   in Loop: Header=BB6_2990 Depth=2
	v_cmp_ne_u32_e32 vcc, 0, v2
	v_mov_b32_e32 v49, 0
	s_and_saveexec_b64 s[92:93], vcc
	s_cbranch_execz .LBB6_4220
; %bb.4209:                             ;   in Loop: Header=BB6_2990 Depth=2
	v_bfe_u32 v49, v2, 23, 8
	v_cmp_gt_u32_e64 s[20:21], s64, v49
	v_sub_u32_e32 v2, 0x71, v49
	v_cmp_eq_u32_e32 vcc, 0, v49
	v_cndmask_b32_e64 v2, 0, v2, s[20:21]
	v_mov_b32_e32 v4, 0x70
	v_cndmask_b32_e32 v51, v2, v4, vcc
	v_add_u32_e32 v4, 21, v51
	v_or_b32_e32 v3, 0x800000, v27
	v_lshlrev_b64 v[52:53], v4, -1
	v_cndmask_b32_e32 v2, v3, v27, vcc
	v_mov_b32_e32 v3, v28
	v_add_u32_e32 v4, 20, v51
	v_bfi_b32 v52, v52, 0, v2
	v_lshlrev_b64 v[54:55], v4, 1
	v_lshrrev_b64 v[2:3], v51, v[2:3]
	v_bfi_b32 v53, v53, 0, 0
	v_cmp_eq_u64_e64 s[20:21], v[52:53], v[54:55]
	v_mov_b32_e32 v4, v3
	v_mov_b32_e32 v3, v2
	s_and_saveexec_b64 s[94:95], s[20:21]
; %bb.4210:                             ;   in Loop: Header=BB6_2990 Depth=2
	v_bfe_u32 v3, v2, 21, 1
	v_add_co_u32_e64 v3, s[20:21], v2, v3
	v_add_co_u32_e64 v3, s[20:21], -1, v3
; %bb.4211:                             ;   in Loop: Header=BB6_2990 Depth=2
	s_or_b64 exec, exec, s[94:95]
	v_add_u32_e32 v4, 0xffffff81, v49
	v_mov_b32_e32 v27, 0xffffff82
	v_cndmask_b32_e32 v4, v4, v27, vcc
	v_lshrrev_b32_e32 v27, 23, v2
	v_add3_u32 v51, v51, v4, v27
	v_add_u32_e32 v49, 14, v51
	v_and_b32_e32 v3, 0x1fffff, v3
	v_add_u32_e32 v27, v3, v2
	v_cmp_ne_u32_e32 vcc, 0, v49
                                        ; implicit-def: $vgpr2_vgpr3
                                        ; implicit-def: $vgpr4
	s_and_saveexec_b64 s[20:21], vcc
	s_xor_b64 s[20:21], exec, s[20:21]
; %bb.4212:                             ;   in Loop: Header=BB6_2990 Depth=2
	v_cmp_lt_u64_e32 vcc, s[72:73], v[27:28]
	v_add_u32_e32 v2, 15, v51
	v_cndmask_b32_e32 v4, v49, v2, vcc
	v_cndmask_b32_e64 v2, 0, 1, vcc
	v_lshrrev_b64 v[2:3], v2, v[27:28]
; %bb.4213:                             ;   in Loop: Header=BB6_2990 Depth=2
	s_andn2_saveexec_b64 s[20:21], s[20:21]
; %bb.4214:                             ;   in Loop: Header=BB6_2990 Depth=2
	v_mov_b32_e32 v2, v27
	v_mov_b32_e32 v3, v28
	v_bfe_u32 v4, v27, 23, 1
; %bb.4215:                             ;   in Loop: Header=BB6_2990 Depth=2
	s_or_b64 exec, exec, s[20:21]
	v_lshrrev_b64 v[2:3], 21, v[2:3]
	v_cmp_gt_i32_e32 vcc, 32, v4
	v_cndmask_b32_e32 v3, 0, v3, vcc
	v_cndmask_b32_e32 v2, 3, v2, vcc
	v_cmp_ne_u64_e32 vcc, 0, v[2:3]
	v_cmp_ne_u32_e64 s[20:21], 0, v4
	s_or_b64 s[20:21], s[20:21], vcc
                                        ; implicit-def: $vgpr49
	s_and_saveexec_b64 s[94:95], s[20:21]
	s_xor_b64 s[20:21], exec, s[94:95]
; %bb.4216:                             ;   in Loop: Header=BB6_2990 Depth=2
	v_min_i32_e32 v3, 31, v4
	v_lshl_or_b32 v3, v3, 2, v50
	v_and_or_b32 v49, v2, 3, v3
                                        ; implicit-def: $vgpr50
; %bb.4217:                             ;   in Loop: Header=BB6_2990 Depth=2
	s_andn2_saveexec_b64 s[20:21], s[20:21]
; %bb.4218:                             ;   in Loop: Header=BB6_2990 Depth=2
	v_mov_b32_e32 v49, v50
; %bb.4219:                             ;   in Loop: Header=BB6_2990 Depth=2
	s_or_b64 exec, exec, s[20:21]
.LBB6_4220:                             ;   in Loop: Header=BB6_2990 Depth=2
	s_or_b64 exec, exec, s[92:93]
                                        ; implicit-def: $vgpr50
.LBB6_4221:                             ;   in Loop: Header=BB6_2990 Depth=2
	s_andn2_saveexec_b64 s[20:21], s[90:91]
; %bb.4222:                             ;   in Loop: Header=BB6_2990 Depth=2
	v_or_b32_e32 v49, 0x7b, v50
; %bb.4223:                             ;   in Loop: Header=BB6_2990 Depth=2
	s_or_b64 exec, exec, s[20:21]
                                        ; implicit-def: $vgpr2
.LBB6_4224:                             ;   in Loop: Header=BB6_2990 Depth=2
	s_andn2_saveexec_b64 s[20:21], s[88:89]
	s_cbranch_execz .LBB6_4230
; %bb.4225:                             ;   in Loop: Header=BB6_2990 Depth=2
	v_cmp_ne_u64_e32 vcc, 0, v[27:28]
                                        ; implicit-def: $vgpr49
	s_and_saveexec_b64 s[88:89], vcc
	s_xor_b64 s[88:89], exec, s[88:89]
; %bb.4226:                             ;   in Loop: Header=BB6_2990 Depth=2
	v_or_b32_sdwa v49, v2, s65 dst_sel:DWORD dst_unused:UNUSED_PAD src0_sel:BYTE_3 src1_sel:DWORD
                                        ; implicit-def: $vgpr2
; %bb.4227:                             ;   in Loop: Header=BB6_2990 Depth=2
	s_andn2_saveexec_b64 s[88:89], s[88:89]
; %bb.4228:                             ;   in Loop: Header=BB6_2990 Depth=2
	v_cmp_lt_i32_e32 vcc, -1, v2
	v_mov_b32_e32 v2, 0x7c
	v_cndmask_b32_e32 v49, -4, v2, vcc
; %bb.4229:                             ;   in Loop: Header=BB6_2990 Depth=2
	s_or_b64 exec, exec, s[88:89]
.LBB6_4230:                             ;   in Loop: Header=BB6_2990 Depth=2
	s_or_b64 exec, exec, s[20:21]
	buffer_load_dword v2, off, s[0:3], s33 offset:84 ; 4-byte Folded Reload
	buffer_load_dword v3, off, s[0:3], s33 offset:88 ; 4-byte Folded Reload
	s_waitcnt vmcnt(0)
	v_mov_b32_e32 v3, 0
	v_mov_b32_e32 v27, v2
	v_cmp_ne_u16_e32 vcc, 0, v27
	v_mov_b32_e32 v2, 0
	s_and_saveexec_b64 s[20:21], vcc
	s_cbranch_execz .LBB6_4238
; %bb.4231:                             ;   in Loop: Header=BB6_2990 Depth=2
	v_cmp_ne_u16_e32 vcc, s52, v27
	v_bfrev_b32_e32 v3, 1
	s_and_saveexec_b64 s[88:89], vcc
	s_cbranch_execz .LBB6_4237
; %bb.4232:                             ;   in Loop: Header=BB6_2990 Depth=2
	v_and_b32_e32 v3, 0x7c, v27
	v_and_b32_e32 v4, 3, v27
	v_cmp_ne_u32_e32 vcc, s53, v3
                                        ; implicit-def: $vgpr3
	s_and_saveexec_b64 s[90:91], vcc
	s_xor_b64 s[90:91], exec, s[90:91]
	s_cbranch_execz .LBB6_4234
; %bb.4233:                             ;   in Loop: Header=BB6_2990 Depth=2
	buffer_load_dword v52, off, s[0:3], s33 offset:84 ; 4-byte Folded Reload
	buffer_load_dword v53, off, s[0:3], s33 offset:88 ; 4-byte Folded Reload
	v_ffbh_u32_e32 v27, v4
	v_min_u32_e32 v27, 32, v27
	s_waitcnt vmcnt(0)
	v_mov_b32_e32 v53, v28
	v_subrev_u32_e32 v50, 29, v27
	v_sub_u32_e32 v27, 30, v27
	v_and_b32_e32 v3, 0xff, v52
	v_bfe_u32 v3, v3, 2, 5
	v_lshlrev_b64 v[50:51], v50, v[52:53]
	v_cmp_eq_u32_e32 vcc, 0, v3
	v_and_b32_e32 v50, 3, v50
	v_cndmask_b32_e32 v3, v3, v27, vcc
	v_and_b32_sdwa v27, sext(v52), s54 dst_sel:DWORD dst_unused:UNUSED_PAD src0_sel:WORD_0 src1_sel:DWORD
	v_cndmask_b32_e32 v4, v4, v50, vcc
	v_lshl_add_u32 v3, v3, 23, v27
	v_lshl_or_b32 v3, v4, 21, v3
	v_add_u32_e32 v3, 0x38000000, v3
                                        ; implicit-def: $vgpr27
                                        ; implicit-def: $vgpr4
	buffer_store_dword v27, off, s[0:3], s33 offset:84 ; 4-byte Folded Spill
	s_nop 0
	buffer_store_dword v28, off, s[0:3], s33 offset:88 ; 4-byte Folded Spill
.LBB6_4234:                             ;   in Loop: Header=BB6_2990 Depth=2
	s_andn2_saveexec_b64 s[90:91], s[90:91]
	s_cbranch_execz .LBB6_4236
; %bb.4235:                             ;   in Loop: Header=BB6_2990 Depth=2
	buffer_load_dword v50, off, s[0:3], s33 offset:84 ; 4-byte Folded Reload
	buffer_load_dword v51, off, s[0:3], s33 offset:88 ; 4-byte Folded Reload
	v_mov_b32_e32 v3, 0xff800000
	v_mov_b32_e32 v27, 0x7f800000
	s_waitcnt vmcnt(1)
	v_cmp_lt_i16_e32 vcc, -1, v50
	v_cndmask_b32_e32 v3, v3, v27, vcc
	v_cmp_eq_u32_e32 vcc, 0, v4
	v_mov_b32_e32 v4, 0x7f800001
	v_cndmask_b32_e32 v3, v4, v3, vcc
.LBB6_4236:                             ;   in Loop: Header=BB6_2990 Depth=2
	s_or_b64 exec, exec, s[90:91]
.LBB6_4237:                             ;   in Loop: Header=BB6_2990 Depth=2
	s_or_b64 exec, exec, s[88:89]
.LBB6_4238:                             ;   in Loop: Header=BB6_2990 Depth=2
	s_or_b64 exec, exec, s[20:21]
	buffer_load_dword v50, off, s[0:3], s33 offset:76 ; 4-byte Folded Reload
	buffer_load_dword v51, off, s[0:3], s33 offset:80 ; 4-byte Folded Reload
	s_waitcnt vmcnt(1)
	v_mov_b32_e32 v27, v50
	v_cmp_ne_u16_e32 vcc, 0, v27
	s_and_saveexec_b64 s[20:21], vcc
	s_cbranch_execz .LBB6_4246
; %bb.4239:                             ;   in Loop: Header=BB6_2990 Depth=2
	v_cmp_ne_u16_e32 vcc, s52, v27
	v_bfrev_b32_e32 v2, 1
	s_and_saveexec_b64 s[88:89], vcc
	s_cbranch_execz .LBB6_4245
; %bb.4240:                             ;   in Loop: Header=BB6_2990 Depth=2
	v_and_b32_e32 v2, 0x7c, v27
	v_and_b32_e32 v4, 3, v27
	v_cmp_ne_u32_e32 vcc, s53, v2
                                        ; implicit-def: $vgpr2
	s_and_saveexec_b64 s[90:91], vcc
	s_xor_b64 s[90:91], exec, s[90:91]
	s_cbranch_execz .LBB6_4242
; %bb.4241:                             ;   in Loop: Header=BB6_2990 Depth=2
	buffer_load_dword v52, off, s[0:3], s33 offset:76 ; 4-byte Folded Reload
	buffer_load_dword v53, off, s[0:3], s33 offset:80 ; 4-byte Folded Reload
	v_ffbh_u32_e32 v27, v4
	v_min_u32_e32 v27, 32, v27
	s_waitcnt vmcnt(0)
	v_mov_b32_e32 v53, v28
	v_subrev_u32_e32 v50, 29, v27
	v_sub_u32_e32 v27, 30, v27
	v_and_b32_e32 v2, 0xff, v52
	v_bfe_u32 v2, v2, 2, 5
	v_lshlrev_b64 v[50:51], v50, v[52:53]
	v_cmp_eq_u32_e32 vcc, 0, v2
	v_and_b32_e32 v50, 3, v50
	v_cndmask_b32_e32 v2, v2, v27, vcc
	v_and_b32_sdwa v27, sext(v52), s54 dst_sel:DWORD dst_unused:UNUSED_PAD src0_sel:WORD_0 src1_sel:DWORD
	v_cndmask_b32_e32 v4, v4, v50, vcc
	v_lshl_add_u32 v2, v2, 23, v27
	v_lshl_or_b32 v2, v4, 21, v2
	v_add_u32_e32 v2, 0x38000000, v2
                                        ; implicit-def: $vgpr27
                                        ; implicit-def: $vgpr4
	buffer_store_dword v27, off, s[0:3], s33 offset:76 ; 4-byte Folded Spill
	s_nop 0
	buffer_store_dword v28, off, s[0:3], s33 offset:80 ; 4-byte Folded Spill
.LBB6_4242:                             ;   in Loop: Header=BB6_2990 Depth=2
	s_andn2_saveexec_b64 s[90:91], s[90:91]
	s_cbranch_execz .LBB6_4244
; %bb.4243:                             ;   in Loop: Header=BB6_2990 Depth=2
	buffer_load_dword v50, off, s[0:3], s33 offset:76 ; 4-byte Folded Reload
	buffer_load_dword v51, off, s[0:3], s33 offset:80 ; 4-byte Folded Reload
	v_mov_b32_e32 v2, 0xff800000
	v_mov_b32_e32 v27, 0x7f800000
	s_waitcnt vmcnt(1)
	v_cmp_lt_i16_e32 vcc, -1, v50
	v_cndmask_b32_e32 v2, v2, v27, vcc
	v_cmp_eq_u32_e32 vcc, 0, v4
	v_mov_b32_e32 v4, 0x7f800001
	v_cndmask_b32_e32 v2, v4, v2, vcc
.LBB6_4244:                             ;   in Loop: Header=BB6_2990 Depth=2
	s_or_b64 exec, exec, s[90:91]
.LBB6_4245:                             ;   in Loop: Header=BB6_2990 Depth=2
	s_or_b64 exec, exec, s[88:89]
.LBB6_4246:                             ;   in Loop: Header=BB6_2990 Depth=2
	s_or_b64 exec, exec, s[20:21]
	v_mul_f32_e32 v2, v3, v2
	v_and_b32_e32 v3, 0x7f800000, v2
	v_mov_b32_e32 v4, v28
	v_cmp_ne_u64_e32 vcc, s[60:61], v[3:4]
	v_and_b32_e32 v27, 0x7fffff, v2
                                        ; implicit-def: $vgpr3
	s_and_saveexec_b64 s[20:21], vcc
	s_xor_b64 s[88:89], exec, s[20:21]
	s_cbranch_execz .LBB6_4264
; %bb.4247:                             ;   in Loop: Header=BB6_2990 Depth=2
	v_and_b32_e32 v3, 0x7fffffff, v2
	v_mov_b32_e32 v4, v28
	v_cmp_gt_u64_e32 vcc, s[62:63], v[3:4]
	v_and_b32_sdwa v50, v2, s55 dst_sel:DWORD dst_unused:UNUSED_PAD src0_sel:BYTE_3 src1_sel:DWORD
                                        ; implicit-def: $vgpr3
	s_and_saveexec_b64 s[20:21], vcc
	s_xor_b64 s[90:91], exec, s[20:21]
	s_cbranch_execz .LBB6_4261
; %bb.4248:                             ;   in Loop: Header=BB6_2990 Depth=2
	v_cmp_ne_u32_e32 vcc, 0, v2
	v_mov_b32_e32 v3, 0
	s_and_saveexec_b64 s[92:93], vcc
	s_cbranch_execz .LBB6_4260
; %bb.4249:                             ;   in Loop: Header=BB6_2990 Depth=2
	s_waitcnt vmcnt(0)
	v_bfe_u32 v51, v2, 23, 8
	v_cmp_gt_u32_e64 s[20:21], s64, v51
	v_sub_u32_e32 v2, 0x71, v51
	v_cmp_eq_u32_e32 vcc, 0, v51
	v_cndmask_b32_e64 v2, 0, v2, s[20:21]
	v_mov_b32_e32 v4, 0x70
	v_cndmask_b32_e32 v52, v2, v4, vcc
	v_add_u32_e32 v4, 21, v52
	v_or_b32_e32 v3, 0x800000, v27
	v_lshlrev_b64 v[53:54], v4, -1
	v_cndmask_b32_e32 v2, v3, v27, vcc
	v_mov_b32_e32 v3, v28
	v_add_u32_e32 v4, 20, v52
	v_bfi_b32 v53, v53, 0, v2
	v_lshlrev_b64 v[40:41], v4, 1
	v_lshrrev_b64 v[2:3], v52, v[2:3]
	v_bfi_b32 v54, v54, 0, 0
	v_cmp_eq_u64_e64 s[20:21], v[53:54], v[40:41]
	v_mov_b32_e32 v4, v3
	v_mov_b32_e32 v3, v2
	s_and_saveexec_b64 s[94:95], s[20:21]
; %bb.4250:                             ;   in Loop: Header=BB6_2990 Depth=2
	v_bfe_u32 v3, v2, 21, 1
	v_add_co_u32_e64 v3, s[20:21], v2, v3
	v_add_co_u32_e64 v3, s[20:21], -1, v3
; %bb.4251:                             ;   in Loop: Header=BB6_2990 Depth=2
	s_or_b64 exec, exec, s[94:95]
	v_add_u32_e32 v4, 0xffffff81, v51
	v_mov_b32_e32 v27, 0xffffff82
	v_cndmask_b32_e32 v4, v4, v27, vcc
	v_lshrrev_b32_e32 v27, 23, v2
	v_add3_u32 v52, v52, v4, v27
	v_add_u32_e32 v51, 14, v52
	v_and_b32_e32 v3, 0x1fffff, v3
	v_add_u32_e32 v27, v3, v2
	v_cmp_ne_u32_e32 vcc, 0, v51
                                        ; implicit-def: $vgpr2_vgpr3
                                        ; implicit-def: $vgpr4
	s_and_saveexec_b64 s[20:21], vcc
	s_xor_b64 s[20:21], exec, s[20:21]
; %bb.4252:                             ;   in Loop: Header=BB6_2990 Depth=2
	v_cmp_lt_u64_e32 vcc, s[72:73], v[27:28]
	v_add_u32_e32 v2, 15, v52
	v_cndmask_b32_e32 v4, v51, v2, vcc
	v_cndmask_b32_e64 v2, 0, 1, vcc
	v_lshrrev_b64 v[2:3], v2, v[27:28]
; %bb.4253:                             ;   in Loop: Header=BB6_2990 Depth=2
	s_andn2_saveexec_b64 s[20:21], s[20:21]
; %bb.4254:                             ;   in Loop: Header=BB6_2990 Depth=2
	v_mov_b32_e32 v2, v27
	v_mov_b32_e32 v3, v28
	v_bfe_u32 v4, v27, 23, 1
; %bb.4255:                             ;   in Loop: Header=BB6_2990 Depth=2
	s_or_b64 exec, exec, s[20:21]
	v_lshrrev_b64 v[2:3], 21, v[2:3]
	v_cmp_gt_i32_e32 vcc, 32, v4
	v_cndmask_b32_e32 v3, 0, v3, vcc
	v_cndmask_b32_e32 v2, 3, v2, vcc
	v_cmp_ne_u64_e32 vcc, 0, v[2:3]
	v_cmp_ne_u32_e64 s[20:21], 0, v4
	s_or_b64 s[20:21], s[20:21], vcc
                                        ; implicit-def: $vgpr3
	s_and_saveexec_b64 s[94:95], s[20:21]
	s_xor_b64 s[20:21], exec, s[94:95]
; %bb.4256:                             ;   in Loop: Header=BB6_2990 Depth=2
	v_min_i32_e32 v3, 31, v4
	v_lshl_or_b32 v3, v3, 2, v50
	v_and_or_b32 v3, v2, 3, v3
                                        ; implicit-def: $vgpr50
; %bb.4257:                             ;   in Loop: Header=BB6_2990 Depth=2
	s_andn2_saveexec_b64 s[20:21], s[20:21]
; %bb.4258:                             ;   in Loop: Header=BB6_2990 Depth=2
	v_mov_b32_e32 v3, v50
; %bb.4259:                             ;   in Loop: Header=BB6_2990 Depth=2
	s_or_b64 exec, exec, s[20:21]
.LBB6_4260:                             ;   in Loop: Header=BB6_2990 Depth=2
	s_or_b64 exec, exec, s[92:93]
                                        ; implicit-def: $vgpr50
.LBB6_4261:                             ;   in Loop: Header=BB6_2990 Depth=2
	s_andn2_saveexec_b64 s[20:21], s[90:91]
; %bb.4262:                             ;   in Loop: Header=BB6_2990 Depth=2
	v_or_b32_e32 v3, 0x7b, v50
; %bb.4263:                             ;   in Loop: Header=BB6_2990 Depth=2
	s_or_b64 exec, exec, s[20:21]
                                        ; implicit-def: $vgpr2
.LBB6_4264:                             ;   in Loop: Header=BB6_2990 Depth=2
	s_andn2_saveexec_b64 s[20:21], s[88:89]
	s_cbranch_execz .LBB6_2989
; %bb.4265:                             ;   in Loop: Header=BB6_2990 Depth=2
	v_cmp_ne_u64_e32 vcc, 0, v[27:28]
                                        ; implicit-def: $vgpr3
	s_and_saveexec_b64 s[88:89], vcc
	s_xor_b64 s[88:89], exec, s[88:89]
; %bb.4266:                             ;   in Loop: Header=BB6_2990 Depth=2
	v_or_b32_sdwa v3, v2, s65 dst_sel:DWORD dst_unused:UNUSED_PAD src0_sel:BYTE_3 src1_sel:DWORD
                                        ; implicit-def: $vgpr2
; %bb.4267:                             ;   in Loop: Header=BB6_2990 Depth=2
	s_andn2_saveexec_b64 s[88:89], s[88:89]
	s_cbranch_execz .LBB6_2988
; %bb.4268:                             ;   in Loop: Header=BB6_2990 Depth=2
	v_cmp_lt_i32_e32 vcc, -1, v2
	v_mov_b32_e32 v2, 0x7c
	v_cndmask_b32_e32 v3, -4, v2, vcc
	s_branch .LBB6_2988
.LBB6_4269:                             ;   in Loop: Header=BB6_49 Depth=1
	s_or_b64 exec, exec, s[78:79]
	buffer_load_dword v48, off, s[0:3], s33 offset:344 ; 4-byte Folded Reload
	buffer_load_dword v49, off, s[0:3], s33 offset:376 ; 4-byte Folded Reload
	;; [unrolled: 1-line block ×24, first 2 shown]
.LBB6_4270:                             ;   in Loop: Header=BB6_49 Depth=1
	s_or_b64 exec, exec, s[24:25]
	s_waitcnt vmcnt(0)
	v_and_b32_e32 v0, 0xfffff800, v4
	v_cmp_ne_u32_e32 vcc, v4, v0
	s_and_b64 exec, exec, vcc
	s_cbranch_execz .LBB6_4314
; %bb.4271:                             ;   in Loop: Header=BB6_49 Depth=1
	v_add_u32_e32 v1, v2, v1
	v_and_b32_e32 v1, 0xffffffc0, v1
	v_sub_u32_e32 v1, v2, v1
	v_lshlrev_b32_e32 v2, 6, v32
	v_sub_u32_e32 v1, v1, v2
	v_and_b32_e32 v2, 0x7ff, v4
	v_sub_u32_e32 v9, v2, v1
	v_cmp_lt_i32_e32 vcc, 0, v9
	s_and_b64 exec, exec, vcc
	s_cbranch_execz .LBB6_4314
; %bb.4272:                             ;   in Loop: Header=BB6_49 Depth=1
	v_add3_u32 v6, v0, v3, v1
	s_trap 2
	ds_read_b128 v[0:3], v0
	v_ashrrev_i32_e32 v7, 31, v6
	s_mov_b64 s[24:25], 0
	s_waitcnt lgkmcnt(0)
	v_add_co_u32_e32 v0, vcc, v0, v6
	ds_read_b64 v[4:5], v0
	v_addc_co_u32_e32 v1, vcc, v1, v7, vcc
	v_add_co_u32_e32 v2, vcc, v2, v6
	v_addc_co_u32_e32 v3, vcc, v3, v7, vcc
	s_waitcnt lgkmcnt(0)
	v_add_co_u32_e32 v4, vcc, v4, v6
	v_addc_co_u32_e32 v5, vcc, v5, v7, vcc
	s_branch .LBB6_4275
.LBB6_4273:                             ;   in Loop: Header=BB6_4275 Depth=2
	s_or_b64 exec, exec, s[78:79]
.LBB6_4274:                             ;   in Loop: Header=BB6_4275 Depth=2
	s_or_b64 exec, exec, s[20:21]
	v_add_co_u32_e32 v0, vcc, v0, v45
	v_addc_co_u32_e32 v1, vcc, 0, v1, vcc
	v_add_co_u32_e32 v2, vcc, v2, v45
	v_addc_co_u32_e32 v3, vcc, 0, v3, vcc
	v_sub_u32_e32 v9, v9, v45
	v_cmp_gt_i32_e32 vcc, 1, v9
	flat_store_byte v[4:5], v7 glc slc
	s_or_b64 s[24:25], vcc, s[24:25]
	v_add_co_u32_e32 v4, vcc, v4, v45
	v_addc_co_u32_e32 v5, vcc, 0, v5, vcc
	s_andn2_b64 exec, exec, s[24:25]
	s_cbranch_execz .LBB6_4314
.LBB6_4275:                             ;   Parent Loop BB6_49 Depth=1
                                        ; =>  This Inner Loop Header: Depth=2
	flat_load_sbyte v7, v[0:1] glc slc
	flat_load_sbyte v6, v[2:3] glc slc
	v_mov_b32_e32 v10, 0
	v_mov_b32_e32 v8, 0
	s_waitcnt vmcnt(0) lgkmcnt(0)
	v_cmp_ne_u16_e32 vcc, 0, v7
	s_and_saveexec_b64 s[20:21], vcc
	s_cbranch_execz .LBB6_4283
; %bb.4276:                             ;   in Loop: Header=BB6_4275 Depth=2
	v_cmp_ne_u16_e32 vcc, s52, v7
	v_bfrev_b32_e32 v8, 1
	s_and_saveexec_b64 s[78:79], vcc
	s_cbranch_execz .LBB6_4282
; %bb.4277:                             ;   in Loop: Header=BB6_4275 Depth=2
	v_and_b32_e32 v8, 0x7c, v7
	v_and_b32_e32 v11, 3, v7
	v_cmp_ne_u32_e32 vcc, s53, v8
                                        ; implicit-def: $vgpr8
	s_and_saveexec_b64 s[88:89], vcc
	s_xor_b64 s[88:89], exec, s[88:89]
	s_cbranch_execz .LBB6_4279
; %bb.4278:                             ;   in Loop: Header=BB6_4275 Depth=2
	v_and_b32_e32 v12, 0xff, v7
	v_bfe_u32 v14, v12, 2, 5
	v_ffbh_u32_e32 v12, v11
	v_min_u32_e32 v15, 32, v12
	v_mov_b32_e32 v8, v28
	v_subrev_u32_e32 v12, 29, v15
	v_lshlrev_b64 v[12:13], v12, v[7:8]
	v_sub_u32_e32 v8, 30, v15
	v_cmp_eq_u32_e32 vcc, 0, v14
	v_and_b32_e32 v12, 3, v12
	v_cndmask_b32_e32 v8, v14, v8, vcc
	v_and_b32_sdwa v7, sext(v7), s54 dst_sel:DWORD dst_unused:UNUSED_PAD src0_sel:WORD_0 src1_sel:DWORD
	v_cndmask_b32_e32 v11, v11, v12, vcc
	v_lshl_add_u32 v7, v8, 23, v7
	v_lshl_or_b32 v7, v11, 21, v7
	v_add_u32_e32 v8, 0x38000000, v7
                                        ; implicit-def: $vgpr11
                                        ; implicit-def: $vgpr7
.LBB6_4279:                             ;   in Loop: Header=BB6_4275 Depth=2
	s_andn2_saveexec_b64 s[88:89], s[88:89]
; %bb.4280:                             ;   in Loop: Header=BB6_4275 Depth=2
	v_cmp_lt_i16_e32 vcc, -1, v7
	v_mov_b32_e32 v7, 0xff800000
	v_mov_b32_e32 v8, 0x7f800000
	v_cndmask_b32_e32 v7, v7, v8, vcc
	v_cmp_eq_u32_e32 vcc, 0, v11
	v_mov_b32_e32 v8, 0x7f800001
	v_cndmask_b32_e32 v8, v8, v7, vcc
; %bb.4281:                             ;   in Loop: Header=BB6_4275 Depth=2
	s_or_b64 exec, exec, s[88:89]
.LBB6_4282:                             ;   in Loop: Header=BB6_4275 Depth=2
	s_or_b64 exec, exec, s[78:79]
.LBB6_4283:                             ;   in Loop: Header=BB6_4275 Depth=2
	s_or_b64 exec, exec, s[20:21]
	v_cmp_ne_u16_e32 vcc, 0, v6
	s_and_saveexec_b64 s[20:21], vcc
	s_cbranch_execz .LBB6_4291
; %bb.4284:                             ;   in Loop: Header=BB6_4275 Depth=2
	v_cmp_ne_u16_e32 vcc, s52, v6
	v_bfrev_b32_e32 v10, 1
	s_and_saveexec_b64 s[78:79], vcc
	s_cbranch_execz .LBB6_4290
; %bb.4285:                             ;   in Loop: Header=BB6_4275 Depth=2
	v_and_b32_e32 v7, 0x7c, v6
	v_and_b32_e32 v11, 3, v6
	v_cmp_ne_u32_e32 vcc, s53, v7
                                        ; implicit-def: $vgpr10
	s_and_saveexec_b64 s[88:89], vcc
	s_xor_b64 s[88:89], exec, s[88:89]
	s_cbranch_execz .LBB6_4287
; %bb.4286:                             ;   in Loop: Header=BB6_4275 Depth=2
	v_ffbh_u32_e32 v13, v11
	v_and_b32_e32 v7, 0xff, v6
	v_min_u32_e32 v13, 32, v13
	v_bfe_u32 v10, v7, 2, 5
	v_mov_b32_e32 v7, v28
	v_subrev_u32_e32 v14, 29, v13
	v_and_b32_sdwa v12, sext(v6), s54 dst_sel:DWORD dst_unused:UNUSED_PAD src0_sel:WORD_0 src1_sel:DWORD
	v_lshlrev_b64 v[6:7], v14, v[6:7]
	v_sub_u32_e32 v7, 30, v13
	v_cmp_eq_u32_e32 vcc, 0, v10
	v_and_b32_e32 v6, 3, v6
	v_cndmask_b32_e32 v7, v10, v7, vcc
	v_cndmask_b32_e32 v6, v11, v6, vcc
	v_lshl_add_u32 v7, v7, 23, v12
	v_lshl_or_b32 v6, v6, 21, v7
	v_add_u32_e32 v10, 0x38000000, v6
                                        ; implicit-def: $vgpr6
                                        ; implicit-def: $vgpr11
.LBB6_4287:                             ;   in Loop: Header=BB6_4275 Depth=2
	s_andn2_saveexec_b64 s[88:89], s[88:89]
; %bb.4288:                             ;   in Loop: Header=BB6_4275 Depth=2
	v_cmp_lt_i16_e32 vcc, -1, v6
	v_mov_b32_e32 v6, 0xff800000
	v_mov_b32_e32 v7, 0x7f800000
	v_cndmask_b32_e32 v6, v6, v7, vcc
	v_cmp_eq_u32_e32 vcc, 0, v11
	v_mov_b32_e32 v7, 0x7f800001
	v_cndmask_b32_e32 v10, v7, v6, vcc
; %bb.4289:                             ;   in Loop: Header=BB6_4275 Depth=2
	s_or_b64 exec, exec, s[88:89]
.LBB6_4290:                             ;   in Loop: Header=BB6_4275 Depth=2
	s_or_b64 exec, exec, s[78:79]
.LBB6_4291:                             ;   in Loop: Header=BB6_4275 Depth=2
	s_or_b64 exec, exec, s[20:21]
	v_mul_f32_e32 v6, v8, v10
	v_and_b32_e32 v7, 0x7f800000, v6
	v_mov_b32_e32 v8, v28
	v_cmp_ne_u64_e32 vcc, s[60:61], v[7:8]
	v_and_b32_e32 v27, 0x7fffff, v6
                                        ; implicit-def: $vgpr7
	s_and_saveexec_b64 s[20:21], vcc
	s_xor_b64 s[78:79], exec, s[20:21]
	s_cbranch_execz .LBB6_4309
; %bb.4292:                             ;   in Loop: Header=BB6_4275 Depth=2
	v_and_b32_e32 v7, 0x7fffffff, v6
	v_mov_b32_e32 v8, v28
	v_cmp_gt_u64_e32 vcc, s[62:63], v[7:8]
	v_and_b32_sdwa v10, v6, s55 dst_sel:DWORD dst_unused:UNUSED_PAD src0_sel:BYTE_3 src1_sel:DWORD
                                        ; implicit-def: $vgpr7
	s_and_saveexec_b64 s[20:21], vcc
	s_xor_b64 s[88:89], exec, s[20:21]
	s_cbranch_execz .LBB6_4306
; %bb.4293:                             ;   in Loop: Header=BB6_4275 Depth=2
	v_cmp_ne_u32_e32 vcc, 0, v6
	v_mov_b32_e32 v7, 0
	s_and_saveexec_b64 s[90:91], vcc
	s_cbranch_execz .LBB6_4305
; %bb.4294:                             ;   in Loop: Header=BB6_4275 Depth=2
	v_bfe_u32 v11, v6, 23, 8
	v_cmp_gt_u32_e64 s[20:21], s64, v11
	v_sub_u32_e32 v6, 0x71, v11
	v_cmp_eq_u32_e32 vcc, 0, v11
	v_cndmask_b32_e64 v6, 0, v6, s[20:21]
	v_mov_b32_e32 v8, 0x70
	v_cndmask_b32_e32 v12, v6, v8, vcc
	v_add_u32_e32 v8, 21, v12
	v_or_b32_e32 v7, 0x800000, v27
	v_lshlrev_b64 v[13:14], v8, -1
	v_cndmask_b32_e32 v6, v7, v27, vcc
	v_mov_b32_e32 v7, v28
	v_add_u32_e32 v8, 20, v12
	v_bfi_b32 v13, v13, 0, v6
	v_lshlrev_b64 v[15:16], v8, 1
	v_lshrrev_b64 v[6:7], v12, v[6:7]
	v_bfi_b32 v14, v14, 0, 0
	v_cmp_eq_u64_e64 s[20:21], v[13:14], v[15:16]
	v_mov_b32_e32 v8, v7
	v_mov_b32_e32 v7, v6
	s_and_saveexec_b64 s[92:93], s[20:21]
; %bb.4295:                             ;   in Loop: Header=BB6_4275 Depth=2
	v_bfe_u32 v7, v6, 21, 1
	v_add_co_u32_e64 v7, s[20:21], v6, v7
	v_add_co_u32_e64 v7, s[20:21], -1, v7
; %bb.4296:                             ;   in Loop: Header=BB6_4275 Depth=2
	s_or_b64 exec, exec, s[92:93]
	v_add_u32_e32 v8, 0xffffff81, v11
	v_mov_b32_e32 v11, 0xffffff82
	v_cndmask_b32_e32 v8, v8, v11, vcc
	v_lshrrev_b32_e32 v11, 23, v6
	v_add3_u32 v12, v12, v8, v11
	v_add_u32_e32 v11, 14, v12
	v_and_b32_e32 v7, 0x1fffff, v7
	v_add_u32_e32 v27, v7, v6
	v_cmp_ne_u32_e32 vcc, 0, v11
                                        ; implicit-def: $vgpr6_vgpr7
                                        ; implicit-def: $vgpr8
	s_and_saveexec_b64 s[20:21], vcc
	s_xor_b64 s[20:21], exec, s[20:21]
; %bb.4297:                             ;   in Loop: Header=BB6_4275 Depth=2
	v_cmp_lt_u64_e32 vcc, s[72:73], v[27:28]
	v_add_u32_e32 v6, 15, v12
	v_cndmask_b32_e32 v8, v11, v6, vcc
	v_cndmask_b32_e64 v6, 0, 1, vcc
	v_lshrrev_b64 v[6:7], v6, v[27:28]
; %bb.4298:                             ;   in Loop: Header=BB6_4275 Depth=2
	s_andn2_saveexec_b64 s[20:21], s[20:21]
; %bb.4299:                             ;   in Loop: Header=BB6_4275 Depth=2
	v_mov_b32_e32 v6, v27
	v_mov_b32_e32 v7, v28
	v_bfe_u32 v8, v27, 23, 1
; %bb.4300:                             ;   in Loop: Header=BB6_4275 Depth=2
	s_or_b64 exec, exec, s[20:21]
	v_lshrrev_b64 v[6:7], 21, v[6:7]
	v_cmp_gt_i32_e32 vcc, 32, v8
	v_cndmask_b32_e32 v7, 0, v7, vcc
	v_cndmask_b32_e32 v6, 3, v6, vcc
	v_cmp_ne_u64_e32 vcc, 0, v[6:7]
	v_cmp_ne_u32_e64 s[20:21], 0, v8
	s_or_b64 s[20:21], s[20:21], vcc
                                        ; implicit-def: $vgpr7
	s_and_saveexec_b64 s[92:93], s[20:21]
	s_xor_b64 s[20:21], exec, s[92:93]
; %bb.4301:                             ;   in Loop: Header=BB6_4275 Depth=2
	v_min_i32_e32 v7, 31, v8
	v_lshl_or_b32 v7, v7, 2, v10
	v_and_or_b32 v7, v6, 3, v7
                                        ; implicit-def: $vgpr10
; %bb.4302:                             ;   in Loop: Header=BB6_4275 Depth=2
	s_andn2_saveexec_b64 s[20:21], s[20:21]
; %bb.4303:                             ;   in Loop: Header=BB6_4275 Depth=2
	v_mov_b32_e32 v7, v10
; %bb.4304:                             ;   in Loop: Header=BB6_4275 Depth=2
	s_or_b64 exec, exec, s[20:21]
.LBB6_4305:                             ;   in Loop: Header=BB6_4275 Depth=2
	s_or_b64 exec, exec, s[90:91]
                                        ; implicit-def: $vgpr10
.LBB6_4306:                             ;   in Loop: Header=BB6_4275 Depth=2
	s_andn2_saveexec_b64 s[20:21], s[88:89]
; %bb.4307:                             ;   in Loop: Header=BB6_4275 Depth=2
	v_or_b32_e32 v7, 0x7b, v10
; %bb.4308:                             ;   in Loop: Header=BB6_4275 Depth=2
	s_or_b64 exec, exec, s[20:21]
                                        ; implicit-def: $vgpr6
.LBB6_4309:                             ;   in Loop: Header=BB6_4275 Depth=2
	s_andn2_saveexec_b64 s[20:21], s[78:79]
	s_cbranch_execz .LBB6_4274
; %bb.4310:                             ;   in Loop: Header=BB6_4275 Depth=2
	v_cmp_ne_u64_e32 vcc, 0, v[27:28]
                                        ; implicit-def: $vgpr7
	s_and_saveexec_b64 s[78:79], vcc
	s_xor_b64 s[78:79], exec, s[78:79]
; %bb.4311:                             ;   in Loop: Header=BB6_4275 Depth=2
	v_or_b32_sdwa v7, v6, s65 dst_sel:DWORD dst_unused:UNUSED_PAD src0_sel:BYTE_3 src1_sel:DWORD
                                        ; implicit-def: $vgpr6
; %bb.4312:                             ;   in Loop: Header=BB6_4275 Depth=2
	s_andn2_saveexec_b64 s[78:79], s[78:79]
	s_cbranch_execz .LBB6_4273
; %bb.4313:                             ;   in Loop: Header=BB6_4275 Depth=2
	v_cmp_lt_i32_e32 vcc, -1, v6
	v_mov_b32_e32 v6, 0x7c
	v_cndmask_b32_e32 v7, -4, v6, vcc
	s_branch .LBB6_4273
.LBB6_4314:                             ;   in Loop: Header=BB6_49 Depth=1
	s_or_b64 exec, exec, s[22:23]
	buffer_load_dword v0, off, s[0:3], s33 offset:336 ; 4-byte Folded Reload
	buffer_load_dword v11, off, s[0:3], s33 offset:248 ; 4-byte Folded Reload
	;; [unrolled: 1-line block ×3, first 2 shown]
	v_mov_b32_e32 v13, 1
	s_waitcnt vmcnt(0)
	v_cmp_ne_u32_e64 s[20:21], 0, v0
	s_and_saveexec_b64 s[22:23], s[10:11]
	s_cbranch_execz .LBB6_4333
.LBB6_4315:                             ;   in Loop: Header=BB6_49 Depth=1
	s_and_saveexec_b64 s[24:25], s[44:45]
	s_xor_b64 s[24:25], exec, s[24:25]
	s_cbranch_execz .LBB6_4330
; %bb.4316:                             ;   in Loop: Header=BB6_49 Depth=1
	s_and_saveexec_b64 s[78:79], s[12:13]
	s_cbranch_execz .LBB6_4329
; %bb.4317:                             ;   in Loop: Header=BB6_49 Depth=1
	s_mov_b64 s[90:91], exec
	v_mbcnt_lo_u32_b32 v0, s90, 0
	v_mbcnt_hi_u32_b32 v0, s91, v0
	v_cmp_eq_u32_e32 vcc, 0, v0
	s_waitcnt vmcnt(0) lgkmcnt(0)
	buffer_wbinvl1_vol
	s_and_saveexec_b64 s[88:89], vcc
	s_cbranch_execz .LBB6_4319
; %bb.4318:                             ;   in Loop: Header=BB6_49 Depth=1
	s_bcnt1_i32_b64 s90, s[90:91]
	v_mov_b32_e32 v0, s90
	v_mov_b32_e32 v1, v28
	ds_add_u64 v0, v[0:1]
	s_trap 2
.LBB6_4319:                             ;   in Loop: Header=BB6_49 Depth=1
	s_or_b64 exec, exec, s[88:89]
	s_trap 2
	ds_read_b64 v[0:1], v0
	s_waitcnt lgkmcnt(0)
	buffer_load_dword v2, off, s[0:3], s33 offset:68 ; 4-byte Folded Reload
	buffer_load_dword v3, off, s[0:3], s33 offset:72 ; 4-byte Folded Reload
	;; [unrolled: 1-line block ×3, first 2 shown]
	s_waitcnt vmcnt(0)
	v_add_co_u32_e32 v2, vcc, v2, v4
	v_addc_co_u32_e32 v3, vcc, 0, v3, vcc
	buffer_store_dword v2, off, s[0:3], s33 offset:68 ; 4-byte Folded Spill
	s_nop 0
	buffer_store_dword v3, off, s[0:3], s33 offset:72 ; 4-byte Folded Spill
	v_cmp_lt_u64_e32 vcc, v[0:1], v[2:3]
	s_and_saveexec_b64 s[88:89], vcc
	s_cbranch_execz .LBB6_4328
; %bb.4320:                             ;   in Loop: Header=BB6_49 Depth=1
	s_mov_b32 s36, 0
	s_mov_b64 s[90:91], 0
                                        ; implicit-def: $sgpr92_sgpr93
                                        ; implicit-def: $sgpr94_sgpr95
	s_branch .LBB6_4322
.LBB6_4321:                             ;   in Loop: Header=BB6_4322 Depth=2
	s_or_b64 exec, exec, s[34:35]
	s_and_b64 vcc, exec, vcc
	s_or_b64 s[90:91], vcc, s[90:91]
	s_andn2_b64 s[92:93], s[92:93], exec
	s_and_b64 vcc, s[94:95], exec
	s_or_b64 s[92:93], s[92:93], vcc
	s_andn2_b64 exec, exec, s[90:91]
	s_cbranch_execz .LBB6_4326
.LBB6_4322:                             ;   Parent Loop BB6_49 Depth=1
                                        ; =>  This Inner Loop Header: Depth=2
	s_add_i32 s36, s36, 1
	s_cmpk_lg_i32 s36, 0x2710
	s_cselect_b64 s[30:31], -1, 0
	s_and_b64 vcc, exec, s[30:31]
	s_cbranch_vccz .LBB6_4324
; %bb.4323:                             ;   in Loop: Header=BB6_4322 Depth=2
	s_mov_b64 vcc, -1
	s_or_b64 s[94:95], s[94:95], exec
	s_and_saveexec_b64 s[34:35], s[30:31]
	s_cbranch_execz .LBB6_4321
	s_branch .LBB6_4325
.LBB6_4324:                             ;   in Loop: Header=BB6_4322 Depth=2
	s_trap 2
	ds_read_b64 v[0:1], v0
	s_andn2_b64 s[30:31], s[30:31], exec
	s_mov_b32 s36, 0
	s_waitcnt vmcnt(0) lgkmcnt(0)
	flat_load_dword v0, v[0:1] glc
	s_waitcnt vmcnt(0) lgkmcnt(0)
	buffer_wbinvl1_vol
	v_cmp_eq_u32_e32 vcc, 0, v0
	s_and_b64 vcc, vcc, exec
	s_or_b64 s[30:31], s[30:31], vcc
	s_mov_b64 vcc, -1
	s_or_b64 s[94:95], s[94:95], exec
	s_and_saveexec_b64 s[34:35], s[30:31]
	s_cbranch_execz .LBB6_4321
.LBB6_4325:                             ;   in Loop: Header=BB6_4322 Depth=2
	s_sleep 1
	s_trap 2
	ds_read_b64 v[0:1], v0
	s_waitcnt lgkmcnt(0)
	buffer_load_dword v2, off, s[0:3], s33 offset:68 ; 4-byte Folded Reload
	buffer_load_dword v3, off, s[0:3], s33 offset:72 ; 4-byte Folded Reload
	s_andn2_b64 s[94:95], s[94:95], exec
	s_waitcnt vmcnt(0)
	v_cmp_ge_u64_e32 vcc, v[0:1], v[2:3]
	s_orn2_b64 vcc, vcc, exec
	s_branch .LBB6_4321
.LBB6_4326:                             ;   in Loop: Header=BB6_49 Depth=1
	s_or_b64 exec, exec, s[90:91]
	s_and_saveexec_b64 s[90:91], s[92:93]
	s_xor_b64 s[90:91], exec, s[90:91]
	s_cbranch_execz .LBB6_4328
; %bb.4327:                             ;   in Loop: Header=BB6_49 Depth=1
	ds_write_b32 v0, v13
	s_trap 2
.LBB6_4328:                             ;   in Loop: Header=BB6_49 Depth=1
	s_or_b64 exec, exec, s[88:89]
	;;#ASMSTART
	s_wakeup
	;;#ASMEND
.LBB6_4329:                             ;   in Loop: Header=BB6_49 Depth=1
	s_or_b64 exec, exec, s[78:79]
.LBB6_4330:                             ;   in Loop: Header=BB6_49 Depth=1
	s_andn2_saveexec_b64 s[24:25], s[24:25]
	s_cbranch_execz .LBB6_4332
; %bb.4331:                             ;   in Loop: Header=BB6_49 Depth=1
	s_waitcnt vmcnt(0) lgkmcnt(0)
	buffer_wbinvl1_vol
	s_barrier
.LBB6_4332:                             ;   in Loop: Header=BB6_49 Depth=1
	s_or_b64 exec, exec, s[24:25]
.LBB6_4333:                             ;   in Loop: Header=BB6_49 Depth=1
	s_or_b64 exec, exec, s[22:23]
	v_and_b32_e32 v0, 16, v49
	v_cmp_ne_u32_e32 vcc, 0, v0
	s_and_b64 s[22:23], vcc, s[20:21]
	s_and_saveexec_b64 s[20:21], s[22:23]
	s_cbranch_execz .LBB6_4335
; %bb.4334:                             ;   in Loop: Header=BB6_49 Depth=1
	s_waitcnt vmcnt(0) lgkmcnt(0)
	buffer_wbinvl1_vol
.LBB6_4335:                             ;   in Loop: Header=BB6_49 Depth=1
	s_or_b64 exec, exec, s[20:21]
	v_cmp_ne_u32_e32 vcc, 0, v0
	s_xor_b64 s[20:21], s[18:19], -1
	s_and_b64 s[22:23], vcc, s[20:21]
	s_and_saveexec_b64 s[20:21], s[22:23]
	s_cbranch_execz .LBB6_4337
; %bb.4336:                             ;   in Loop: Header=BB6_49 Depth=1
	flat_store_dword v[40:41], v13
.LBB6_4337:                             ;   in Loop: Header=BB6_49 Depth=1
	s_or_b64 exec, exec, s[20:21]
	v_and_b32_e32 v0, 48, v49
	v_cmp_ne_u32_e32 vcc, 0, v0
	s_and_saveexec_b64 s[20:21], vcc
	s_cbranch_execz .LBB6_4339
; %bb.4338:                             ;   in Loop: Header=BB6_49 Depth=1
	v_add_co_u32_e32 v54, vcc, 1, v54
	v_addc_co_u32_e32 v55, vcc, 0, v55, vcc
	flat_store_dwordx2 v[57:58], v[54:55]
.LBB6_4339:                             ;   in Loop: Header=BB6_49 Depth=1
	s_or_b64 exec, exec, s[20:21]
	buffer_load_dword v0, off, s[0:3], s33 offset:240 ; 4-byte Folded Reload
	buffer_load_dword v1, off, s[0:3], s33 offset:244 ; 4-byte Folded Reload
.LBB6_4340:                             ;   in Loop: Header=BB6_49 Depth=1
	s_or_b64 exec, exec, s[76:77]
	s_and_saveexec_b64 s[22:23], s[74:75]
	s_cbranch_execz .LBB6_48
; %bb.4341:                             ;   in Loop: Header=BB6_49 Depth=1
	buffer_load_dword v1, off, s[0:3], s33 offset:272 ; 4-byte Folded Reload
	buffer_load_dword v2, off, s[0:3], s33 offset:276 ; 4-byte Folded Reload
	s_waitcnt vmcnt(0)
	v_sub_u32_e32 v0, v1, v0
	buffer_load_dword v1, off, s[0:3], s33 offset:240 ; 4-byte Folded Reload
	buffer_load_dword v2, off, s[0:3], s33 offset:244 ; 4-byte Folded Reload
	s_waitcnt vmcnt(0)
	v_min_i32_e32 v0, v1, v0
	v_and_b32_e32 v1, 12, v49
	v_cmp_ne_u32_e32 vcc, 0, v1
	s_and_saveexec_b64 s[24:25], vcc
	s_cbranch_execz .LBB6_4367
; %bb.4342:                             ;   in Loop: Header=BB6_49 Depth=1
	buffer_load_dword v1, off, s[0:3], s33 offset:60 ; 4-byte Folded Reload
	buffer_load_dword v2, off, s[0:3], s33 offset:64 ; 4-byte Folded Reload
	v_and_b32_e32 v8, 8, v49
	s_waitcnt vmcnt(0)
	v_add_co_u32_e32 v4, vcc, v1, v8
	v_addc_co_u32_e32 v5, vcc, 0, v2, vcc
	s_waitcnt lgkmcnt(0)
	v_add_co_u32_e32 v2, vcc, 1, v54
	v_addc_co_u32_e32 v3, vcc, 0, v55, vcc
	v_cmp_lt_u64_e32 vcc, v[4:5], v[2:3]
	s_and_saveexec_b64 s[74:75], vcc
	s_cbranch_execz .LBB6_4354
; %bb.4343:                             ;   in Loop: Header=BB6_49 Depth=1
	v_and_b32_e32 v1, 64, v49
	s_mov_b32 s38, 0
	v_cmp_eq_u32_e32 vcc, 0, v1
	s_mov_b64 s[76:77], 0
                                        ; implicit-def: $sgpr78_sgpr79
                                        ; implicit-def: $sgpr88_sgpr89
                                        ; implicit-def: $sgpr90_sgpr91
	s_branch .LBB6_4347
.LBB6_4344:                             ;   in Loop: Header=BB6_4347 Depth=2
	buffer_load_dword v4, off, s[0:3], s33 offset:60 ; 4-byte Folded Reload
	buffer_load_dword v5, off, s[0:3], s33 offset:64 ; 4-byte Folded Reload
	s_or_b64 s[30:31], s[30:31], exec
	s_waitcnt vmcnt(1)
	v_add_co_u32_e64 v4, s[20:21], v4, v8
	s_waitcnt vmcnt(0)
	v_addc_co_u32_e64 v5, s[20:21], 0, v5, s[20:21]
	v_cmp_ge_u64_e64 s[20:21], v[4:5], v[2:3]
	s_orn2_b64 s[94:95], s[20:21], exec
.LBB6_4345:                             ;   in Loop: Header=BB6_4347 Depth=2
	s_or_b64 exec, exec, s[36:37]
	s_andn2_b64 s[20:21], s[90:91], exec
	s_and_b64 s[90:91], s[30:31], exec
	s_or_b64 s[90:91], s[20:21], s[90:91]
	s_andn2_b64 s[20:21], s[88:89], exec
	s_and_b64 s[88:89], s[94:95], exec
	s_or_b64 s[88:89], s[20:21], s[88:89]
.LBB6_4346:                             ;   in Loop: Header=BB6_4347 Depth=2
	s_or_b64 exec, exec, s[92:93]
	s_and_b64 s[20:21], exec, s[88:89]
	s_or_b64 s[76:77], s[20:21], s[76:77]
	s_andn2_b64 s[20:21], s[78:79], exec
	s_and_b64 s[78:79], s[90:91], exec
	s_or_b64 s[78:79], s[20:21], s[78:79]
	s_andn2_b64 exec, exec, s[76:77]
	s_cbranch_execz .LBB6_4351
.LBB6_4347:                             ;   Parent Loop BB6_49 Depth=1
                                        ; =>  This Inner Loop Header: Depth=2
	s_sleep 1
	flat_load_dwordx2 v[4:5], v[57:58] glc
	s_or_b64 s[90:91], s[90:91], exec
	s_or_b64 s[88:89], s[88:89], exec
                                        ; implicit-def: $vgpr1
	s_waitcnt vmcnt(0) lgkmcnt(0)
	buffer_store_dword v4, off, s[0:3], s33 offset:60 ; 4-byte Folded Spill
	s_nop 0
	buffer_store_dword v5, off, s[0:3], s33 offset:64 ; 4-byte Folded Spill
	s_and_saveexec_b64 s[92:93], vcc
	s_cbranch_execz .LBB6_4346
; %bb.4348:                             ;   in Loop: Header=BB6_4347 Depth=2
	s_cmpk_lt_i32 s38, 0x270f
	s_cselect_b64 s[34:35], -1, 0
	s_cmpk_gt_i32 s38, 0x270e
	s_mov_b64 s[94:95], -1
	s_cbranch_scc0 .LBB6_4350
; %bb.4349:                             ;   in Loop: Header=BB6_4347 Depth=2
	s_trap 2
	ds_read_b64 v[4:5], v0
	s_andn2_b64 s[34:35], s[34:35], exec
	s_mov_b32 s38, 0
	s_mov_b64 s[30:31], 0
	s_waitcnt vmcnt(0) lgkmcnt(0)
	flat_load_dword v1, v[4:5] glc
	s_waitcnt vmcnt(0) lgkmcnt(0)
	buffer_wbinvl1_vol
	v_cmp_eq_u32_e64 s[20:21], 0, v1
	s_and_b64 s[20:21], s[20:21], exec
	s_or_b64 s[34:35], s[34:35], s[20:21]
	s_and_saveexec_b64 s[36:37], s[34:35]
	s_cbranch_execz .LBB6_4345
	s_branch .LBB6_4344
.LBB6_4350:                             ;   in Loop: Header=BB6_4347 Depth=2
	s_add_i32 s38, s38, 1
	s_mov_b64 s[30:31], -1
                                        ; implicit-def: $vgpr1
	s_and_saveexec_b64 s[36:37], s[34:35]
	s_cbranch_execz .LBB6_4345
	s_branch .LBB6_4344
.LBB6_4351:                             ;   in Loop: Header=BB6_49 Depth=1
	s_or_b64 exec, exec, s[76:77]
	s_xor_b64 s[20:21], s[78:79], -1
	s_and_saveexec_b64 s[76:77], s[20:21]
	s_xor_b64 s[20:21], exec, s[76:77]
	s_cbranch_execz .LBB6_4353
; %bb.4352:                             ;   in Loop: Header=BB6_49 Depth=1
	v_or_b32_e32 v49, 64, v49
	ds_write_b32 v0, v1
	s_trap 2
.LBB6_4353:                             ;   in Loop: Header=BB6_49 Depth=1
	s_or_b64 exec, exec, s[20:21]
.LBB6_4354:                             ;   in Loop: Header=BB6_49 Depth=1
	s_or_b64 exec, exec, s[74:75]
	v_and_b32_e32 v1, 0x108, v49
	v_cmp_ne_u32_e32 vcc, s51, v1
	v_and_b32_e32 v9, 7, v54
	;;#ASMSTART
	s_wakeup
	;;#ASMEND
	s_and_saveexec_b64 s[20:21], vcc
	s_xor_b64 s[20:21], exec, s[20:21]
                                        ; implicit-def: $vgpr10
; %bb.4355:                             ;   in Loop: Header=BB6_49 Depth=1
	v_mov_b32_e32 v10, v28
; %bb.4356:                             ;   in Loop: Header=BB6_49 Depth=1
	s_andn2_saveexec_b64 s[20:21], s[20:21]
	s_cbranch_execz .LBB6_4358
; %bb.4357:                             ;   in Loop: Header=BB6_49 Depth=1
	v_mad_u64_u32 v[4:5], s[74:75], v9, 24, v[52:53]
	v_mov_b32_e32 v10, v28
	v_ashrrev_i32_e32 v1, 31, v0
	flat_store_dwordx2 v[4:5], v[0:1] offset:8
.LBB6_4358:                             ;   in Loop: Header=BB6_49 Depth=1
	s_or_b64 exec, exec, s[20:21]
	v_and_b32_e32 v1, 0x100, v49
	v_cmp_ne_u32_e32 vcc, 0, v1
	s_mov_b64 s[20:21], -1
                                        ; implicit-def: $vgpr4_vgpr5
	s_and_saveexec_b64 s[74:75], vcc
	s_cbranch_execz .LBB6_4362
; %bb.4359:                             ;   in Loop: Header=BB6_49 Depth=1
	v_mad_u64_u32 v[6:7], s[20:21], v9, 24, v[52:53]
	v_mov_b32_e32 v1, v7
	v_mad_u64_u32 v[4:5], s[20:21], v10, 24, v[1:2]
	v_mov_b32_e32 v7, v4
	flat_load_dword v1, v[6:7]
                                        ; implicit-def: $vgpr4_vgpr5
	s_waitcnt vmcnt(0) lgkmcnt(0)
	v_cmp_ne_u32_e32 vcc, 1, v1
	v_cmp_eq_u32_e64 s[20:21], 1, v1
	s_and_saveexec_b64 s[76:77], s[20:21]
	s_cbranch_execz .LBB6_4361
; %bb.4360:                             ;   in Loop: Header=BB6_49 Depth=1
	flat_load_dword v4, v[6:7] offset:4 glc
	s_waitcnt vmcnt(0) lgkmcnt(0)
	v_ashrrev_i32_e32 v5, 31, v4
.LBB6_4361:                             ;   in Loop: Header=BB6_49 Depth=1
	s_or_b64 exec, exec, s[76:77]
	s_orn2_b64 s[20:21], vcc, exec
.LBB6_4362:                             ;   in Loop: Header=BB6_49 Depth=1
	s_or_b64 exec, exec, s[74:75]
	s_and_saveexec_b64 s[74:75], s[20:21]
	s_cbranch_execz .LBB6_4364
; %bb.4363:                             ;   in Loop: Header=BB6_49 Depth=1
	buffer_load_dword v4, off, s[0:3], s33 offset:292 ; 4-byte Folded Reload
	v_mul_lo_u32 v6, v9, v42
	s_waitcnt vmcnt(0)
	v_mul_lo_u32 v1, v10, v4
	v_mad_u64_u32 v[4:5], s[20:21], v9, v4, 0
	v_add3_u32 v5, v5, v6, v1
.LBB6_4364:                             ;   in Loop: Header=BB6_49 Depth=1
	s_or_b64 exec, exec, s[74:75]
	v_cmp_eq_u32_e32 vcc, 0, v8
	v_mov_b32_e32 v1, 0xc8
	v_mov_b32_e32 v6, 0x90
	v_cndmask_b32_e32 v1, v1, v6, vcc
	buffer_load_dword v6, off, s[0:3], s33 offset:264 ; 4-byte Folded Reload
	buffer_load_dword v7, off, s[0:3], s33 offset:268 ; 4-byte Folded Reload
	v_add_u32_e32 v1, v0, v1
	s_waitcnt vmcnt(0)
	v_add_co_u32_e32 v4, vcc, v6, v4
	v_addc_co_u32_e32 v5, vcc, v7, v5, vcc
	ds_write_b64 v1, v[4:5] offset:584
	v_and_b32_e32 v1, 0x2000, v49
	v_cmp_ne_u32_e32 vcc, 0, v1
	s_and_saveexec_b64 s[20:21], vcc
	s_cbranch_execz .LBB6_4366
; %bb.4365:                             ;   in Loop: Header=BB6_49 Depth=1
	ds_read_b64 v[4:5], v0 offset:872
	s_waitcnt lgkmcnt(0)
	v_add_co_u32_e32 v4, vcc, 1, v4
	v_addc_co_u32_e32 v5, vcc, 0, v5, vcc
	ds_write_b64 v0, v[4:5] offset:872
.LBB6_4366:                             ;   in Loop: Header=BB6_49 Depth=1
	s_or_b64 exec, exec, s[20:21]
	v_mov_b32_e32 v55, v3
	v_mov_b32_e32 v54, v2
.LBB6_4367:                             ;   in Loop: Header=BB6_49 Depth=1
	s_or_b64 exec, exec, s[24:25]
	s_and_saveexec_b64 s[20:21], s[10:11]
	s_cbranch_execz .LBB6_4386
; %bb.4368:                             ;   in Loop: Header=BB6_49 Depth=1
	s_and_saveexec_b64 s[24:25], s[44:45]
	s_xor_b64 s[24:25], exec, s[24:25]
	s_cbranch_execz .LBB6_4383
; %bb.4369:                             ;   in Loop: Header=BB6_49 Depth=1
	s_and_saveexec_b64 s[74:75], s[12:13]
	s_cbranch_execz .LBB6_4382
; %bb.4370:                             ;   in Loop: Header=BB6_49 Depth=1
	s_mov_b64 s[78:79], exec
	v_mbcnt_lo_u32_b32 v1, s78, 0
	v_mbcnt_hi_u32_b32 v1, s79, v1
	v_cmp_eq_u32_e32 vcc, 0, v1
	s_waitcnt lgkmcnt(0)
	buffer_wbinvl1_vol
	s_and_saveexec_b64 s[76:77], vcc
	s_cbranch_execz .LBB6_4372
; %bb.4371:                             ;   in Loop: Header=BB6_49 Depth=1
	s_bcnt1_i32_b64 s78, s[78:79]
	v_mov_b32_e32 v1, s78
	v_mov_b32_e32 v2, v28
	ds_add_u64 v0, v[1:2]
	s_trap 2
.LBB6_4372:                             ;   in Loop: Header=BB6_49 Depth=1
	s_or_b64 exec, exec, s[76:77]
	s_trap 2
	ds_read_b64 v[1:2], v0
	s_waitcnt lgkmcnt(0)
	buffer_load_dword v3, off, s[0:3], s33 offset:68 ; 4-byte Folded Reload
	buffer_load_dword v4, off, s[0:3], s33 offset:72 ; 4-byte Folded Reload
	;; [unrolled: 1-line block ×3, first 2 shown]
	s_waitcnt vmcnt(0)
	v_add_co_u32_e32 v3, vcc, v3, v5
	v_addc_co_u32_e32 v4, vcc, 0, v4, vcc
	buffer_store_dword v3, off, s[0:3], s33 offset:68 ; 4-byte Folded Spill
	s_nop 0
	buffer_store_dword v4, off, s[0:3], s33 offset:72 ; 4-byte Folded Spill
	v_cmp_lt_u64_e32 vcc, v[1:2], v[3:4]
	s_and_saveexec_b64 s[76:77], vcc
	s_cbranch_execz .LBB6_4381
; %bb.4373:                             ;   in Loop: Header=BB6_49 Depth=1
	s_mov_b32 s30, 0
	s_mov_b64 s[78:79], 0
                                        ; implicit-def: $sgpr88_sgpr89
                                        ; implicit-def: $sgpr90_sgpr91
	s_branch .LBB6_4375
.LBB6_4374:                             ;   in Loop: Header=BB6_4375 Depth=2
	s_or_b64 exec, exec, s[94:95]
	s_and_b64 s[92:93], exec, vcc
	s_or_b64 s[78:79], s[92:93], s[78:79]
	s_andn2_b64 s[88:89], s[88:89], exec
	s_and_b64 s[92:93], s[90:91], exec
	s_or_b64 s[88:89], s[88:89], s[92:93]
	s_andn2_b64 exec, exec, s[78:79]
	s_cbranch_execz .LBB6_4379
.LBB6_4375:                             ;   Parent Loop BB6_49 Depth=1
                                        ; =>  This Inner Loop Header: Depth=2
	s_add_i32 s30, s30, 1
	s_cmpk_lg_i32 s30, 0x2710
	s_cselect_b64 s[92:93], -1, 0
	s_and_b64 vcc, exec, s[92:93]
	s_cbranch_vccz .LBB6_4377
; %bb.4376:                             ;   in Loop: Header=BB6_4375 Depth=2
	s_mov_b64 vcc, -1
	s_or_b64 s[90:91], s[90:91], exec
	s_and_saveexec_b64 s[94:95], s[92:93]
	s_cbranch_execz .LBB6_4374
	s_branch .LBB6_4378
.LBB6_4377:                             ;   in Loop: Header=BB6_4375 Depth=2
	s_trap 2
	ds_read_b64 v[1:2], v0
	s_andn2_b64 s[92:93], s[92:93], exec
	s_mov_b32 s30, 0
	s_waitcnt vmcnt(0) lgkmcnt(0)
	flat_load_dword v1, v[1:2] glc
	s_waitcnt vmcnt(0) lgkmcnt(0)
	buffer_wbinvl1_vol
	v_cmp_eq_u32_e32 vcc, 0, v1
	s_and_b64 s[94:95], vcc, exec
	s_or_b64 s[92:93], s[92:93], s[94:95]
	s_mov_b64 vcc, -1
	s_or_b64 s[90:91], s[90:91], exec
	s_and_saveexec_b64 s[94:95], s[92:93]
	s_cbranch_execz .LBB6_4374
.LBB6_4378:                             ;   in Loop: Header=BB6_4375 Depth=2
	s_sleep 1
	s_trap 2
	ds_read_b64 v[1:2], v0
	s_waitcnt lgkmcnt(0)
	buffer_load_dword v3, off, s[0:3], s33 offset:68 ; 4-byte Folded Reload
	buffer_load_dword v4, off, s[0:3], s33 offset:72 ; 4-byte Folded Reload
	s_andn2_b64 s[90:91], s[90:91], exec
	s_waitcnt vmcnt(0)
	v_cmp_ge_u64_e32 vcc, v[1:2], v[3:4]
	s_orn2_b64 vcc, vcc, exec
	s_branch .LBB6_4374
.LBB6_4379:                             ;   in Loop: Header=BB6_49 Depth=1
	s_or_b64 exec, exec, s[78:79]
	s_and_saveexec_b64 s[78:79], s[88:89]
	s_xor_b64 s[78:79], exec, s[78:79]
	s_cbranch_execz .LBB6_4381
; %bb.4380:                             ;   in Loop: Header=BB6_49 Depth=1
	ds_write_b32 v0, v13
	s_trap 2
.LBB6_4381:                             ;   in Loop: Header=BB6_49 Depth=1
	s_or_b64 exec, exec, s[76:77]
	;;#ASMSTART
	s_wakeup
	;;#ASMEND
.LBB6_4382:                             ;   in Loop: Header=BB6_49 Depth=1
	s_or_b64 exec, exec, s[74:75]
.LBB6_4383:                             ;   in Loop: Header=BB6_49 Depth=1
	s_andn2_saveexec_b64 s[24:25], s[24:25]
	s_cbranch_execz .LBB6_4385
; %bb.4384:                             ;   in Loop: Header=BB6_49 Depth=1
	s_waitcnt vmcnt(0) lgkmcnt(0)
	buffer_wbinvl1_vol
	s_barrier
.LBB6_4385:                             ;   in Loop: Header=BB6_49 Depth=1
	s_or_b64 exec, exec, s[24:25]
.LBB6_4386:                             ;   in Loop: Header=BB6_49 Depth=1
	s_or_b64 exec, exec, s[20:21]
	s_trap 2
	ds_read_b32 v1, v0
	v_cmp_lt_i32_e32 vcc, 0, v0
	v_and_b32_e32 v0, 16, v49
	s_waitcnt lgkmcnt(0)
	v_readfirstlane_b32 s20, v1
	s_cmp_eq_u32 s20, 0
	s_cselect_b64 s[20:21], -1, 0
	s_and_b64 s[20:21], vcc, s[20:21]
	v_cmp_ne_u32_e32 vcc, 0, v0
	s_and_b64 s[24:25], vcc, s[20:21]
	s_and_saveexec_b64 s[20:21], s[24:25]
	s_cbranch_execz .LBB6_4388
; %bb.4387:                             ;   in Loop: Header=BB6_49 Depth=1
	s_waitcnt vmcnt(0)
	buffer_wbinvl1_vol
.LBB6_4388:                             ;   in Loop: Header=BB6_49 Depth=1
	s_or_b64 exec, exec, s[20:21]
	v_cmp_ne_u32_e32 vcc, 0, v0
	s_xor_b64 s[20:21], s[18:19], -1
	s_and_b64 s[24:25], vcc, s[20:21]
	s_and_saveexec_b64 s[20:21], s[24:25]
	s_cbranch_execz .LBB6_4390
; %bb.4389:                             ;   in Loop: Header=BB6_49 Depth=1
	flat_store_dword v[40:41], v13
.LBB6_4390:                             ;   in Loop: Header=BB6_49 Depth=1
	s_or_b64 exec, exec, s[20:21]
	v_and_b32_e32 v0, 48, v49
	v_cmp_ne_u32_e32 vcc, 0, v0
	s_and_saveexec_b64 s[20:21], vcc
	s_cbranch_execz .LBB6_47
; %bb.4391:                             ;   in Loop: Header=BB6_49 Depth=1
	v_add_co_u32_e32 v54, vcc, 1, v54
	v_addc_co_u32_e32 v55, vcc, 0, v55, vcc
	flat_store_dwordx2 v[57:58], v[54:55]
	s_branch .LBB6_47
.LBB6_4392:
	s_or_b64 exec, exec, s[46:47]
	buffer_load_dword v27, off, s[0:3], s33 offset:404 ; 4-byte Folded Reload
	buffer_load_dword v31, off, s[0:3], s33 offset:408 ; 4-byte Folded Reload
.LBB6_4393:
	s_or_b64 exec, exec, s[42:43]
                                        ; implicit-def: $vgpr0
                                        ; kill: killed $vgpr0
                                        ; implicit-def: $vgpr28_vgpr29
                                        ; implicit-def: $vgpr50_vgpr51
                                        ; implicit-def: $vgpr57_vgpr58
                                        ; implicit-def: $vgpr48
                                        ; implicit-def: $vgpr9
                                        ; implicit-def: $vgpr0_vgpr1
                                        ; kill: killed $vgpr0_vgpr1
                                        ; implicit-def: $vgpr0_vgpr1
                                        ; kill: killed $vgpr0_vgpr1
                                        ; implicit-def: $vgpr0
	s_waitcnt vmcnt(0)
	buffer_store_dword v0, off, s[0:3], s33 offset:248 ; 4-byte Folded Spill
	s_nop 0
	buffer_store_dword v1, off, s[0:3], s33 offset:252 ; 4-byte Folded Spill
.LBB6_4394:
	s_andn2_saveexec_b64 s[24:25], s[40:41]
	s_cbranch_execz .LBB6_8732
; %bb.4395:
	v_mov_b32_e32 v0, 0
	v_cmp_ne_u64_e32 vcc, 0, v[50:51]
	v_mov_b32_e32 v1, 0
	buffer_store_dword v0, off, s[0:3], s33 offset:68 ; 4-byte Folded Spill
	s_nop 0
	buffer_store_dword v1, off, s[0:3], s33 offset:72 ; 4-byte Folded Spill
	s_and_saveexec_b64 s[40:41], vcc
	s_cbranch_execz .LBB6_8731
; %bb.4396:
	buffer_store_dword v28, off, s[0:3], s33 offset:304 ; 4-byte Folded Spill
	s_nop 0
	buffer_store_dword v29, off, s[0:3], s33 offset:308 ; 4-byte Folded Spill
	s_trap 2
	buffer_load_dword v0, off, s[0:3], s33 offset:364 ; 4-byte Folded Reload
	v_lshrrev_b32_e32 v62, 6, v27
	buffer_store_dword v31, off, s[0:3], s33 offset:408 ; 4-byte Folded Spill
	s_ashr_i32 s6, s48, 31
	s_lshr_b32 s6, s6, 24
	s_add_i32 s6, s48, s6
	v_cmp_eq_u32_e32 vcc, 64, v27
	v_mov_b32_e32 v43, 0
	s_mov_b32 s56, -1
	s_ashr_i32 s38, s6, 8
	v_cmp_ge_i32_e64 s[6:7], v48, v27
	v_cmp_ne_u32_e64 s[10:11], 64, v27
	v_mov_b32_e32 v28, 0
	s_movk_i32 s39, 0xffc0
	v_lshlrev_b32_e32 v41, 10, v62
	v_and_b32_e32 v42, 0x3fc0, v27
	s_mov_b64 s[44:45], 0
	v_mov_b32_e32 v44, 0
	s_xor_b64 s[46:47], vcc, -1
	s_movk_i32 s49, 0xff80
	s_movk_i32 s50, 0x7c
	s_brev_b32 s51, 1
	s_mov_b32 s57, 0xffffff
	s_mov_b64 s[58:59], 0x7f800000
	s_movk_i32 s52, 0x80
	s_mov_b64 s[60:61], 0x47600001
	s_movk_i32 s53, 0x72
	s_mov_b64 s[62:63], 0xffffff
	s_movk_i32 s54, 0x7f
	s_mov_b32 s55, 0x7c0000
	s_brev_b32 s64, 62
	s_mov_b32 s65, 0x3ffffc00
	v_bfrev_b32_e32 v45, 1
	s_waitcnt vmcnt(0)
	v_cmp_ne_u32_sdwa s[42:43], v27, v0 src0_sel:DWORD src1_sel:WORD_0
	v_and_b32_e32 v0, 63, v31
	v_cmp_eq_u32_e64 s[12:13], 0, v0
	v_ashrrev_i32_e32 v0, 31, v48
	v_lshrrev_b32_e32 v0, 26, v0
	v_add_u32_e32 v0, v48, v0
	v_ashrrev_i32_e32 v40, 6, v0
	v_and_b32_e32 v0, 0xffffffc0, v0
	v_sub_u32_e32 v1, v48, v0
	v_lshlrev_b32_e32 v0, 12, v40
	v_lshl_add_u32 v0, v1, 4, v0
	buffer_store_dword v0, off, s[0:3], s33 offset:440 ; 4-byte Folded Spill
	v_ashrrev_i32_e32 v0, 31, v0
	buffer_store_dword v0, off, s[0:3], s33 offset:444 ; 4-byte Folded Spill
	v_lshlrev_b32_e32 v0, 12, v62
	buffer_store_dword v0, off, s[0:3], s33 offset:280 ; 4-byte Folded Spill
	v_lshlrev_b32_e32 v0, 11, v62
	v_cmp_le_i32_e64 s[14:15], v1, v9
	v_cmp_gt_i32_e64 s[16:17], 1, v1
	buffer_store_dword v1, off, s[0:3], s33 offset:436 ; 4-byte Folded Spill
	buffer_store_dword v0, off, s[0:3], s33 offset:260 ; 4-byte Folded Spill
	;; [unrolled: 1-line block ×3, first 2 shown]
	v_mov_b32_e32 v0, 0
	v_mov_b32_e32 v1, 0
	buffer_store_dword v0, off, s[0:3], s33 offset:68 ; 4-byte Folded Spill
	s_nop 0
	buffer_store_dword v1, off, s[0:3], s33 offset:72 ; 4-byte Folded Spill
	v_mov_b32_e32 v0, v50
	v_mov_b32_e32 v1, v51
	buffer_store_dword v48, off, s[0:3], s33 offset:344 ; 4-byte Folded Spill
	buffer_store_dword v0, off, s[0:3], s33 offset:348 ; 4-byte Folded Spill
	s_nop 0
	buffer_store_dword v1, off, s[0:3], s33 offset:352 ; 4-byte Folded Spill
	buffer_store_dword v2, off, s[0:3], s33 offset:356 ; 4-byte Folded Spill
	buffer_store_dword v3, off, s[0:3], s33 offset:360 ; 4-byte Folded Spill
	buffer_store_dword v57, off, s[0:3], s33 offset:296 ; 4-byte Folded Spill
	s_nop 0
	buffer_store_dword v58, off, s[0:3], s33 offset:300 ; 4-byte Folded Spill
	buffer_load_dword v8, off, s[0:3], s33 offset:248 ; 4-byte Folded Reload
	buffer_load_dword v9, off, s[0:3], s33 offset:252 ; 4-byte Folded Reload
	s_nop 0
	buffer_store_dword v62, off, s[0:3], s33 offset:272 ; 4-byte Folded Spill
	buffer_store_dword v40, off, s[0:3], s33 offset:396 ; 4-byte Folded Spill
	;; [unrolled: 1-line block ×4, first 2 shown]
	s_branch .LBB6_4399
.LBB6_4397:                             ;   in Loop: Header=BB6_4399 Depth=1
	s_or_b64 exec, exec, s[18:19]
.LBB6_4398:                             ;   in Loop: Header=BB6_4399 Depth=1
	s_or_b64 exec, exec, s[20:21]
	s_waitcnt vmcnt(0)
	v_add_co_u32_e32 v43, vcc, v43, v8
	v_addc_co_u32_e32 v44, vcc, 0, v44, vcc
	v_cmp_ge_u64_e32 vcc, v[43:44], v[50:51]
	s_or_b64 s[44:45], vcc, s[44:45]
	s_andn2_b64 exec, exec, s[44:45]
	s_cbranch_execz .LBB6_8730
.LBB6_4399:                             ; =>This Loop Header: Depth=1
                                        ;     Child Loop BB6_4408 Depth 2
                                        ;     Child Loop BB6_4432 Depth 2
                                        ;     Child Loop BB6_4451 Depth 2
                                        ;     Child Loop BB6_4475 Depth 2
                                        ;     Child Loop BB6_6784 Depth 2
                                        ;     Child Loop BB6_7336 Depth 2
                                        ;     Child Loop BB6_8621 Depth 2
                                        ;     Child Loop BB6_8668 Depth 2
                                        ;     Child Loop BB6_8691 Depth 2
                                        ;     Child Loop BB6_8715 Depth 2
	v_sub_co_u32_e32 v0, vcc, v50, v43
	v_subb_co_u32_e32 v1, vcc, v51, v44, vcc
	s_waitcnt vmcnt(0)
	v_cmp_lt_u64_e32 vcc, v[8:9], v[0:1]
	v_mov_b32_e32 v6, v28
	v_cndmask_b32_e64 v47, v1, 0, vcc
	v_cndmask_b32_e32 v46, v0, v8, vcc
	v_cmp_eq_u64_e32 vcc, 0, v[46:47]
	v_add_u32_e32 v0, 15, v46
	v_and_b32_e32 v0, 0x7ffffff0, v0
	s_or_b64 s[72:73], s[6:7], vcc
	v_max_i32_e32 v47, s38, v0
	s_xor_b64 s[18:19], s[72:73], -1
	s_and_saveexec_b64 s[74:75], s[18:19]
	s_cbranch_execz .LBB6_8684
; %bb.4400:                             ;   in Loop: Header=BB6_4399 Depth=1
	s_and_saveexec_b64 s[18:19], s[4:5]
	s_cbranch_execz .LBB6_4402
; %bb.4401:                             ;   in Loop: Header=BB6_4399 Depth=1
	s_trap 2
	ds_read2_b64 v[0:3], v0 offset1:1
	buffer_load_dword v4, off, s[0:3], s33 offset:304 ; 4-byte Folded Reload
	buffer_load_dword v5, off, s[0:3], s33 offset:308 ; 4-byte Folded Reload
	s_waitcnt vmcnt(0)
	v_add_co_u32_e32 v6, vcc, v43, v4
	v_addc_co_u32_e32 v7, vcc, v44, v5, vcc
	s_waitcnt lgkmcnt(0)
	ds_read_b64 v[4:5], v0
	v_add_co_u32_e32 v0, vcc, v0, v6
	v_addc_co_u32_e32 v1, vcc, v1, v7, vcc
	ds_write_b64 v0, v[0:1]
	v_add_co_u32_e32 v0, vcc, v2, v6
	v_addc_co_u32_e32 v1, vcc, v3, v7, vcc
	ds_write_b64 v0, v[0:1]
	s_waitcnt lgkmcnt(2)
	v_add_co_u32_e32 v0, vcc, v4, v6
	v_addc_co_u32_e32 v1, vcc, v5, v7, vcc
	v_cmp_ne_u64_e32 vcc, 0, v[4:5]
	v_cndmask_b32_e32 v1, 0, v1, vcc
	v_cndmask_b32_e32 v0, 0, v0, vcc
	ds_write_b64 v0, v[0:1]
.LBB6_4402:                             ;   in Loop: Header=BB6_4399 Depth=1
	s_or_b64 exec, exec, s[18:19]
	v_and_b32_e32 v0, 4, v49
	v_cmp_ne_u32_e32 vcc, 0, v0
	s_and_saveexec_b64 s[20:21], vcc
	s_cbranch_execz .LBB6_4424
; %bb.4403:                             ;   in Loop: Header=BB6_4399 Depth=1
	buffer_load_dword v2, off, s[0:3], s33 offset:60 ; 4-byte Folded Reload
	buffer_load_dword v3, off, s[0:3], s33 offset:64 ; 4-byte Folded Reload
	s_waitcnt lgkmcnt(0)
	v_add_co_u32_e32 v0, vcc, 1, v54
	v_addc_co_u32_e32 v1, vcc, 0, v55, vcc
	s_waitcnt vmcnt(0)
	v_cmp_lt_u64_e32 vcc, v[2:3], v[0:1]
	s_and_saveexec_b64 s[22:23], vcc
	s_cbranch_execz .LBB6_4415
; %bb.4404:                             ;   in Loop: Header=BB6_4399 Depth=1
	v_and_b32_e32 v2, 64, v49
	s_mov_b32 s66, 0
	v_cmp_eq_u32_e32 vcc, 0, v2
	s_mov_b64 s[76:77], 0
                                        ; implicit-def: $sgpr78_sgpr79
                                        ; implicit-def: $sgpr88_sgpr89
                                        ; implicit-def: $sgpr90_sgpr91
	s_branch .LBB6_4408
.LBB6_4405:                             ;   in Loop: Header=BB6_4408 Depth=2
	buffer_load_dword v3, off, s[0:3], s33 offset:60 ; 4-byte Folded Reload
	buffer_load_dword v4, off, s[0:3], s33 offset:64 ; 4-byte Folded Reload
	s_or_b64 s[30:31], s[30:31], exec
	s_waitcnt vmcnt(0)
	v_cmp_ge_u64_e64 s[18:19], v[3:4], v[0:1]
	s_orn2_b64 s[94:95], s[18:19], exec
.LBB6_4406:                             ;   in Loop: Header=BB6_4408 Depth=2
	s_or_b64 exec, exec, s[36:37]
	s_andn2_b64 s[18:19], s[90:91], exec
	s_and_b64 s[90:91], s[30:31], exec
	s_or_b64 s[90:91], s[18:19], s[90:91]
	s_andn2_b64 s[18:19], s[88:89], exec
	s_and_b64 s[88:89], s[94:95], exec
	s_or_b64 s[88:89], s[18:19], s[88:89]
.LBB6_4407:                             ;   in Loop: Header=BB6_4408 Depth=2
	s_or_b64 exec, exec, s[92:93]
	s_and_b64 s[18:19], exec, s[88:89]
	s_or_b64 s[76:77], s[18:19], s[76:77]
	s_andn2_b64 s[18:19], s[78:79], exec
	s_and_b64 s[78:79], s[90:91], exec
	s_or_b64 s[78:79], s[18:19], s[78:79]
	s_andn2_b64 exec, exec, s[76:77]
	s_cbranch_execz .LBB6_4412
.LBB6_4408:                             ;   Parent Loop BB6_4399 Depth=1
                                        ; =>  This Inner Loop Header: Depth=2
	s_sleep 1
	flat_load_dwordx2 v[2:3], v[57:58] glc
	s_or_b64 s[90:91], s[90:91], exec
	s_or_b64 s[88:89], s[88:89], exec
	s_waitcnt vmcnt(0) lgkmcnt(0)
	buffer_store_dword v2, off, s[0:3], s33 offset:60 ; 4-byte Folded Spill
	s_nop 0
	buffer_store_dword v3, off, s[0:3], s33 offset:64 ; 4-byte Folded Spill
                                        ; implicit-def: $vgpr2
	s_and_saveexec_b64 s[92:93], vcc
	s_cbranch_execz .LBB6_4407
; %bb.4409:                             ;   in Loop: Header=BB6_4408 Depth=2
	s_cmpk_lt_i32 s66, 0x270f
	s_cselect_b64 s[34:35], -1, 0
	s_cmpk_gt_i32 s66, 0x270e
	s_mov_b64 s[94:95], -1
	s_cbranch_scc0 .LBB6_4411
; %bb.4410:                             ;   in Loop: Header=BB6_4408 Depth=2
	s_trap 2
	ds_read_b64 v[2:3], v0
	s_andn2_b64 s[34:35], s[34:35], exec
	s_mov_b32 s66, 0
	s_mov_b64 s[30:31], 0
	s_waitcnt vmcnt(0) lgkmcnt(0)
	flat_load_dword v2, v[2:3] glc
	s_waitcnt vmcnt(0) lgkmcnt(0)
	buffer_wbinvl1_vol
	v_cmp_eq_u32_e64 s[18:19], 0, v2
	s_and_b64 s[18:19], s[18:19], exec
	s_or_b64 s[34:35], s[34:35], s[18:19]
	s_and_saveexec_b64 s[36:37], s[34:35]
	s_cbranch_execz .LBB6_4406
	s_branch .LBB6_4405
.LBB6_4411:                             ;   in Loop: Header=BB6_4408 Depth=2
	s_add_i32 s66, s66, 1
	s_mov_b64 s[30:31], -1
                                        ; implicit-def: $vgpr2
	s_and_saveexec_b64 s[36:37], s[34:35]
	s_cbranch_execz .LBB6_4406
	s_branch .LBB6_4405
.LBB6_4412:                             ;   in Loop: Header=BB6_4399 Depth=1
	s_or_b64 exec, exec, s[76:77]
	s_xor_b64 s[18:19], s[78:79], -1
	s_and_saveexec_b64 s[76:77], s[18:19]
	s_xor_b64 s[18:19], exec, s[76:77]
	s_cbranch_execz .LBB6_4414
; %bb.4413:                             ;   in Loop: Header=BB6_4399 Depth=1
	v_or_b32_e32 v49, 64, v49
	ds_write_b32 v0, v2
	s_trap 2
.LBB6_4414:                             ;   in Loop: Header=BB6_4399 Depth=1
	s_or_b64 exec, exec, s[18:19]
.LBB6_4415:                             ;   in Loop: Header=BB6_4399 Depth=1
	s_or_b64 exec, exec, s[22:23]
	v_and_b32_e32 v2, 0x100, v49
	v_cmp_ne_u32_e32 vcc, 0, v2
	v_and_b32_e32 v6, 7, v54
	s_mov_b64 s[18:19], -1
	;;#ASMSTART
	s_wakeup
	;;#ASMEND
                                        ; implicit-def: $vgpr2_vgpr3
	s_and_saveexec_b64 s[22:23], vcc
	s_cbranch_execz .LBB6_4419
; %bb.4416:                             ;   in Loop: Header=BB6_4399 Depth=1
	v_mad_u64_u32 v[4:5], s[18:19], v6, 24, v[52:53]
	flat_load_dword v2, v[4:5]
	s_waitcnt vmcnt(0) lgkmcnt(0)
	v_cmp_ne_u32_e32 vcc, 1, v2
	v_cmp_eq_u32_e64 s[18:19], 1, v2
                                        ; implicit-def: $vgpr2_vgpr3
	s_and_saveexec_b64 s[76:77], s[18:19]
	s_cbranch_execz .LBB6_4418
; %bb.4417:                             ;   in Loop: Header=BB6_4399 Depth=1
	flat_load_dword v2, v[4:5] offset:4 glc
	s_waitcnt vmcnt(0) lgkmcnt(0)
	v_ashrrev_i32_e32 v3, 31, v2
.LBB6_4418:                             ;   in Loop: Header=BB6_4399 Depth=1
	s_or_b64 exec, exec, s[76:77]
	s_orn2_b64 s[18:19], vcc, exec
.LBB6_4419:                             ;   in Loop: Header=BB6_4399 Depth=1
	s_or_b64 exec, exec, s[22:23]
	s_and_saveexec_b64 s[22:23], s[18:19]
	s_cbranch_execz .LBB6_4421
; %bb.4420:                             ;   in Loop: Header=BB6_4399 Depth=1
	buffer_load_dword v2, off, s[0:3], s33 offset:292 ; 4-byte Folded Reload
	s_waitcnt vmcnt(0)
	v_mad_i64_i32 v[2:3], s[18:19], v6, v2, 0
.LBB6_4421:                             ;   in Loop: Header=BB6_4399 Depth=1
	s_or_b64 exec, exec, s[22:23]
	buffer_load_dword v4, off, s[0:3], s33 offset:264 ; 4-byte Folded Reload
	buffer_load_dword v5, off, s[0:3], s33 offset:268 ; 4-byte Folded Reload
	s_waitcnt vmcnt(1)
	v_add_co_u32_e32 v2, vcc, v4, v2
	s_waitcnt vmcnt(0)
	v_addc_co_u32_e32 v3, vcc, v5, v3, vcc
	ds_write_b64 v0, v[2:3] offset:728
	v_and_b32_e32 v2, 0x2000, v49
	v_cmp_ne_u32_e32 vcc, 0, v2
	s_and_saveexec_b64 s[18:19], vcc
	s_cbranch_execz .LBB6_4423
; %bb.4422:                             ;   in Loop: Header=BB6_4399 Depth=1
	ds_read_b64 v[2:3], v0 offset:872
	s_waitcnt lgkmcnt(0)
	v_add_co_u32_e32 v2, vcc, 1, v2
	v_addc_co_u32_e32 v3, vcc, 0, v3, vcc
	ds_write_b64 v0, v[2:3] offset:872
.LBB6_4423:                             ;   in Loop: Header=BB6_4399 Depth=1
	s_or_b64 exec, exec, s[18:19]
	v_mov_b32_e32 v55, v1
	v_mov_b32_e32 v54, v0
.LBB6_4424:                             ;   in Loop: Header=BB6_4399 Depth=1
	s_or_b64 exec, exec, s[20:21]
	s_and_saveexec_b64 s[18:19], s[10:11]
	s_cbranch_execz .LBB6_4443
; %bb.4425:                             ;   in Loop: Header=BB6_4399 Depth=1
	s_and_saveexec_b64 s[20:21], s[42:43]
	s_xor_b64 s[20:21], exec, s[20:21]
	s_cbranch_execz .LBB6_4440
; %bb.4426:                             ;   in Loop: Header=BB6_4399 Depth=1
	s_and_saveexec_b64 s[22:23], s[12:13]
	s_cbranch_execz .LBB6_4439
; %bb.4427:                             ;   in Loop: Header=BB6_4399 Depth=1
	s_mov_b64 s[78:79], exec
	v_mbcnt_lo_u32_b32 v0, s78, 0
	v_mbcnt_hi_u32_b32 v0, s79, v0
	v_cmp_eq_u32_e32 vcc, 0, v0
	s_waitcnt lgkmcnt(0)
	buffer_wbinvl1_vol
	s_and_saveexec_b64 s[76:77], vcc
	s_cbranch_execz .LBB6_4429
; %bb.4428:                             ;   in Loop: Header=BB6_4399 Depth=1
	s_bcnt1_i32_b64 s78, s[78:79]
	v_mov_b32_e32 v0, s78
	v_mov_b32_e32 v1, v28
	ds_add_u64 v0, v[0:1]
	s_trap 2
.LBB6_4429:                             ;   in Loop: Header=BB6_4399 Depth=1
	s_or_b64 exec, exec, s[76:77]
	s_trap 2
	ds_read_b64 v[0:1], v0
	s_waitcnt lgkmcnt(0)
	buffer_load_dword v2, off, s[0:3], s33 offset:68 ; 4-byte Folded Reload
	buffer_load_dword v3, off, s[0:3], s33 offset:72 ; 4-byte Folded Reload
	s_waitcnt vmcnt(1)
	v_add_co_u32_e32 v2, vcc, v2, v62
	s_waitcnt vmcnt(0)
	v_addc_co_u32_e32 v3, vcc, 0, v3, vcc
	buffer_store_dword v2, off, s[0:3], s33 offset:68 ; 4-byte Folded Spill
	s_nop 0
	buffer_store_dword v3, off, s[0:3], s33 offset:72 ; 4-byte Folded Spill
	v_cmp_lt_u64_e32 vcc, v[0:1], v[2:3]
	s_and_saveexec_b64 s[76:77], vcc
	s_cbranch_execz .LBB6_4438
; %bb.4430:                             ;   in Loop: Header=BB6_4399 Depth=1
	s_mov_b32 s30, 0
	s_mov_b64 s[78:79], 0
                                        ; implicit-def: $sgpr88_sgpr89
                                        ; implicit-def: $sgpr90_sgpr91
	s_branch .LBB6_4432
.LBB6_4431:                             ;   in Loop: Header=BB6_4432 Depth=2
	s_or_b64 exec, exec, s[94:95]
	s_and_b64 s[92:93], exec, vcc
	s_or_b64 s[78:79], s[92:93], s[78:79]
	s_andn2_b64 s[88:89], s[88:89], exec
	s_and_b64 s[92:93], s[90:91], exec
	s_or_b64 s[88:89], s[88:89], s[92:93]
	s_andn2_b64 exec, exec, s[78:79]
	s_cbranch_execz .LBB6_4436
.LBB6_4432:                             ;   Parent Loop BB6_4399 Depth=1
                                        ; =>  This Inner Loop Header: Depth=2
	s_add_i32 s30, s30, 1
	s_cmpk_lg_i32 s30, 0x2710
	s_cselect_b64 s[92:93], -1, 0
	s_and_b64 vcc, exec, s[92:93]
	s_cbranch_vccz .LBB6_4434
; %bb.4433:                             ;   in Loop: Header=BB6_4432 Depth=2
	s_mov_b64 vcc, -1
	s_or_b64 s[90:91], s[90:91], exec
	s_and_saveexec_b64 s[94:95], s[92:93]
	s_cbranch_execz .LBB6_4431
	s_branch .LBB6_4435
.LBB6_4434:                             ;   in Loop: Header=BB6_4432 Depth=2
	s_trap 2
	ds_read_b64 v[0:1], v0
	s_andn2_b64 s[92:93], s[92:93], exec
	s_mov_b32 s30, 0
	s_waitcnt vmcnt(0) lgkmcnt(0)
	flat_load_dword v0, v[0:1] glc
	s_waitcnt vmcnt(0) lgkmcnt(0)
	buffer_wbinvl1_vol
	v_cmp_eq_u32_e32 vcc, 0, v0
	s_and_b64 s[94:95], vcc, exec
	s_or_b64 s[92:93], s[92:93], s[94:95]
	s_mov_b64 vcc, -1
	s_or_b64 s[90:91], s[90:91], exec
	s_and_saveexec_b64 s[94:95], s[92:93]
	s_cbranch_execz .LBB6_4431
.LBB6_4435:                             ;   in Loop: Header=BB6_4432 Depth=2
	s_sleep 1
	s_trap 2
	ds_read_b64 v[0:1], v0
	s_waitcnt lgkmcnt(0)
	buffer_load_dword v2, off, s[0:3], s33 offset:68 ; 4-byte Folded Reload
	buffer_load_dword v3, off, s[0:3], s33 offset:72 ; 4-byte Folded Reload
	s_andn2_b64 s[90:91], s[90:91], exec
	s_waitcnt vmcnt(0)
	v_cmp_ge_u64_e32 vcc, v[0:1], v[2:3]
	s_orn2_b64 vcc, vcc, exec
	s_branch .LBB6_4431
.LBB6_4436:                             ;   in Loop: Header=BB6_4399 Depth=1
	s_or_b64 exec, exec, s[78:79]
	s_and_saveexec_b64 s[78:79], s[88:89]
	s_xor_b64 s[78:79], exec, s[78:79]
	s_cbranch_execz .LBB6_4438
; %bb.4437:                             ;   in Loop: Header=BB6_4399 Depth=1
	v_mov_b32_e32 v0, 1
	ds_write_b32 v0, v0
	s_trap 2
.LBB6_4438:                             ;   in Loop: Header=BB6_4399 Depth=1
	s_or_b64 exec, exec, s[76:77]
	;;#ASMSTART
	s_wakeup
	;;#ASMEND
.LBB6_4439:                             ;   in Loop: Header=BB6_4399 Depth=1
	s_or_b64 exec, exec, s[22:23]
.LBB6_4440:                             ;   in Loop: Header=BB6_4399 Depth=1
	s_andn2_saveexec_b64 s[20:21], s[20:21]
	s_cbranch_execz .LBB6_4442
; %bb.4441:                             ;   in Loop: Header=BB6_4399 Depth=1
	s_waitcnt vmcnt(0) lgkmcnt(0)
	buffer_wbinvl1_vol
	s_barrier
.LBB6_4442:                             ;   in Loop: Header=BB6_4399 Depth=1
	s_or_b64 exec, exec, s[20:21]
.LBB6_4443:                             ;   in Loop: Header=BB6_4399 Depth=1
	s_or_b64 exec, exec, s[18:19]
	s_trap 2
	ds_read_b32 v0, v0
	v_and_b32_e32 v1, 0x4000, v49
	v_cmp_ne_u32_e32 vcc, 0, v1
	s_and_b64 s[20:21], s[46:47], vcc
	s_and_saveexec_b64 s[18:19], s[20:21]
	s_cbranch_execz .LBB6_4462
; %bb.4444:                             ;   in Loop: Header=BB6_4399 Depth=1
	s_and_saveexec_b64 s[20:21], s[42:43]
	s_xor_b64 s[20:21], exec, s[20:21]
	s_cbranch_execz .LBB6_4459
; %bb.4445:                             ;   in Loop: Header=BB6_4399 Depth=1
	s_and_saveexec_b64 s[22:23], s[12:13]
	s_cbranch_execz .LBB6_4458
; %bb.4446:                             ;   in Loop: Header=BB6_4399 Depth=1
	s_mov_b64 s[78:79], exec
	v_mbcnt_lo_u32_b32 v1, s78, 0
	v_mbcnt_hi_u32_b32 v1, s79, v1
	v_cmp_eq_u32_e32 vcc, 0, v1
	s_waitcnt vmcnt(0) lgkmcnt(0)
	buffer_wbinvl1_vol
	s_and_saveexec_b64 s[76:77], vcc
	s_cbranch_execz .LBB6_4448
; %bb.4447:                             ;   in Loop: Header=BB6_4399 Depth=1
	s_bcnt1_i32_b64 s78, s[78:79]
	v_mov_b32_e32 v1, s78
	v_mov_b32_e32 v2, v28
	ds_add_u64 v0, v[1:2]
	s_trap 2
.LBB6_4448:                             ;   in Loop: Header=BB6_4399 Depth=1
	s_or_b64 exec, exec, s[76:77]
	s_trap 2
	ds_read_b64 v[1:2], v0
	s_waitcnt lgkmcnt(0)
	buffer_load_dword v3, off, s[0:3], s33 offset:68 ; 4-byte Folded Reload
	buffer_load_dword v4, off, s[0:3], s33 offset:72 ; 4-byte Folded Reload
	s_waitcnt vmcnt(1)
	v_add_co_u32_e32 v3, vcc, v3, v62
	s_waitcnt vmcnt(0)
	v_addc_co_u32_e32 v4, vcc, 0, v4, vcc
	buffer_store_dword v3, off, s[0:3], s33 offset:68 ; 4-byte Folded Spill
	s_nop 0
	buffer_store_dword v4, off, s[0:3], s33 offset:72 ; 4-byte Folded Spill
	v_cmp_lt_u64_e32 vcc, v[1:2], v[3:4]
	s_and_saveexec_b64 s[76:77], vcc
	s_cbranch_execz .LBB6_4457
; %bb.4449:                             ;   in Loop: Header=BB6_4399 Depth=1
	s_mov_b32 s30, 0
	s_mov_b64 s[78:79], 0
                                        ; implicit-def: $sgpr88_sgpr89
                                        ; implicit-def: $sgpr90_sgpr91
	s_branch .LBB6_4451
.LBB6_4450:                             ;   in Loop: Header=BB6_4451 Depth=2
	s_or_b64 exec, exec, s[94:95]
	s_and_b64 s[92:93], exec, vcc
	s_or_b64 s[78:79], s[92:93], s[78:79]
	s_andn2_b64 s[88:89], s[88:89], exec
	s_and_b64 s[92:93], s[90:91], exec
	s_or_b64 s[88:89], s[88:89], s[92:93]
	s_andn2_b64 exec, exec, s[78:79]
	s_cbranch_execz .LBB6_4455
.LBB6_4451:                             ;   Parent Loop BB6_4399 Depth=1
                                        ; =>  This Inner Loop Header: Depth=2
	s_add_i32 s30, s30, 1
	s_cmpk_lg_i32 s30, 0x2710
	s_cselect_b64 s[92:93], -1, 0
	s_and_b64 vcc, exec, s[92:93]
	s_cbranch_vccz .LBB6_4453
; %bb.4452:                             ;   in Loop: Header=BB6_4451 Depth=2
	s_mov_b64 vcc, -1
	s_or_b64 s[90:91], s[90:91], exec
	s_and_saveexec_b64 s[94:95], s[92:93]
	s_cbranch_execz .LBB6_4450
	s_branch .LBB6_4454
.LBB6_4453:                             ;   in Loop: Header=BB6_4451 Depth=2
	s_trap 2
	ds_read_b64 v[1:2], v0
	s_andn2_b64 s[92:93], s[92:93], exec
	s_mov_b32 s30, 0
	s_waitcnt vmcnt(0) lgkmcnt(0)
	flat_load_dword v1, v[1:2] glc
	s_waitcnt vmcnt(0) lgkmcnt(0)
	buffer_wbinvl1_vol
	v_cmp_eq_u32_e32 vcc, 0, v1
	s_and_b64 s[94:95], vcc, exec
	s_or_b64 s[92:93], s[92:93], s[94:95]
	s_mov_b64 vcc, -1
	s_or_b64 s[90:91], s[90:91], exec
	s_and_saveexec_b64 s[94:95], s[92:93]
	s_cbranch_execz .LBB6_4450
.LBB6_4454:                             ;   in Loop: Header=BB6_4451 Depth=2
	s_sleep 1
	s_trap 2
	ds_read_b64 v[1:2], v0
	s_waitcnt lgkmcnt(0)
	buffer_load_dword v3, off, s[0:3], s33 offset:68 ; 4-byte Folded Reload
	buffer_load_dword v4, off, s[0:3], s33 offset:72 ; 4-byte Folded Reload
	s_andn2_b64 s[90:91], s[90:91], exec
	s_waitcnt vmcnt(0)
	v_cmp_ge_u64_e32 vcc, v[1:2], v[3:4]
	s_orn2_b64 vcc, vcc, exec
	s_branch .LBB6_4450
.LBB6_4455:                             ;   in Loop: Header=BB6_4399 Depth=1
	s_or_b64 exec, exec, s[78:79]
	s_and_saveexec_b64 s[78:79], s[88:89]
	s_xor_b64 s[78:79], exec, s[78:79]
	s_cbranch_execz .LBB6_4457
; %bb.4456:                             ;   in Loop: Header=BB6_4399 Depth=1
	v_mov_b32_e32 v1, 1
	ds_write_b32 v0, v1
	s_trap 2
.LBB6_4457:                             ;   in Loop: Header=BB6_4399 Depth=1
	s_or_b64 exec, exec, s[76:77]
	;;#ASMSTART
	s_wakeup
	;;#ASMEND
.LBB6_4458:                             ;   in Loop: Header=BB6_4399 Depth=1
	s_or_b64 exec, exec, s[22:23]
.LBB6_4459:                             ;   in Loop: Header=BB6_4399 Depth=1
	s_andn2_saveexec_b64 s[20:21], s[20:21]
	s_cbranch_execz .LBB6_4461
; %bb.4460:                             ;   in Loop: Header=BB6_4399 Depth=1
	s_waitcnt vmcnt(0) lgkmcnt(0)
	buffer_wbinvl1_vol
	s_barrier
.LBB6_4461:                             ;   in Loop: Header=BB6_4399 Depth=1
	s_or_b64 exec, exec, s[20:21]
.LBB6_4462:                             ;   in Loop: Header=BB6_4399 Depth=1
	s_or_b64 exec, exec, s[18:19]
	s_trap 2
	s_waitcnt lgkmcnt(0)
	ds_read_b64 v[3:4], v0
	v_min_u32_e32 v47, v47, v46
	s_waitcnt lgkmcnt(0)
	v_cmp_eq_u64_e32 vcc, 0, v[3:4]
	s_cbranch_vccnz .LBB6_4470
; %bb.4463:                             ;   in Loop: Header=BB6_4399 Depth=1
	s_trap 2
	ds_read_b64 v[59:60], v0
	s_waitcnt lgkmcnt(0)
	v_cmp_eq_u64_e32 vcc, 0, v[59:60]
	s_cbranch_vccnz .LBB6_4470
; %bb.4464:                             ;   in Loop: Header=BB6_4399 Depth=1
	s_mov_b64 s[20:21], -1
	s_and_saveexec_b64 s[18:19], s[14:15]
	s_cbranch_execz .LBB6_4466
; %bb.4465:                             ;   in Loop: Header=BB6_4399 Depth=1
	ds_read_b32 v1, v0 offset:720
	s_waitcnt lgkmcnt(0)
	v_and_b32_e32 v1, 15, v1
	v_cmp_eq_u32_e32 vcc, 0, v1
	s_orn2_b64 s[20:21], vcc, exec
.LBB6_4466:                             ;   in Loop: Header=BB6_4399 Depth=1
	s_or_b64 exec, exec, s[18:19]
	s_and_saveexec_b64 s[18:19], s[16:17]
	s_cbranch_execz .LBB6_4468
; %bb.4467:                             ;   in Loop: Header=BB6_4399 Depth=1
	ds_read_b32 v1, v0 offset:784
	s_waitcnt lgkmcnt(0)
	v_and_b32_e32 v1, 15, v1
	v_cmp_eq_u32_e32 vcc, 0, v1
	s_and_b64 s[22:23], s[20:21], vcc
	s_andn2_b64 s[20:21], s[20:21], exec
	s_and_b64 s[22:23], s[22:23], exec
	s_or_b64 s[20:21], s[20:21], s[22:23]
.LBB6_4468:                             ;   in Loop: Header=BB6_4399 Depth=1
	s_or_b64 exec, exec, s[18:19]
	v_cmp_eq_u32_e32 vcc, 0, v0
	s_xor_b64 s[20:21], s[20:21], -1
	v_cndmask_b32_e32 v56, 0, v47, vcc
	v_cndmask_b32_e64 v0, 0, 1, s[20:21]
	s_mov_b64 s[18:19], -1
	v_cmp_ne_u32_e32 vcc, 0, v0
	v_mov_b32_e32 v6, 0
	v_mov_b32_e32 v5, v56
	;; [unrolled: 1-line block ×4, first 2 shown]
	s_cbranch_vccz .LBB6_4471
; %bb.4469:                             ;   in Loop: Header=BB6_4399 Depth=1
	s_and_saveexec_b64 s[20:21], s[18:19]
	s_cbranch_execnz .LBB6_7332
	s_branch .LBB6_8660
.LBB6_4470:                             ;   in Loop: Header=BB6_4399 Depth=1
	s_mov_b64 s[18:19], 0
	s_and_saveexec_b64 s[20:21], s[10:11]
	s_cbranch_execnz .LBB6_8661
	s_branch .LBB6_8679
.LBB6_4471:                             ;   in Loop: Header=BB6_4399 Depth=1
	v_lshrrev_b32_e32 v0, 12, v56
	v_sub_u32_e32 v25, v0, v40
	v_cmp_lt_i32_e32 vcc, 0, v25
	s_mov_b64 s[20:21], exec
	s_and_b64 s[18:19], s[20:21], vcc
	buffer_store_dword v3, off, s[0:3], s33 offset:388 ; 4-byte Folded Spill
	s_nop 0
	buffer_store_dword v4, off, s[0:3], s33 offset:392 ; 4-byte Folded Spill
	s_mov_b64 exec, s[18:19]
	s_cbranch_execz .LBB6_6779
; %bb.4472:                             ;   in Loop: Header=BB6_4399 Depth=1
	buffer_store_dword v56, off, s[0:3], s33 offset:380 ; 4-byte Folded Spill
	buffer_store_dword v47, off, s[0:3], s33 offset:368 ; 4-byte Folded Spill
	buffer_store_dword v46, off, s[0:3], s33 offset:336 ; 4-byte Folded Spill
	s_nop 0
	buffer_store_dword v47, off, s[0:3], s33 offset:340 ; 4-byte Folded Spill
	buffer_store_dword v43, off, s[0:3], s33 offset:284 ; 4-byte Folded Spill
	s_nop 0
	buffer_store_dword v44, off, s[0:3], s33 offset:288 ; 4-byte Folded Spill
	buffer_store_dword v52, off, s[0:3], s33 offset:320 ; 4-byte Folded Spill
	;; [unrolled: 3-line block ×3, first 2 shown]
	buffer_store_dword v55, off, s[0:3], s33 offset:332 ; 4-byte Folded Spill
	buffer_store_dword v49, off, s[0:3], s33 offset:376 ; 4-byte Folded Spill
	s_trap 2
	buffer_load_dword v2, off, s[0:3], s33 offset:440 ; 4-byte Folded Reload
	ds_read_b64 v[0:1], v0
	s_mov_b64 s[22:23], 0
	s_waitcnt vmcnt(0)
	v_add_co_u32_e32 v54, vcc, v3, v2
	buffer_load_dword v3, off, s[0:3], s33 offset:444 ; 4-byte Folded Reload
	s_waitcnt vmcnt(0)
	v_addc_co_u32_e32 v55, vcc, v4, v3, vcc
	s_waitcnt lgkmcnt(0)
	v_add_co_u32_e32 v61, vcc, v0, v2
	v_addc_co_u32_e32 v62, vcc, v1, v3, vcc
	v_add_co_u32_e32 v52, vcc, v59, v2
	buffer_store_dword v59, off, s[0:3], s33 offset:428 ; 4-byte Folded Spill
	s_nop 0
	buffer_store_dword v60, off, s[0:3], s33 offset:432 ; 4-byte Folded Spill
	v_addc_co_u32_e32 v53, vcc, v60, v3, vcc
	s_branch .LBB6_4475
.LBB6_4473:                             ;   in Loop: Header=BB6_4475 Depth=2
	s_or_b64 exec, exec, s[76:77]
.LBB6_4474:                             ;   in Loop: Header=BB6_4475 Depth=2
	s_or_b64 exec, exec, s[18:19]
	v_lshl_or_b32 v3, v40, 8, v29
	v_lshl_or_b32 v4, v34, 8, v23
	v_lshlrev_b32_e32 v8, 16, v8
	v_lshlrev_b32_e32 v12, 24, v18
	;; [unrolled: 1-line block ×4, first 2 shown]
	v_or3_b32 v17, v3, v8, v12
	v_or3_b32 v16, v4, v13, v16
	v_lshl_or_b32 v3, v41, 8, v19
	v_lshlrev_b32_e32 v4, 16, v42
	v_lshlrev_b32_e32 v8, 24, v43
	v_or3_b32 v18, v3, v4, v8
	v_lshl_or_b32 v3, v36, 8, v44
	v_lshlrev_b32_e32 v4, 24, v5
	v_lshlrev_b32_e32 v5, 16, v6
	v_or3_b32 v19, v3, v5, v4
	buffer_load_dword v3, off, s[0:3], s33 offset:236 ; 4-byte Folded Reload
	buffer_load_dword v4, off, s[0:3], s33 offset:240 ; 4-byte Folded Reload
	v_lshlrev_b32_e32 v5, 24, v59
	v_lshlrev_b32_e32 v0, 16, v0
	;; [unrolled: 1-line block ×3, first 2 shown]
	s_waitcnt vmcnt(0)
	v_lshl_or_b32 v3, v4, 8, v3
	buffer_load_dword v4, off, s[0:3], s33 offset:256 ; 4-byte Folded Reload
	buffer_load_dword v6, off, s[0:3], s33 offset:204 ; 4-byte Folded Reload
	;; [unrolled: 1-line block ×3, first 2 shown]
	s_waitcnt vmcnt(2)
	v_lshlrev_b32_e32 v4, 16, v4
	v_or3_b32 v4, v3, v4, v5
	buffer_load_dword v3, off, s[0:3], s33 offset:220 ; 4-byte Folded Reload
	buffer_load_dword v5, off, s[0:3], s33 offset:228 ; 4-byte Folded Reload
	s_waitcnt vmcnt(2)
	v_lshl_or_b32 v6, v8, 8, v6
	s_waitcnt vmcnt(1)
	v_lshlrev_b32_e32 v3, 16, v3
	s_waitcnt vmcnt(0)
	v_lshlrev_b32_e32 v5, 24, v5
	v_or3_b32 v3, v6, v3, v5
	v_lshl_or_b32 v5, v60, 8, v24
	v_or3_b32 v5, v5, v0, v1
	v_lshlrev_b32_e32 v0, 24, v9
	v_lshlrev_b32_e32 v1, 16, v22
	v_lshl_or_b32 v6, v31, 8, v30
	v_or3_b32 v6, v6, v1, v0
	buffer_load_dword v0, off, s[0:3], s33 offset:108 ; 4-byte Folded Reload
	buffer_load_dword v1, off, s[0:3], s33 offset:116 ; 4-byte Folded Reload
	buffer_load_dword v8, off, s[0:3], s33 offset:132 ; 4-byte Folded Reload
	s_waitcnt vmcnt(1)
	v_lshl_or_b32 v0, v1, 8, v0
	buffer_load_dword v1, off, s[0:3], s33 offset:124 ; 4-byte Folded Reload
	s_waitcnt vmcnt(1)
	v_lshlrev_b32_e32 v8, 24, v8
	s_waitcnt vmcnt(0)
	v_lshlrev_b32_e32 v1, 16, v1
	v_or3_b32 v30, v0, v1, v8
	buffer_load_dword v0, off, s[0:3], s33 offset:76 ; 4-byte Folded Reload
	buffer_load_dword v1, off, s[0:3], s33 offset:84 ; 4-byte Folded Reload
	buffer_load_dword v8, off, s[0:3], s33 offset:100 ; 4-byte Folded Reload
	s_waitcnt vmcnt(1)
	v_lshl_or_b32 v0, v1, 8, v0
	buffer_load_dword v1, off, s[0:3], s33 offset:92 ; 4-byte Folded Reload
	s_waitcnt vmcnt(1)
	v_lshlrev_b32_e32 v8, 24, v8
	s_waitcnt vmcnt(0)
	v_lshlrev_b32_e32 v1, 16, v1
	;; [unrolled: 11-line block ×3, first 2 shown]
	v_or3_b32 v31, v0, v1, v8
	buffer_load_dword v0, off, s[0:3], s33 offset:196 ; 4-byte Folded Reload
	buffer_load_dword v1, off, s[0:3], s33 offset:188 ; 4-byte Folded Reload
	;; [unrolled: 1-line block ×4, first 2 shown]
	s_waitcnt vmcnt(3)
	v_lshlrev_b32_e32 v0, 24, v0
	s_waitcnt vmcnt(2)
	v_lshlrev_b32_e32 v1, 16, v1
	s_waitcnt vmcnt(0)
	v_lshl_or_b32 v8, v9, 8, v8
	v_or3_b32 v32, v8, v1, v0
	v_lshl_or_b32 v0, v49, 8, v48
	v_lshlrev_b32_e32 v1, 16, v45
	v_lshlrev_b32_e32 v8, 24, v10
	v_or3_b32 v8, v0, v1, v8
	v_lshl_or_b32 v0, v20, 8, v7
	v_lshlrev_b32_e32 v1, 16, v21
	v_lshlrev_b32_e32 v7, 24, v37
	;; [unrolled: 4-line block ×3, first 2 shown]
	v_or3_b32 v9, v0, v1, v9
	v_lshlrev_b32_e32 v0, 24, v2
	v_lshlrev_b32_e32 v1, 16, v38
	v_lshl_or_b32 v2, v56, 8, v47
	v_or3_b32 v10, v2, v1, v0
	global_store_dwordx4 v[52:53], v[29:32], off glc slc
	global_store_dwordx4 v[52:53], v[3:6], off offset:1024 glc slc
	global_store_dwordx4 v[52:53], v[16:19], off offset:2048 glc slc
	;; [unrolled: 1-line block ×3, first 2 shown]
	buffer_load_dword v1, off, s[0:3], s33 offset:280 ; 4-byte Folded Reload
	buffer_load_dword v0, off, s[0:3], s33 offset:272 ; 4-byte Folded Reload
	s_waitcnt vmcnt(1)
	v_add_co_u32_e32 v54, vcc, v54, v1
	v_addc_co_u32_e32 v55, vcc, 0, v55, vcc
	v_add_co_u32_e32 v61, vcc, v61, v1
	v_addc_co_u32_e32 v62, vcc, 0, v62, vcc
	s_waitcnt vmcnt(0)
	v_sub_u32_e32 v25, v25, v0
	v_cmp_gt_i32_e32 vcc, 1, v25
	s_or_b64 s[22:23], vcc, s[22:23]
	v_add_co_u32_e32 v52, vcc, v52, v1
	v_addc_co_u32_e32 v53, vcc, 0, v53, vcc
	s_andn2_b64 exec, exec, s[22:23]
	s_cbranch_execz .LBB6_6778
.LBB6_4475:                             ;   Parent Loop BB6_4399 Depth=1
                                        ; =>  This Inner Loop Header: Depth=2
	global_load_dwordx4 v[48:51], v[54:55], off glc slc
	global_load_dwordx4 v[32:35], v[54:55], off offset:1024 glc slc
	global_load_dwordx4 v[2:5], v[54:55], off offset:2048 glc slc
	;; [unrolled: 1-line block ×3, first 2 shown]
	global_load_dwordx4 v[36:39], v[61:62], off glc slc
	global_load_dwordx4 v[6:9], v[61:62], off offset:1024 glc slc
	global_load_dwordx4 v[18:21], v[61:62], off offset:2048 glc slc
	;; [unrolled: 1-line block ×3, first 2 shown]
	v_mov_b32_e32 v0, 0
	v_mov_b32_e32 v1, 0
	s_waitcnt vmcnt(7)
	v_cmp_ne_u16_sdwa s[76:77], v48, v28 src0_sel:BYTE_0 src1_sel:DWORD
	s_and_saveexec_b64 s[18:19], s[76:77]
	s_cbranch_execz .LBB6_4483
; %bb.4476:                             ;   in Loop: Header=BB6_4475 Depth=2
	v_cmp_ne_u16_sdwa s[78:79], sext(v48), s49 src0_sel:BYTE_0 src1_sel:DWORD
	v_bfrev_b32_e32 v1, 1
	s_and_saveexec_b64 s[76:77], s[78:79]
	s_cbranch_execz .LBB6_4482
; %bb.4477:                             ;   in Loop: Header=BB6_4475 Depth=2
	v_and_b32_e32 v1, 0x7c, v48
	v_and_b32_e32 v22, 3, v48
	v_cmp_ne_u32_e32 vcc, s50, v1
                                        ; implicit-def: $vgpr1
	s_and_saveexec_b64 s[78:79], vcc
	s_xor_b64 s[78:79], exec, s[78:79]
	s_cbranch_execz .LBB6_4479
; %bb.4478:                             ;   in Loop: Header=BB6_4475 Depth=2
	v_ffbh_u32_e32 v23, v22
	v_min_u32_e32 v26, 32, v23
	v_subrev_u32_e32 v23, 29, v26
	v_lshlrev_b64 v[23:24], v23, v[48:49]
	v_bfe_u32 v1, v48, 2, 5
	v_and_b32_e32 v23, 3, v23
	v_cmp_eq_u32_e32 vcc, 0, v1
	v_sub_u32_e32 v24, 30, v26
	v_cndmask_b32_e32 v22, v22, v23, vcc
	v_lshlrev_b32_e32 v23, 24, v48
	v_cndmask_b32_e32 v1, v1, v24, vcc
	v_and_b32_e32 v23, 0x80000000, v23
	v_lshl_add_u32 v1, v1, 23, v23
	v_lshl_or_b32 v1, v22, 21, v1
	v_add_u32_e32 v1, 0x38000000, v1
                                        ; implicit-def: $vgpr22
.LBB6_4479:                             ;   in Loop: Header=BB6_4475 Depth=2
	s_andn2_saveexec_b64 s[78:79], s[78:79]
; %bb.4480:                             ;   in Loop: Header=BB6_4475 Depth=2
	v_mov_b32_e32 v1, -1
	v_cmp_gt_i16_sdwa vcc, sext(v48), v1 src0_sel:BYTE_0 src1_sel:DWORD
	v_mov_b32_e32 v1, 0xff800000
	v_mov_b32_e32 v23, 0x7f800000
	v_cndmask_b32_e32 v1, v1, v23, vcc
	v_cmp_eq_u32_e32 vcc, 0, v22
	v_mov_b32_e32 v22, 0x7f800001
	v_cndmask_b32_e32 v1, v22, v1, vcc
; %bb.4481:                             ;   in Loop: Header=BB6_4475 Depth=2
	s_or_b64 exec, exec, s[78:79]
.LBB6_4482:                             ;   in Loop: Header=BB6_4475 Depth=2
	s_or_b64 exec, exec, s[76:77]
.LBB6_4483:                             ;   in Loop: Header=BB6_4475 Depth=2
	s_or_b64 exec, exec, s[18:19]
	s_waitcnt vmcnt(3)
	v_cmp_ne_u16_sdwa s[76:77], v36, v28 src0_sel:BYTE_0 src1_sel:DWORD
	s_and_saveexec_b64 s[18:19], s[76:77]
	s_cbranch_execz .LBB6_4491
; %bb.4484:                             ;   in Loop: Header=BB6_4475 Depth=2
	v_cmp_ne_u16_sdwa s[78:79], sext(v36), s49 src0_sel:BYTE_0 src1_sel:DWORD
	v_bfrev_b32_e32 v0, 1
	s_and_saveexec_b64 s[76:77], s[78:79]
	s_cbranch_execz .LBB6_4490
; %bb.4485:                             ;   in Loop: Header=BB6_4475 Depth=2
	v_and_b32_e32 v0, 0x7c, v36
	v_and_b32_e32 v22, 3, v36
	v_cmp_ne_u32_e32 vcc, s50, v0
                                        ; implicit-def: $vgpr0
	s_and_saveexec_b64 s[78:79], vcc
	s_xor_b64 s[78:79], exec, s[78:79]
	s_cbranch_execz .LBB6_4487
; %bb.4486:                             ;   in Loop: Header=BB6_4475 Depth=2
	v_ffbh_u32_e32 v23, v22
	v_min_u32_e32 v26, 32, v23
	v_subrev_u32_e32 v23, 29, v26
	v_lshlrev_b64 v[23:24], v23, v[36:37]
	v_bfe_u32 v0, v36, 2, 5
	v_and_b32_e32 v23, 3, v23
	v_cmp_eq_u32_e32 vcc, 0, v0
	v_sub_u32_e32 v24, 30, v26
	v_cndmask_b32_e32 v22, v22, v23, vcc
	v_lshlrev_b32_e32 v23, 24, v36
	v_cndmask_b32_e32 v0, v0, v24, vcc
	v_and_b32_e32 v23, 0x80000000, v23
	v_lshl_add_u32 v0, v0, 23, v23
	v_lshl_or_b32 v0, v22, 21, v0
	v_add_u32_e32 v0, 0x38000000, v0
                                        ; implicit-def: $vgpr22
.LBB6_4487:                             ;   in Loop: Header=BB6_4475 Depth=2
	s_andn2_saveexec_b64 s[78:79], s[78:79]
; %bb.4488:                             ;   in Loop: Header=BB6_4475 Depth=2
	v_mov_b32_e32 v0, -1
	v_cmp_gt_i16_sdwa vcc, sext(v36), v0 src0_sel:BYTE_0 src1_sel:DWORD
	v_mov_b32_e32 v0, 0xff800000
	v_mov_b32_e32 v23, 0x7f800000
	v_cndmask_b32_e32 v0, v0, v23, vcc
	v_cmp_eq_u32_e32 vcc, 0, v22
	v_mov_b32_e32 v22, 0x7f800001
	v_cndmask_b32_e32 v0, v22, v0, vcc
; %bb.4489:                             ;   in Loop: Header=BB6_4475 Depth=2
	s_or_b64 exec, exec, s[78:79]
.LBB6_4490:                             ;   in Loop: Header=BB6_4475 Depth=2
	s_or_b64 exec, exec, s[76:77]
.LBB6_4491:                             ;   in Loop: Header=BB6_4475 Depth=2
	s_or_b64 exec, exec, s[18:19]
	v_mul_f32_e32 v1, v1, v0
	v_and_b32_e32 v22, 0x7f800000, v1
	v_mov_b32_e32 v23, v28
	v_cmp_ne_u64_e32 vcc, s[58:59], v[22:23]
	v_and_b32_e32 v27, 0x7fffff, v1
                                        ; implicit-def: $vgpr0
                                        ; kill: killed $vgpr0
	s_and_saveexec_b64 s[18:19], vcc
	s_xor_b64 s[76:77], exec, s[18:19]
	s_cbranch_execz .LBB6_4505
; %bb.4492:                             ;   in Loop: Header=BB6_4475 Depth=2
	v_and_b32_e32 v22, 0x7fffffff, v1
	v_mov_b32_e32 v23, v28
	v_cmp_gt_u64_e32 vcc, s[60:61], v[22:23]
	v_and_b32_sdwa v0, v1, s52 dst_sel:DWORD dst_unused:UNUSED_PAD src0_sel:BYTE_3 src1_sel:DWORD
                                        ; implicit-def: $vgpr22
                                        ; kill: killed $vgpr22
	s_and_saveexec_b64 s[18:19], vcc
	s_xor_b64 s[78:79], exec, s[18:19]
	s_cbranch_execz .LBB6_4502
; %bb.4493:                             ;   in Loop: Header=BB6_4475 Depth=2
	v_mov_b32_e32 v22, 0
	v_cmp_ne_u32_e32 vcc, 0, v1
	buffer_store_dword v22, off, s[0:3], s33 offset:76 ; 4-byte Folded Spill
	s_and_saveexec_b64 s[88:89], vcc
	s_cbranch_execz .LBB6_4501
; %bb.4494:                             ;   in Loop: Header=BB6_4475 Depth=2
	v_bfe_u32 v1, v1, 23, 8
	v_cmp_gt_u32_e64 s[18:19], s53, v1
	v_sub_u32_e32 v22, 0x71, v1
	v_cmp_eq_u32_e32 vcc, 0, v1
	v_cndmask_b32_e64 v22, 0, v22, s[18:19]
	v_mov_b32_e32 v24, 0x70
	v_cndmask_b32_e32 v26, v22, v24, vcc
	v_add_u32_e32 v24, 21, v26
	v_or_b32_e32 v23, 0x800000, v27
	v_lshlrev_b64 v[29:30], v24, -1
	v_cndmask_b32_e32 v22, v23, v27, vcc
	v_mov_b32_e32 v23, v28
	v_add_u32_e32 v24, 20, v26
	v_bfi_b32 v29, v29, 0, v22
	v_lshlrev_b64 v[40:41], v24, 1
	v_lshrrev_b64 v[22:23], v26, v[22:23]
	v_bfi_b32 v30, v30, 0, 0
	v_cmp_eq_u64_e64 s[18:19], v[29:30], v[40:41]
	v_mov_b32_e32 v24, v23
	v_mov_b32_e32 v23, v22
	s_and_saveexec_b64 s[90:91], s[18:19]
; %bb.4495:                             ;   in Loop: Header=BB6_4475 Depth=2
	v_bfe_u32 v23, v22, 21, 1
	v_add_co_u32_e64 v23, s[18:19], v22, v23
	v_add_co_u32_e64 v23, s[18:19], -1, v23
; %bb.4496:                             ;   in Loop: Header=BB6_4475 Depth=2
	s_or_b64 exec, exec, s[90:91]
	v_add_u32_e32 v1, 0xffffff81, v1
	v_mov_b32_e32 v24, 0xffffff82
	v_cndmask_b32_e32 v1, v1, v24, vcc
	v_lshrrev_b32_e32 v24, 23, v22
	v_add3_u32 v26, v26, v1, v24
	v_add_u32_e32 v24, 14, v26
	v_and_b32_e32 v1, 0x1fffff, v23
	v_add_u32_e32 v27, v1, v22
	v_cmp_ne_u32_e32 vcc, 0, v24
                                        ; implicit-def: $vgpr22_vgpr23
                                        ; implicit-def: $vgpr1
	s_and_saveexec_b64 s[18:19], vcc
	s_xor_b64 s[18:19], exec, s[18:19]
; %bb.4497:                             ;   in Loop: Header=BB6_4475 Depth=2
	v_cmp_lt_u64_e32 vcc, s[62:63], v[27:28]
	v_add_u32_e32 v1, 15, v26
	v_cndmask_b32_e64 v22, 0, 1, vcc
	v_cndmask_b32_e32 v1, v24, v1, vcc
	v_lshrrev_b64 v[22:23], v22, v[27:28]
; %bb.4498:                             ;   in Loop: Header=BB6_4475 Depth=2
	s_andn2_saveexec_b64 s[18:19], s[18:19]
; %bb.4499:                             ;   in Loop: Header=BB6_4475 Depth=2
	v_mov_b32_e32 v22, v27
	v_mov_b32_e32 v23, v28
	v_bfe_u32 v1, v27, 23, 1
; %bb.4500:                             ;   in Loop: Header=BB6_4475 Depth=2
	s_or_b64 exec, exec, s[18:19]
	v_lshrrev_b64 v[22:23], 21, v[22:23]
	v_cmp_gt_i32_e32 vcc, 32, v1
	v_cndmask_b32_e32 v23, 0, v23, vcc
	v_cndmask_b32_e32 v22, 3, v22, vcc
	v_cmp_eq_u32_e32 vcc, 0, v1
	v_min_i32_e32 v1, 31, v1
	v_cmp_eq_u64_e64 s[18:19], 0, v[22:23]
	v_lshlrev_b32_e32 v1, 2, v1
	v_and_b32_e32 v1, 0xfc, v1
	v_and_or_b32 v1, v22, 3, v1
	s_and_b64 s[18:19], vcc, s[18:19]
	v_cndmask_b32_e64 v1, v1, 0, s[18:19]
	v_or_b32_e32 v0, v1, v0
	buffer_store_dword v0, off, s[0:3], s33 offset:76 ; 4-byte Folded Spill
.LBB6_4501:                             ;   in Loop: Header=BB6_4475 Depth=2
	s_or_b64 exec, exec, s[88:89]
                                        ; implicit-def: $vgpr0
.LBB6_4502:                             ;   in Loop: Header=BB6_4475 Depth=2
	s_andn2_saveexec_b64 s[18:19], s[78:79]
	s_cbranch_execz .LBB6_4504
; %bb.4503:                             ;   in Loop: Header=BB6_4475 Depth=2
	v_or_b32_e32 v0, 0x7b, v0
	buffer_store_dword v0, off, s[0:3], s33 offset:76 ; 4-byte Folded Spill
.LBB6_4504:                             ;   in Loop: Header=BB6_4475 Depth=2
	s_or_b64 exec, exec, s[18:19]
                                        ; implicit-def: $vgpr1
.LBB6_4505:                             ;   in Loop: Header=BB6_4475 Depth=2
	s_andn2_saveexec_b64 s[18:19], s[76:77]
	s_cbranch_execz .LBB6_4511
; %bb.4506:                             ;   in Loop: Header=BB6_4475 Depth=2
	v_cmp_ne_u64_e32 vcc, 0, v[27:28]
                                        ; implicit-def: $vgpr0
                                        ; kill: killed $vgpr0
	s_and_saveexec_b64 s[76:77], vcc
	s_xor_b64 s[76:77], exec, s[76:77]
	s_cbranch_execz .LBB6_4508
; %bb.4507:                             ;   in Loop: Header=BB6_4475 Depth=2
	v_or_b32_sdwa v0, v1, s54 dst_sel:DWORD dst_unused:UNUSED_PAD src0_sel:BYTE_3 src1_sel:DWORD
	buffer_store_dword v0, off, s[0:3], s33 offset:76 ; 4-byte Folded Spill
                                        ; implicit-def: $vgpr1
.LBB6_4508:                             ;   in Loop: Header=BB6_4475 Depth=2
	s_andn2_saveexec_b64 s[76:77], s[76:77]
	s_cbranch_execz .LBB6_4510
; %bb.4509:                             ;   in Loop: Header=BB6_4475 Depth=2
	v_cmp_lt_i32_e32 vcc, -1, v1
	v_bfrev_b32_e32 v0, 0.5
	v_mov_b32_e32 v1, 0x7c
	v_cndmask_b32_e32 v0, v0, v1, vcc
	buffer_store_dword v0, off, s[0:3], s33 offset:76 ; 4-byte Folded Spill
.LBB6_4510:                             ;   in Loop: Header=BB6_4475 Depth=2
	s_or_b64 exec, exec, s[76:77]
.LBB6_4511:                             ;   in Loop: Header=BB6_4475 Depth=2
	s_or_b64 exec, exec, s[18:19]
	v_lshrrev_b16_e32 v22, 8, v48
	v_cmp_ne_u16_e32 vcc, 0, v22
	v_mov_b32_e32 v0, 0
	v_mov_b32_e32 v1, 0
	s_and_saveexec_b64 s[18:19], vcc
	s_cbranch_execz .LBB6_4519
; %bb.4512:                             ;   in Loop: Header=BB6_4475 Depth=2
	v_cmp_ne_u16_e32 vcc, s52, v22
	v_bfrev_b32_e32 v1, 1
	s_and_saveexec_b64 s[76:77], vcc
	s_cbranch_execz .LBB6_4518
; %bb.4513:                             ;   in Loop: Header=BB6_4475 Depth=2
	v_and_b32_e32 v1, 0x7c, v22
	v_and_b32_e32 v24, 3, v22
	v_cmp_ne_u32_e32 vcc, s50, v1
                                        ; implicit-def: $vgpr1
	s_and_saveexec_b64 s[78:79], vcc
	s_xor_b64 s[78:79], exec, s[78:79]
	s_cbranch_execz .LBB6_4515
; %bb.4514:                             ;   in Loop: Header=BB6_4475 Depth=2
	v_ffbh_u32_e32 v26, v24
	v_min_u32_e32 v26, 32, v26
	v_mov_b32_e32 v23, v28
	v_subrev_u32_e32 v27, 29, v26
	v_bfe_u32 v1, v22, 2, 5
	v_lshlrev_b64 v[22:23], v27, v[22:23]
	v_sub_u32_e32 v23, 30, v26
	v_cmp_eq_u32_e32 vcc, 0, v1
	v_cndmask_b32_e32 v1, v1, v23, vcc
	v_lshlrev_b32_e32 v23, 16, v48
	v_and_b32_e32 v22, 3, v22
	v_and_b32_e32 v23, 0x80000000, v23
	v_cndmask_b32_e32 v22, v24, v22, vcc
	v_lshl_add_u32 v1, v1, 23, v23
	v_lshl_or_b32 v1, v22, 21, v1
	v_add_u32_e32 v1, 0x38000000, v1
                                        ; implicit-def: $vgpr24
.LBB6_4515:                             ;   in Loop: Header=BB6_4475 Depth=2
	s_andn2_saveexec_b64 s[78:79], s[78:79]
; %bb.4516:                             ;   in Loop: Header=BB6_4475 Depth=2
	v_cmp_lt_i16_e32 vcc, -1, v48
	v_mov_b32_e32 v1, 0xff800000
	v_mov_b32_e32 v22, 0x7f800000
	v_cndmask_b32_e32 v1, v1, v22, vcc
	v_cmp_eq_u32_e32 vcc, 0, v24
	v_mov_b32_e32 v22, 0x7f800001
	v_cndmask_b32_e32 v1, v22, v1, vcc
; %bb.4517:                             ;   in Loop: Header=BB6_4475 Depth=2
	s_or_b64 exec, exec, s[78:79]
.LBB6_4518:                             ;   in Loop: Header=BB6_4475 Depth=2
	s_or_b64 exec, exec, s[76:77]
.LBB6_4519:                             ;   in Loop: Header=BB6_4475 Depth=2
	s_or_b64 exec, exec, s[18:19]
	v_lshrrev_b16_e32 v22, 8, v36
	v_cmp_ne_u16_e32 vcc, 0, v22
	s_and_saveexec_b64 s[18:19], vcc
	s_cbranch_execz .LBB6_4527
; %bb.4520:                             ;   in Loop: Header=BB6_4475 Depth=2
	v_cmp_ne_u16_e32 vcc, s52, v22
	v_bfrev_b32_e32 v0, 1
	s_and_saveexec_b64 s[76:77], vcc
	s_cbranch_execz .LBB6_4526
; %bb.4521:                             ;   in Loop: Header=BB6_4475 Depth=2
	v_and_b32_e32 v0, 0x7c, v22
	v_and_b32_e32 v24, 3, v22
	v_cmp_ne_u32_e32 vcc, s50, v0
                                        ; implicit-def: $vgpr0
	s_and_saveexec_b64 s[78:79], vcc
	s_xor_b64 s[78:79], exec, s[78:79]
	s_cbranch_execz .LBB6_4523
; %bb.4522:                             ;   in Loop: Header=BB6_4475 Depth=2
	v_ffbh_u32_e32 v26, v24
	v_min_u32_e32 v26, 32, v26
	v_mov_b32_e32 v23, v28
	v_subrev_u32_e32 v27, 29, v26
	v_bfe_u32 v0, v22, 2, 5
	v_lshlrev_b64 v[22:23], v27, v[22:23]
	v_sub_u32_e32 v23, 30, v26
	v_cmp_eq_u32_e32 vcc, 0, v0
	v_cndmask_b32_e32 v0, v0, v23, vcc
	v_lshlrev_b32_e32 v23, 16, v36
	v_and_b32_e32 v22, 3, v22
	v_and_b32_e32 v23, 0x80000000, v23
	v_cndmask_b32_e32 v22, v24, v22, vcc
	v_lshl_add_u32 v0, v0, 23, v23
	v_lshl_or_b32 v0, v22, 21, v0
	v_add_u32_e32 v0, 0x38000000, v0
                                        ; implicit-def: $vgpr24
.LBB6_4523:                             ;   in Loop: Header=BB6_4475 Depth=2
	s_andn2_saveexec_b64 s[78:79], s[78:79]
; %bb.4524:                             ;   in Loop: Header=BB6_4475 Depth=2
	v_cmp_lt_i16_e32 vcc, -1, v36
	v_mov_b32_e32 v0, 0xff800000
	v_mov_b32_e32 v22, 0x7f800000
	v_cndmask_b32_e32 v0, v0, v22, vcc
	v_cmp_eq_u32_e32 vcc, 0, v24
	v_mov_b32_e32 v22, 0x7f800001
	v_cndmask_b32_e32 v0, v22, v0, vcc
; %bb.4525:                             ;   in Loop: Header=BB6_4475 Depth=2
	s_or_b64 exec, exec, s[78:79]
.LBB6_4526:                             ;   in Loop: Header=BB6_4475 Depth=2
	s_or_b64 exec, exec, s[76:77]
.LBB6_4527:                             ;   in Loop: Header=BB6_4475 Depth=2
	s_or_b64 exec, exec, s[18:19]
	v_mul_f32_e32 v1, v1, v0
	v_and_b32_e32 v22, 0x7f800000, v1
	v_mov_b32_e32 v23, v28
	v_cmp_ne_u64_e32 vcc, s[58:59], v[22:23]
	v_and_b32_e32 v27, 0x7fffff, v1
                                        ; implicit-def: $vgpr0
                                        ; kill: killed $vgpr0
	s_and_saveexec_b64 s[18:19], vcc
	s_xor_b64 s[76:77], exec, s[18:19]
	s_cbranch_execz .LBB6_4541
; %bb.4528:                             ;   in Loop: Header=BB6_4475 Depth=2
	v_and_b32_e32 v22, 0x7fffffff, v1
	v_mov_b32_e32 v23, v28
	v_cmp_gt_u64_e32 vcc, s[60:61], v[22:23]
	v_and_b32_sdwa v0, v1, s52 dst_sel:DWORD dst_unused:UNUSED_PAD src0_sel:BYTE_3 src1_sel:DWORD
                                        ; implicit-def: $vgpr22
                                        ; kill: killed $vgpr22
	s_and_saveexec_b64 s[18:19], vcc
	s_xor_b64 s[78:79], exec, s[18:19]
	s_cbranch_execz .LBB6_4538
; %bb.4529:                             ;   in Loop: Header=BB6_4475 Depth=2
	v_mov_b32_e32 v22, 0
	v_cmp_ne_u32_e32 vcc, 0, v1
	buffer_store_dword v22, off, s[0:3], s33 offset:84 ; 4-byte Folded Spill
	s_and_saveexec_b64 s[88:89], vcc
	s_cbranch_execz .LBB6_4537
; %bb.4530:                             ;   in Loop: Header=BB6_4475 Depth=2
	v_bfe_u32 v1, v1, 23, 8
	v_cmp_gt_u32_e64 s[18:19], s53, v1
	v_sub_u32_e32 v22, 0x71, v1
	v_cmp_eq_u32_e32 vcc, 0, v1
	v_cndmask_b32_e64 v22, 0, v22, s[18:19]
	v_mov_b32_e32 v24, 0x70
	v_cndmask_b32_e32 v26, v22, v24, vcc
	v_add_u32_e32 v24, 21, v26
	v_or_b32_e32 v23, 0x800000, v27
	v_lshlrev_b64 v[29:30], v24, -1
	v_cndmask_b32_e32 v22, v23, v27, vcc
	v_mov_b32_e32 v23, v28
	v_add_u32_e32 v24, 20, v26
	v_bfi_b32 v29, v29, 0, v22
	v_lshlrev_b64 v[40:41], v24, 1
	v_lshrrev_b64 v[22:23], v26, v[22:23]
	v_bfi_b32 v30, v30, 0, 0
	v_cmp_eq_u64_e64 s[18:19], v[29:30], v[40:41]
	v_mov_b32_e32 v24, v23
	v_mov_b32_e32 v23, v22
	s_and_saveexec_b64 s[90:91], s[18:19]
; %bb.4531:                             ;   in Loop: Header=BB6_4475 Depth=2
	v_bfe_u32 v23, v22, 21, 1
	v_add_co_u32_e64 v23, s[18:19], v22, v23
	v_add_co_u32_e64 v23, s[18:19], -1, v23
; %bb.4532:                             ;   in Loop: Header=BB6_4475 Depth=2
	s_or_b64 exec, exec, s[90:91]
	v_add_u32_e32 v1, 0xffffff81, v1
	v_mov_b32_e32 v24, 0xffffff82
	v_cndmask_b32_e32 v1, v1, v24, vcc
	v_lshrrev_b32_e32 v24, 23, v22
	v_add3_u32 v26, v26, v1, v24
	v_add_u32_e32 v24, 14, v26
	v_and_b32_e32 v1, 0x1fffff, v23
	v_add_u32_e32 v27, v1, v22
	v_cmp_ne_u32_e32 vcc, 0, v24
                                        ; implicit-def: $vgpr22_vgpr23
                                        ; implicit-def: $vgpr1
	s_and_saveexec_b64 s[18:19], vcc
	s_xor_b64 s[18:19], exec, s[18:19]
; %bb.4533:                             ;   in Loop: Header=BB6_4475 Depth=2
	v_cmp_lt_u64_e32 vcc, s[62:63], v[27:28]
	v_add_u32_e32 v1, 15, v26
	v_cndmask_b32_e64 v22, 0, 1, vcc
	v_cndmask_b32_e32 v1, v24, v1, vcc
	v_lshrrev_b64 v[22:23], v22, v[27:28]
; %bb.4534:                             ;   in Loop: Header=BB6_4475 Depth=2
	s_andn2_saveexec_b64 s[18:19], s[18:19]
; %bb.4535:                             ;   in Loop: Header=BB6_4475 Depth=2
	v_mov_b32_e32 v22, v27
	v_mov_b32_e32 v23, v28
	v_bfe_u32 v1, v27, 23, 1
; %bb.4536:                             ;   in Loop: Header=BB6_4475 Depth=2
	s_or_b64 exec, exec, s[18:19]
	v_lshrrev_b64 v[22:23], 21, v[22:23]
	v_cmp_gt_i32_e32 vcc, 32, v1
	v_cndmask_b32_e32 v23, 0, v23, vcc
	v_cndmask_b32_e32 v22, 3, v22, vcc
	v_cmp_eq_u32_e32 vcc, 0, v1
	v_min_i32_e32 v1, 31, v1
	v_cmp_eq_u64_e64 s[18:19], 0, v[22:23]
	v_lshlrev_b32_e32 v1, 2, v1
	v_and_b32_e32 v1, 0xfc, v1
	v_and_or_b32 v1, v22, 3, v1
	s_and_b64 s[18:19], vcc, s[18:19]
	v_cndmask_b32_e64 v1, v1, 0, s[18:19]
	v_or_b32_e32 v0, v1, v0
	buffer_store_dword v0, off, s[0:3], s33 offset:84 ; 4-byte Folded Spill
.LBB6_4537:                             ;   in Loop: Header=BB6_4475 Depth=2
	s_or_b64 exec, exec, s[88:89]
                                        ; implicit-def: $vgpr0
.LBB6_4538:                             ;   in Loop: Header=BB6_4475 Depth=2
	s_andn2_saveexec_b64 s[18:19], s[78:79]
	s_cbranch_execz .LBB6_4540
; %bb.4539:                             ;   in Loop: Header=BB6_4475 Depth=2
	v_or_b32_e32 v0, 0x7b, v0
	buffer_store_dword v0, off, s[0:3], s33 offset:84 ; 4-byte Folded Spill
.LBB6_4540:                             ;   in Loop: Header=BB6_4475 Depth=2
	s_or_b64 exec, exec, s[18:19]
                                        ; implicit-def: $vgpr1
.LBB6_4541:                             ;   in Loop: Header=BB6_4475 Depth=2
	s_andn2_saveexec_b64 s[18:19], s[76:77]
	s_cbranch_execz .LBB6_4547
; %bb.4542:                             ;   in Loop: Header=BB6_4475 Depth=2
	v_cmp_ne_u64_e32 vcc, 0, v[27:28]
                                        ; implicit-def: $vgpr0
                                        ; kill: killed $vgpr0
	s_and_saveexec_b64 s[76:77], vcc
	s_xor_b64 s[76:77], exec, s[76:77]
	s_cbranch_execz .LBB6_4544
; %bb.4543:                             ;   in Loop: Header=BB6_4475 Depth=2
	v_or_b32_sdwa v0, v1, s54 dst_sel:DWORD dst_unused:UNUSED_PAD src0_sel:BYTE_3 src1_sel:DWORD
	buffer_store_dword v0, off, s[0:3], s33 offset:84 ; 4-byte Folded Spill
                                        ; implicit-def: $vgpr1
.LBB6_4544:                             ;   in Loop: Header=BB6_4475 Depth=2
	s_andn2_saveexec_b64 s[76:77], s[76:77]
	s_cbranch_execz .LBB6_4546
; %bb.4545:                             ;   in Loop: Header=BB6_4475 Depth=2
	v_cmp_lt_i32_e32 vcc, -1, v1
	v_bfrev_b32_e32 v0, 0.5
	v_mov_b32_e32 v1, 0x7c
	v_cndmask_b32_e32 v0, v0, v1, vcc
	buffer_store_dword v0, off, s[0:3], s33 offset:84 ; 4-byte Folded Spill
.LBB6_4546:                             ;   in Loop: Header=BB6_4475 Depth=2
	s_or_b64 exec, exec, s[76:77]
.LBB6_4547:                             ;   in Loop: Header=BB6_4475 Depth=2
	s_or_b64 exec, exec, s[18:19]
	v_lshrrev_b32_e32 v22, 16, v48
	v_cmp_ne_u16_sdwa s[76:77], v22, v28 src0_sel:BYTE_0 src1_sel:DWORD
	v_mov_b32_e32 v0, 0
	v_mov_b32_e32 v1, 0
	s_and_saveexec_b64 s[18:19], s[76:77]
	s_cbranch_execz .LBB6_4555
; %bb.4548:                             ;   in Loop: Header=BB6_4475 Depth=2
	v_cmp_ne_u16_sdwa s[78:79], v22, s52 src0_sel:BYTE_0 src1_sel:DWORD
	v_bfrev_b32_e32 v1, 1
	s_and_saveexec_b64 s[76:77], s[78:79]
	s_cbranch_execz .LBB6_4554
; %bb.4549:                             ;   in Loop: Header=BB6_4475 Depth=2
	v_and_b32_e32 v1, 0x7c0000, v48
	v_bfe_u32 v23, v48, 16, 2
	v_cmp_ne_u32_e32 vcc, s55, v1
                                        ; implicit-def: $vgpr1
	s_and_saveexec_b64 s[78:79], vcc
	s_xor_b64 s[78:79], exec, s[78:79]
	s_cbranch_execz .LBB6_4551
; %bb.4550:                             ;   in Loop: Header=BB6_4475 Depth=2
	v_ffbh_u32_e32 v24, v23
	v_min_u32_e32 v24, 32, v24
	v_subrev_u32_e32 v26, 29, v24
	v_lshlrev_b64 v[26:27], v26, v[22:23]
	v_bfe_u32 v1, v48, 18, 5
	v_sub_u32_e32 v22, 30, v24
	v_and_b32_e32 v24, 3, v26
	v_cmp_eq_u32_e32 vcc, 0, v1
	v_cndmask_b32_e32 v1, v1, v22, vcc
	v_cndmask_b32_e32 v22, v23, v24, vcc
	v_lshlrev_b32_e32 v23, 8, v48
	v_and_b32_e32 v23, 0x80000000, v23
	v_lshl_add_u32 v1, v1, 23, v23
	v_lshl_or_b32 v1, v22, 21, v1
	v_add_u32_e32 v1, 0x38000000, v1
                                        ; implicit-def: $vgpr23
                                        ; implicit-def: $vgpr22
.LBB6_4551:                             ;   in Loop: Header=BB6_4475 Depth=2
	s_andn2_saveexec_b64 s[78:79], s[78:79]
; %bb.4552:                             ;   in Loop: Header=BB6_4475 Depth=2
	v_mov_b32_e32 v1, -1
	v_cmp_gt_i16_sdwa vcc, sext(v22), v1 src0_sel:BYTE_0 src1_sel:DWORD
	v_mov_b32_e32 v1, 0xff800000
	v_mov_b32_e32 v22, 0x7f800000
	v_cndmask_b32_e32 v1, v1, v22, vcc
	v_cmp_eq_u32_e32 vcc, 0, v23
	v_mov_b32_e32 v22, 0x7f800001
	v_cndmask_b32_e32 v1, v22, v1, vcc
; %bb.4553:                             ;   in Loop: Header=BB6_4475 Depth=2
	s_or_b64 exec, exec, s[78:79]
.LBB6_4554:                             ;   in Loop: Header=BB6_4475 Depth=2
	s_or_b64 exec, exec, s[76:77]
.LBB6_4555:                             ;   in Loop: Header=BB6_4475 Depth=2
	s_or_b64 exec, exec, s[18:19]
	v_lshrrev_b32_e32 v22, 16, v36
	v_cmp_ne_u16_sdwa s[76:77], v22, v28 src0_sel:BYTE_0 src1_sel:DWORD
	s_and_saveexec_b64 s[18:19], s[76:77]
	s_cbranch_execz .LBB6_4563
; %bb.4556:                             ;   in Loop: Header=BB6_4475 Depth=2
	v_cmp_ne_u16_sdwa s[78:79], v22, s52 src0_sel:BYTE_0 src1_sel:DWORD
	v_bfrev_b32_e32 v0, 1
	s_and_saveexec_b64 s[76:77], s[78:79]
	s_cbranch_execz .LBB6_4562
; %bb.4557:                             ;   in Loop: Header=BB6_4475 Depth=2
	v_and_b32_e32 v0, 0x7c0000, v36
	v_bfe_u32 v23, v36, 16, 2
	v_cmp_ne_u32_e32 vcc, s55, v0
                                        ; implicit-def: $vgpr0
	s_and_saveexec_b64 s[78:79], vcc
	s_xor_b64 s[78:79], exec, s[78:79]
	s_cbranch_execz .LBB6_4559
; %bb.4558:                             ;   in Loop: Header=BB6_4475 Depth=2
	v_ffbh_u32_e32 v24, v23
	v_min_u32_e32 v24, 32, v24
	v_subrev_u32_e32 v26, 29, v24
	v_lshlrev_b64 v[26:27], v26, v[22:23]
	v_bfe_u32 v0, v36, 18, 5
	v_sub_u32_e32 v22, 30, v24
	v_and_b32_e32 v24, 3, v26
	v_cmp_eq_u32_e32 vcc, 0, v0
	v_cndmask_b32_e32 v0, v0, v22, vcc
	v_cndmask_b32_e32 v22, v23, v24, vcc
	v_lshlrev_b32_e32 v23, 8, v36
	v_and_b32_e32 v23, 0x80000000, v23
	v_lshl_add_u32 v0, v0, 23, v23
	v_lshl_or_b32 v0, v22, 21, v0
	v_add_u32_e32 v0, 0x38000000, v0
                                        ; implicit-def: $vgpr23
                                        ; implicit-def: $vgpr22
.LBB6_4559:                             ;   in Loop: Header=BB6_4475 Depth=2
	s_andn2_saveexec_b64 s[78:79], s[78:79]
; %bb.4560:                             ;   in Loop: Header=BB6_4475 Depth=2
	v_mov_b32_e32 v0, -1
	v_cmp_gt_i16_sdwa vcc, sext(v22), v0 src0_sel:BYTE_0 src1_sel:DWORD
	v_mov_b32_e32 v0, 0xff800000
	v_mov_b32_e32 v22, 0x7f800000
	v_cndmask_b32_e32 v0, v0, v22, vcc
	v_cmp_eq_u32_e32 vcc, 0, v23
	v_mov_b32_e32 v22, 0x7f800001
	v_cndmask_b32_e32 v0, v22, v0, vcc
; %bb.4561:                             ;   in Loop: Header=BB6_4475 Depth=2
	s_or_b64 exec, exec, s[78:79]
.LBB6_4562:                             ;   in Loop: Header=BB6_4475 Depth=2
	s_or_b64 exec, exec, s[76:77]
.LBB6_4563:                             ;   in Loop: Header=BB6_4475 Depth=2
	s_or_b64 exec, exec, s[18:19]
	v_mul_f32_e32 v1, v1, v0
	v_and_b32_e32 v22, 0x7f800000, v1
	v_mov_b32_e32 v23, v28
	v_cmp_ne_u64_e32 vcc, s[58:59], v[22:23]
	v_and_b32_e32 v27, 0x7fffff, v1
                                        ; implicit-def: $vgpr0
                                        ; kill: killed $vgpr0
	s_and_saveexec_b64 s[18:19], vcc
	s_xor_b64 s[76:77], exec, s[18:19]
	s_cbranch_execz .LBB6_4577
; %bb.4564:                             ;   in Loop: Header=BB6_4475 Depth=2
	v_and_b32_e32 v22, 0x7fffffff, v1
	v_mov_b32_e32 v23, v28
	v_cmp_gt_u64_e32 vcc, s[60:61], v[22:23]
	v_and_b32_sdwa v0, v1, s52 dst_sel:DWORD dst_unused:UNUSED_PAD src0_sel:BYTE_3 src1_sel:DWORD
                                        ; implicit-def: $vgpr22
                                        ; kill: killed $vgpr22
	s_and_saveexec_b64 s[18:19], vcc
	s_xor_b64 s[78:79], exec, s[18:19]
	s_cbranch_execz .LBB6_4574
; %bb.4565:                             ;   in Loop: Header=BB6_4475 Depth=2
	v_mov_b32_e32 v22, 0
	v_cmp_ne_u32_e32 vcc, 0, v1
	buffer_store_dword v22, off, s[0:3], s33 offset:92 ; 4-byte Folded Spill
	s_and_saveexec_b64 s[88:89], vcc
	s_cbranch_execz .LBB6_4573
; %bb.4566:                             ;   in Loop: Header=BB6_4475 Depth=2
	v_bfe_u32 v1, v1, 23, 8
	v_cmp_gt_u32_e64 s[18:19], s53, v1
	v_sub_u32_e32 v22, 0x71, v1
	v_cmp_eq_u32_e32 vcc, 0, v1
	v_cndmask_b32_e64 v22, 0, v22, s[18:19]
	v_mov_b32_e32 v24, 0x70
	v_cndmask_b32_e32 v26, v22, v24, vcc
	v_add_u32_e32 v24, 21, v26
	v_or_b32_e32 v23, 0x800000, v27
	v_lshlrev_b64 v[29:30], v24, -1
	v_cndmask_b32_e32 v22, v23, v27, vcc
	v_mov_b32_e32 v23, v28
	v_add_u32_e32 v24, 20, v26
	v_bfi_b32 v29, v29, 0, v22
	v_lshlrev_b64 v[40:41], v24, 1
	v_lshrrev_b64 v[22:23], v26, v[22:23]
	v_bfi_b32 v30, v30, 0, 0
	v_cmp_eq_u64_e64 s[18:19], v[29:30], v[40:41]
	v_mov_b32_e32 v24, v23
	v_mov_b32_e32 v23, v22
	s_and_saveexec_b64 s[90:91], s[18:19]
; %bb.4567:                             ;   in Loop: Header=BB6_4475 Depth=2
	v_bfe_u32 v23, v22, 21, 1
	v_add_co_u32_e64 v23, s[18:19], v22, v23
	v_add_co_u32_e64 v23, s[18:19], -1, v23
; %bb.4568:                             ;   in Loop: Header=BB6_4475 Depth=2
	s_or_b64 exec, exec, s[90:91]
	v_add_u32_e32 v1, 0xffffff81, v1
	v_mov_b32_e32 v24, 0xffffff82
	v_cndmask_b32_e32 v1, v1, v24, vcc
	v_lshrrev_b32_e32 v24, 23, v22
	v_add3_u32 v26, v26, v1, v24
	v_add_u32_e32 v24, 14, v26
	v_and_b32_e32 v1, 0x1fffff, v23
	v_add_u32_e32 v27, v1, v22
	v_cmp_ne_u32_e32 vcc, 0, v24
                                        ; implicit-def: $vgpr22_vgpr23
                                        ; implicit-def: $vgpr1
	s_and_saveexec_b64 s[18:19], vcc
	s_xor_b64 s[18:19], exec, s[18:19]
; %bb.4569:                             ;   in Loop: Header=BB6_4475 Depth=2
	v_cmp_lt_u64_e32 vcc, s[62:63], v[27:28]
	v_add_u32_e32 v1, 15, v26
	v_cndmask_b32_e64 v22, 0, 1, vcc
	v_cndmask_b32_e32 v1, v24, v1, vcc
	v_lshrrev_b64 v[22:23], v22, v[27:28]
; %bb.4570:                             ;   in Loop: Header=BB6_4475 Depth=2
	s_andn2_saveexec_b64 s[18:19], s[18:19]
; %bb.4571:                             ;   in Loop: Header=BB6_4475 Depth=2
	v_mov_b32_e32 v22, v27
	v_mov_b32_e32 v23, v28
	v_bfe_u32 v1, v27, 23, 1
; %bb.4572:                             ;   in Loop: Header=BB6_4475 Depth=2
	s_or_b64 exec, exec, s[18:19]
	v_lshrrev_b64 v[22:23], 21, v[22:23]
	v_cmp_gt_i32_e32 vcc, 32, v1
	v_cndmask_b32_e32 v23, 0, v23, vcc
	v_cndmask_b32_e32 v22, 3, v22, vcc
	v_cmp_eq_u32_e32 vcc, 0, v1
	v_min_i32_e32 v1, 31, v1
	v_cmp_eq_u64_e64 s[18:19], 0, v[22:23]
	v_lshlrev_b32_e32 v1, 2, v1
	v_and_b32_e32 v1, 0xfc, v1
	v_and_or_b32 v1, v22, 3, v1
	s_and_b64 s[18:19], vcc, s[18:19]
	v_cndmask_b32_e64 v1, v1, 0, s[18:19]
	v_or_b32_e32 v0, v1, v0
	buffer_store_dword v0, off, s[0:3], s33 offset:92 ; 4-byte Folded Spill
.LBB6_4573:                             ;   in Loop: Header=BB6_4475 Depth=2
	s_or_b64 exec, exec, s[88:89]
                                        ; implicit-def: $vgpr0
.LBB6_4574:                             ;   in Loop: Header=BB6_4475 Depth=2
	s_andn2_saveexec_b64 s[18:19], s[78:79]
	s_cbranch_execz .LBB6_4576
; %bb.4575:                             ;   in Loop: Header=BB6_4475 Depth=2
	v_or_b32_e32 v0, 0x7b, v0
	buffer_store_dword v0, off, s[0:3], s33 offset:92 ; 4-byte Folded Spill
.LBB6_4576:                             ;   in Loop: Header=BB6_4475 Depth=2
	s_or_b64 exec, exec, s[18:19]
                                        ; implicit-def: $vgpr1
.LBB6_4577:                             ;   in Loop: Header=BB6_4475 Depth=2
	s_andn2_saveexec_b64 s[18:19], s[76:77]
	s_cbranch_execz .LBB6_4583
; %bb.4578:                             ;   in Loop: Header=BB6_4475 Depth=2
	v_cmp_ne_u64_e32 vcc, 0, v[27:28]
                                        ; implicit-def: $vgpr0
                                        ; kill: killed $vgpr0
	s_and_saveexec_b64 s[76:77], vcc
	s_xor_b64 s[76:77], exec, s[76:77]
	s_cbranch_execz .LBB6_4580
; %bb.4579:                             ;   in Loop: Header=BB6_4475 Depth=2
	v_or_b32_sdwa v0, v1, s54 dst_sel:DWORD dst_unused:UNUSED_PAD src0_sel:BYTE_3 src1_sel:DWORD
	buffer_store_dword v0, off, s[0:3], s33 offset:92 ; 4-byte Folded Spill
                                        ; implicit-def: $vgpr1
.LBB6_4580:                             ;   in Loop: Header=BB6_4475 Depth=2
	s_andn2_saveexec_b64 s[76:77], s[76:77]
	s_cbranch_execz .LBB6_4582
; %bb.4581:                             ;   in Loop: Header=BB6_4475 Depth=2
	v_cmp_lt_i32_e32 vcc, -1, v1
	v_bfrev_b32_e32 v0, 0.5
	v_mov_b32_e32 v1, 0x7c
	v_cndmask_b32_e32 v0, v0, v1, vcc
	buffer_store_dword v0, off, s[0:3], s33 offset:92 ; 4-byte Folded Spill
.LBB6_4582:                             ;   in Loop: Header=BB6_4475 Depth=2
	s_or_b64 exec, exec, s[76:77]
.LBB6_4583:                             ;   in Loop: Header=BB6_4475 Depth=2
	s_or_b64 exec, exec, s[18:19]
	v_cmp_lt_u32_e32 vcc, s57, v48
	v_mov_b32_e32 v0, 0
	v_mov_b32_e32 v1, 0
	s_and_saveexec_b64 s[18:19], vcc
	s_cbranch_execz .LBB6_4591
; %bb.4584:                             ;   in Loop: Header=BB6_4475 Depth=2
	v_lshrrev_b32_e32 v22, 24, v48
	v_cmp_ne_u32_e32 vcc, s52, v22
	v_bfrev_b32_e32 v1, 1
	s_and_saveexec_b64 s[76:77], vcc
	s_cbranch_execz .LBB6_4590
; %bb.4585:                             ;   in Loop: Header=BB6_4475 Depth=2
	v_and_b32_e32 v1, 0x7c000000, v48
	v_bfe_u32 v23, v48, 24, 2
	v_cmp_ne_u32_e32 vcc, s64, v1
                                        ; implicit-def: $vgpr1
	s_and_saveexec_b64 s[78:79], vcc
	s_xor_b64 s[78:79], exec, s[78:79]
	s_cbranch_execz .LBB6_4587
; %bb.4586:                             ;   in Loop: Header=BB6_4475 Depth=2
	v_ffbh_u32_e32 v24, v23
	v_min_u32_e32 v24, 32, v24
	v_subrev_u32_e32 v26, 29, v24
	v_lshlrev_b64 v[26:27], v26, v[22:23]
	v_bfe_u32 v1, v48, 26, 5
	v_sub_u32_e32 v22, 30, v24
	v_and_b32_e32 v24, 3, v26
	v_cmp_eq_u32_e32 vcc, 0, v1
	v_cndmask_b32_e32 v1, v1, v22, vcc
	v_cndmask_b32_e32 v22, v23, v24, vcc
	v_and_b32_e32 v23, 0x80000000, v48
	v_lshl_add_u32 v1, v1, 23, v23
	v_lshl_or_b32 v1, v22, 21, v1
	v_add_u32_e32 v1, 0x38000000, v1
                                        ; implicit-def: $vgpr23
.LBB6_4587:                             ;   in Loop: Header=BB6_4475 Depth=2
	s_andn2_saveexec_b64 s[78:79], s[78:79]
; %bb.4588:                             ;   in Loop: Header=BB6_4475 Depth=2
	v_cmp_lt_i32_e32 vcc, -1, v48
	v_mov_b32_e32 v1, 0xff800000
	v_mov_b32_e32 v22, 0x7f800000
	v_cndmask_b32_e32 v1, v1, v22, vcc
	v_cmp_eq_u32_e32 vcc, 0, v23
	v_mov_b32_e32 v22, 0x7f800001
	v_cndmask_b32_e32 v1, v22, v1, vcc
; %bb.4589:                             ;   in Loop: Header=BB6_4475 Depth=2
	s_or_b64 exec, exec, s[78:79]
.LBB6_4590:                             ;   in Loop: Header=BB6_4475 Depth=2
	s_or_b64 exec, exec, s[76:77]
.LBB6_4591:                             ;   in Loop: Header=BB6_4475 Depth=2
	s_or_b64 exec, exec, s[18:19]
	v_cmp_lt_u32_e32 vcc, s57, v36
	s_and_saveexec_b64 s[18:19], vcc
	s_cbranch_execz .LBB6_4599
; %bb.4592:                             ;   in Loop: Header=BB6_4475 Depth=2
	v_lshrrev_b32_e32 v22, 24, v36
	v_cmp_ne_u32_e32 vcc, s52, v22
	v_bfrev_b32_e32 v0, 1
	s_and_saveexec_b64 s[76:77], vcc
	s_cbranch_execz .LBB6_4598
; %bb.4593:                             ;   in Loop: Header=BB6_4475 Depth=2
	v_and_b32_e32 v0, 0x7c000000, v36
	v_bfe_u32 v23, v36, 24, 2
	v_cmp_ne_u32_e32 vcc, s64, v0
                                        ; implicit-def: $vgpr0
	s_and_saveexec_b64 s[78:79], vcc
	s_xor_b64 s[78:79], exec, s[78:79]
	s_cbranch_execz .LBB6_4595
; %bb.4594:                             ;   in Loop: Header=BB6_4475 Depth=2
	v_ffbh_u32_e32 v24, v23
	v_min_u32_e32 v24, 32, v24
	v_subrev_u32_e32 v26, 29, v24
	v_lshlrev_b64 v[26:27], v26, v[22:23]
	v_bfe_u32 v0, v36, 26, 5
	v_sub_u32_e32 v22, 30, v24
	v_and_b32_e32 v24, 3, v26
	v_cmp_eq_u32_e32 vcc, 0, v0
	v_cndmask_b32_e32 v0, v0, v22, vcc
	v_cndmask_b32_e32 v22, v23, v24, vcc
	v_and_b32_e32 v23, 0x80000000, v36
	v_lshl_add_u32 v0, v0, 23, v23
	v_lshl_or_b32 v0, v22, 21, v0
	v_add_u32_e32 v0, 0x38000000, v0
                                        ; implicit-def: $vgpr23
.LBB6_4595:                             ;   in Loop: Header=BB6_4475 Depth=2
	s_andn2_saveexec_b64 s[78:79], s[78:79]
; %bb.4596:                             ;   in Loop: Header=BB6_4475 Depth=2
	v_cmp_lt_i32_e32 vcc, -1, v36
	v_mov_b32_e32 v0, 0xff800000
	v_mov_b32_e32 v22, 0x7f800000
	v_cndmask_b32_e32 v0, v0, v22, vcc
	v_cmp_eq_u32_e32 vcc, 0, v23
	v_mov_b32_e32 v22, 0x7f800001
	v_cndmask_b32_e32 v0, v22, v0, vcc
; %bb.4597:                             ;   in Loop: Header=BB6_4475 Depth=2
	s_or_b64 exec, exec, s[78:79]
.LBB6_4598:                             ;   in Loop: Header=BB6_4475 Depth=2
	s_or_b64 exec, exec, s[76:77]
.LBB6_4599:                             ;   in Loop: Header=BB6_4475 Depth=2
	s_or_b64 exec, exec, s[18:19]
	v_mul_f32_e32 v1, v1, v0
	v_and_b32_e32 v22, 0x7f800000, v1
	v_mov_b32_e32 v23, v28
	v_cmp_ne_u64_e32 vcc, s[58:59], v[22:23]
	v_and_b32_e32 v27, 0x7fffff, v1
                                        ; implicit-def: $vgpr0
                                        ; kill: killed $vgpr0
	s_and_saveexec_b64 s[18:19], vcc
	s_xor_b64 s[76:77], exec, s[18:19]
	s_cbranch_execz .LBB6_4613
; %bb.4600:                             ;   in Loop: Header=BB6_4475 Depth=2
	v_and_b32_e32 v22, 0x7fffffff, v1
	v_mov_b32_e32 v23, v28
	v_cmp_gt_u64_e32 vcc, s[60:61], v[22:23]
	v_and_b32_sdwa v0, v1, s52 dst_sel:DWORD dst_unused:UNUSED_PAD src0_sel:BYTE_3 src1_sel:DWORD
                                        ; implicit-def: $vgpr22
                                        ; kill: killed $vgpr22
	s_and_saveexec_b64 s[18:19], vcc
	s_xor_b64 s[78:79], exec, s[18:19]
	s_cbranch_execz .LBB6_4610
; %bb.4601:                             ;   in Loop: Header=BB6_4475 Depth=2
	v_mov_b32_e32 v22, 0
	v_cmp_ne_u32_e32 vcc, 0, v1
	buffer_store_dword v22, off, s[0:3], s33 offset:100 ; 4-byte Folded Spill
	s_and_saveexec_b64 s[88:89], vcc
	s_cbranch_execz .LBB6_4609
; %bb.4602:                             ;   in Loop: Header=BB6_4475 Depth=2
	v_bfe_u32 v1, v1, 23, 8
	v_cmp_gt_u32_e64 s[18:19], s53, v1
	v_sub_u32_e32 v22, 0x71, v1
	v_cmp_eq_u32_e32 vcc, 0, v1
	v_cndmask_b32_e64 v22, 0, v22, s[18:19]
	v_mov_b32_e32 v24, 0x70
	v_cndmask_b32_e32 v26, v22, v24, vcc
	v_add_u32_e32 v24, 21, v26
	v_or_b32_e32 v23, 0x800000, v27
	v_lshlrev_b64 v[29:30], v24, -1
	v_cndmask_b32_e32 v22, v23, v27, vcc
	v_mov_b32_e32 v23, v28
	v_add_u32_e32 v24, 20, v26
	v_bfi_b32 v29, v29, 0, v22
	v_lshlrev_b64 v[40:41], v24, 1
	v_lshrrev_b64 v[22:23], v26, v[22:23]
	v_bfi_b32 v30, v30, 0, 0
	v_cmp_eq_u64_e64 s[18:19], v[29:30], v[40:41]
	v_mov_b32_e32 v24, v23
	v_mov_b32_e32 v23, v22
	s_and_saveexec_b64 s[90:91], s[18:19]
; %bb.4603:                             ;   in Loop: Header=BB6_4475 Depth=2
	v_bfe_u32 v23, v22, 21, 1
	v_add_co_u32_e64 v23, s[18:19], v22, v23
	v_add_co_u32_e64 v23, s[18:19], -1, v23
; %bb.4604:                             ;   in Loop: Header=BB6_4475 Depth=2
	s_or_b64 exec, exec, s[90:91]
	v_add_u32_e32 v1, 0xffffff81, v1
	v_mov_b32_e32 v24, 0xffffff82
	v_cndmask_b32_e32 v1, v1, v24, vcc
	v_lshrrev_b32_e32 v24, 23, v22
	v_add3_u32 v26, v26, v1, v24
	v_add_u32_e32 v24, 14, v26
	v_and_b32_e32 v1, 0x1fffff, v23
	v_add_u32_e32 v27, v1, v22
	v_cmp_ne_u32_e32 vcc, 0, v24
                                        ; implicit-def: $vgpr22_vgpr23
                                        ; implicit-def: $vgpr1
	s_and_saveexec_b64 s[18:19], vcc
	s_xor_b64 s[18:19], exec, s[18:19]
; %bb.4605:                             ;   in Loop: Header=BB6_4475 Depth=2
	v_cmp_lt_u64_e32 vcc, s[62:63], v[27:28]
	v_add_u32_e32 v1, 15, v26
	v_cndmask_b32_e64 v22, 0, 1, vcc
	v_cndmask_b32_e32 v1, v24, v1, vcc
	v_lshrrev_b64 v[22:23], v22, v[27:28]
; %bb.4606:                             ;   in Loop: Header=BB6_4475 Depth=2
	s_andn2_saveexec_b64 s[18:19], s[18:19]
; %bb.4607:                             ;   in Loop: Header=BB6_4475 Depth=2
	v_mov_b32_e32 v22, v27
	v_mov_b32_e32 v23, v28
	v_bfe_u32 v1, v27, 23, 1
; %bb.4608:                             ;   in Loop: Header=BB6_4475 Depth=2
	s_or_b64 exec, exec, s[18:19]
	v_lshrrev_b64 v[22:23], 21, v[22:23]
	v_cmp_gt_i32_e32 vcc, 32, v1
	v_cndmask_b32_e32 v23, 0, v23, vcc
	v_cndmask_b32_e32 v22, 3, v22, vcc
	v_cmp_eq_u32_e32 vcc, 0, v1
	v_min_i32_e32 v1, 31, v1
	v_cmp_eq_u64_e64 s[18:19], 0, v[22:23]
	v_lshlrev_b32_e32 v1, 2, v1
	v_and_b32_e32 v1, 0xfc, v1
	v_and_or_b32 v1, v22, 3, v1
	s_and_b64 s[18:19], vcc, s[18:19]
	v_cndmask_b32_e64 v1, v1, 0, s[18:19]
	v_or_b32_e32 v0, v1, v0
	buffer_store_dword v0, off, s[0:3], s33 offset:100 ; 4-byte Folded Spill
.LBB6_4609:                             ;   in Loop: Header=BB6_4475 Depth=2
	s_or_b64 exec, exec, s[88:89]
                                        ; implicit-def: $vgpr0
.LBB6_4610:                             ;   in Loop: Header=BB6_4475 Depth=2
	s_andn2_saveexec_b64 s[18:19], s[78:79]
	s_cbranch_execz .LBB6_4612
; %bb.4611:                             ;   in Loop: Header=BB6_4475 Depth=2
	v_or_b32_e32 v0, 0x7b, v0
	buffer_store_dword v0, off, s[0:3], s33 offset:100 ; 4-byte Folded Spill
.LBB6_4612:                             ;   in Loop: Header=BB6_4475 Depth=2
	s_or_b64 exec, exec, s[18:19]
                                        ; implicit-def: $vgpr1
.LBB6_4613:                             ;   in Loop: Header=BB6_4475 Depth=2
	s_andn2_saveexec_b64 s[18:19], s[76:77]
	s_cbranch_execz .LBB6_4619
; %bb.4614:                             ;   in Loop: Header=BB6_4475 Depth=2
	v_cmp_ne_u64_e32 vcc, 0, v[27:28]
                                        ; implicit-def: $vgpr0
                                        ; kill: killed $vgpr0
	s_and_saveexec_b64 s[76:77], vcc
	s_xor_b64 s[76:77], exec, s[76:77]
	s_cbranch_execz .LBB6_4616
; %bb.4615:                             ;   in Loop: Header=BB6_4475 Depth=2
	v_or_b32_sdwa v0, v1, s54 dst_sel:DWORD dst_unused:UNUSED_PAD src0_sel:BYTE_3 src1_sel:DWORD
	buffer_store_dword v0, off, s[0:3], s33 offset:100 ; 4-byte Folded Spill
                                        ; implicit-def: $vgpr1
.LBB6_4616:                             ;   in Loop: Header=BB6_4475 Depth=2
	s_andn2_saveexec_b64 s[76:77], s[76:77]
	s_cbranch_execz .LBB6_4618
; %bb.4617:                             ;   in Loop: Header=BB6_4475 Depth=2
	v_cmp_lt_i32_e32 vcc, -1, v1
	v_bfrev_b32_e32 v0, 0.5
	v_mov_b32_e32 v1, 0x7c
	v_cndmask_b32_e32 v0, v0, v1, vcc
	buffer_store_dword v0, off, s[0:3], s33 offset:100 ; 4-byte Folded Spill
.LBB6_4618:                             ;   in Loop: Header=BB6_4475 Depth=2
	s_or_b64 exec, exec, s[76:77]
.LBB6_4619:                             ;   in Loop: Header=BB6_4475 Depth=2
	s_or_b64 exec, exec, s[18:19]
	v_mov_b32_e32 v27, v49
	v_cmp_ne_u16_sdwa s[76:77], v49, v28 src0_sel:BYTE_0 src1_sel:DWORD
	v_mov_b32_e32 v1, 0
	v_mov_b32_e32 v0, 0
	s_and_saveexec_b64 s[18:19], s[76:77]
	s_cbranch_execz .LBB6_4627
; %bb.4620:                             ;   in Loop: Header=BB6_4475 Depth=2
	v_cmp_ne_u16_sdwa s[78:79], v49, s52 src0_sel:BYTE_0 src1_sel:DWORD
	v_bfrev_b32_e32 v0, 1
	s_and_saveexec_b64 s[76:77], s[78:79]
	s_cbranch_execz .LBB6_4626
; %bb.4621:                             ;   in Loop: Header=BB6_4475 Depth=2
	v_and_b32_e32 v0, 0x7c, v49
	v_and_b32_e32 v22, 3, v49
	v_cmp_ne_u32_e32 vcc, s50, v0
                                        ; implicit-def: $vgpr0
	s_and_saveexec_b64 s[78:79], vcc
	s_xor_b64 s[78:79], exec, s[78:79]
	s_cbranch_execz .LBB6_4623
; %bb.4622:                             ;   in Loop: Header=BB6_4475 Depth=2
	v_ffbh_u32_e32 v23, v22
	v_min_u32_e32 v26, 32, v23
	v_subrev_u32_e32 v23, 29, v26
	v_lshlrev_b64 v[23:24], v23, v[27:28]
	v_bfe_u32 v0, v49, 2, 5
	v_and_b32_e32 v23, 3, v23
	v_cmp_eq_u32_e32 vcc, 0, v0
	v_sub_u32_e32 v24, 30, v26
	v_cndmask_b32_e32 v22, v22, v23, vcc
	v_lshlrev_b32_e32 v23, 24, v49
	v_cndmask_b32_e32 v0, v0, v24, vcc
	v_and_b32_e32 v23, 0x80000000, v23
	v_lshl_add_u32 v0, v0, 23, v23
	v_lshl_or_b32 v0, v22, 21, v0
	v_add_u32_e32 v0, 0x38000000, v0
                                        ; implicit-def: $vgpr22
.LBB6_4623:                             ;   in Loop: Header=BB6_4475 Depth=2
	s_andn2_saveexec_b64 s[78:79], s[78:79]
; %bb.4624:                             ;   in Loop: Header=BB6_4475 Depth=2
	v_mov_b32_e32 v0, -1
	v_cmp_gt_i16_sdwa vcc, sext(v49), v0 src0_sel:BYTE_0 src1_sel:DWORD
	v_mov_b32_e32 v0, 0xff800000
	v_mov_b32_e32 v23, 0x7f800000
	v_cndmask_b32_e32 v0, v0, v23, vcc
	v_cmp_eq_u32_e32 vcc, 0, v22
	v_mov_b32_e32 v22, 0x7f800001
	v_cndmask_b32_e32 v0, v22, v0, vcc
; %bb.4625:                             ;   in Loop: Header=BB6_4475 Depth=2
	s_or_b64 exec, exec, s[78:79]
.LBB6_4626:                             ;   in Loop: Header=BB6_4475 Depth=2
	s_or_b64 exec, exec, s[76:77]
.LBB6_4627:                             ;   in Loop: Header=BB6_4475 Depth=2
	s_or_b64 exec, exec, s[18:19]
	v_cmp_ne_u16_sdwa s[76:77], v37, v28 src0_sel:BYTE_0 src1_sel:DWORD
	s_and_saveexec_b64 s[18:19], s[76:77]
	s_cbranch_execz .LBB6_4635
; %bb.4628:                             ;   in Loop: Header=BB6_4475 Depth=2
	v_cmp_ne_u16_sdwa s[78:79], v37, s52 src0_sel:BYTE_0 src1_sel:DWORD
	v_bfrev_b32_e32 v1, 1
	s_and_saveexec_b64 s[76:77], s[78:79]
	s_cbranch_execz .LBB6_4634
; %bb.4629:                             ;   in Loop: Header=BB6_4475 Depth=2
	v_and_b32_e32 v1, 0x7c, v37
	v_and_b32_e32 v22, 3, v37
	v_cmp_ne_u32_e32 vcc, s50, v1
                                        ; implicit-def: $vgpr1
	s_and_saveexec_b64 s[78:79], vcc
	s_xor_b64 s[78:79], exec, s[78:79]
	s_cbranch_execz .LBB6_4631
; %bb.4630:                             ;   in Loop: Header=BB6_4475 Depth=2
	v_ffbh_u32_e32 v26, v22
	v_min_u32_e32 v26, 32, v26
	v_mov_b32_e32 v23, v37
	v_mov_b32_e32 v24, v28
	v_subrev_u32_e32 v29, 29, v26
	v_lshlrev_b64 v[23:24], v29, v[23:24]
	v_bfe_u32 v1, v37, 2, 5
	v_and_b32_e32 v23, 3, v23
	v_cmp_eq_u32_e32 vcc, 0, v1
	v_sub_u32_e32 v24, 30, v26
	v_cndmask_b32_e32 v22, v22, v23, vcc
	v_lshlrev_b32_e32 v23, 24, v37
	v_cndmask_b32_e32 v1, v1, v24, vcc
	v_and_b32_e32 v23, 0x80000000, v23
	v_lshl_add_u32 v1, v1, 23, v23
	v_lshl_or_b32 v1, v22, 21, v1
	v_add_u32_e32 v1, 0x38000000, v1
                                        ; implicit-def: $vgpr22
.LBB6_4631:                             ;   in Loop: Header=BB6_4475 Depth=2
	s_andn2_saveexec_b64 s[78:79], s[78:79]
; %bb.4632:                             ;   in Loop: Header=BB6_4475 Depth=2
	v_mov_b32_e32 v1, -1
	v_cmp_gt_i16_sdwa vcc, sext(v37), v1 src0_sel:BYTE_0 src1_sel:DWORD
	v_mov_b32_e32 v1, 0xff800000
	v_mov_b32_e32 v23, 0x7f800000
	v_cndmask_b32_e32 v1, v1, v23, vcc
	v_cmp_eq_u32_e32 vcc, 0, v22
	v_mov_b32_e32 v22, 0x7f800001
	v_cndmask_b32_e32 v1, v22, v1, vcc
; %bb.4633:                             ;   in Loop: Header=BB6_4475 Depth=2
	s_or_b64 exec, exec, s[78:79]
.LBB6_4634:                             ;   in Loop: Header=BB6_4475 Depth=2
	s_or_b64 exec, exec, s[76:77]
.LBB6_4635:                             ;   in Loop: Header=BB6_4475 Depth=2
	s_or_b64 exec, exec, s[18:19]
	v_mul_f32_e32 v1, v0, v1
	v_and_b32_e32 v23, 0x7f800000, v1
	v_mov_b32_e32 v24, v28
	v_cmp_ne_u64_e32 vcc, s[58:59], v[23:24]
	v_and_b32_e32 v22, 0x7fffff, v1
	v_mov_b32_e32 v23, v28
                                        ; implicit-def: $vgpr0
                                        ; kill: killed $vgpr0
	s_and_saveexec_b64 s[18:19], vcc
	s_xor_b64 s[76:77], exec, s[18:19]
	s_cbranch_execz .LBB6_4649
; %bb.4636:                             ;   in Loop: Header=BB6_4475 Depth=2
	v_and_b32_e32 v29, 0x7fffffff, v1
	v_mov_b32_e32 v30, v28
	v_cmp_gt_u64_e32 vcc, s[60:61], v[29:30]
	v_and_b32_sdwa v0, v1, s52 dst_sel:DWORD dst_unused:UNUSED_PAD src0_sel:BYTE_3 src1_sel:DWORD
                                        ; implicit-def: $vgpr24
                                        ; kill: killed $vgpr24
	s_and_saveexec_b64 s[18:19], vcc
	s_xor_b64 s[78:79], exec, s[18:19]
	s_cbranch_execz .LBB6_4646
; %bb.4637:                             ;   in Loop: Header=BB6_4475 Depth=2
	v_mov_b32_e32 v24, 0
	v_cmp_ne_u32_e32 vcc, 0, v1
	buffer_store_dword v24, off, s[0:3], s33 offset:108 ; 4-byte Folded Spill
	s_and_saveexec_b64 s[88:89], vcc
	s_cbranch_execz .LBB6_4645
; %bb.4638:                             ;   in Loop: Header=BB6_4475 Depth=2
	v_bfe_u32 v1, v1, 23, 8
	v_cmp_gt_u32_e64 s[18:19], s53, v1
	v_sub_u32_e32 v24, 0x71, v1
	v_cmp_eq_u32_e32 vcc, 0, v1
	v_cndmask_b32_e64 v24, 0, v24, s[18:19]
	v_mov_b32_e32 v26, 0x70
	v_cndmask_b32_e32 v26, v24, v26, vcc
	v_or_b32_e32 v29, 0x800000, v22
	v_add_u32_e32 v24, 21, v26
	v_cndmask_b32_e32 v22, v29, v22, vcc
	v_lshlrev_b64 v[29:30], v24, -1
	v_add_u32_e32 v24, 20, v26
	v_bfi_b32 v29, v29, 0, v22
	v_lshlrev_b64 v[40:41], v24, 1
	v_lshrrev_b64 v[22:23], v26, v[22:23]
	v_bfi_b32 v30, v30, 0, 0
	v_cmp_eq_u64_e64 s[18:19], v[29:30], v[40:41]
	v_mov_b32_e32 v24, v23
	v_mov_b32_e32 v23, v22
	s_and_saveexec_b64 s[90:91], s[18:19]
; %bb.4639:                             ;   in Loop: Header=BB6_4475 Depth=2
	v_bfe_u32 v23, v22, 21, 1
	v_add_co_u32_e64 v23, s[18:19], v22, v23
	v_add_co_u32_e64 v23, s[18:19], -1, v23
; %bb.4640:                             ;   in Loop: Header=BB6_4475 Depth=2
	s_or_b64 exec, exec, s[90:91]
	v_add_u32_e32 v1, 0xffffff81, v1
	v_mov_b32_e32 v24, 0xffffff82
	v_cndmask_b32_e32 v1, v1, v24, vcc
	v_lshrrev_b32_e32 v24, 23, v22
	v_add3_u32 v26, v26, v1, v24
	v_add_u32_e32 v24, 14, v26
	v_and_b32_e32 v1, 0x1fffff, v23
	v_add_u32_e32 v22, v1, v22
	v_mov_b32_e32 v23, v28
	v_cmp_ne_u32_e32 vcc, 0, v24
                                        ; implicit-def: $vgpr1
	s_and_saveexec_b64 s[18:19], vcc
	s_xor_b64 s[18:19], exec, s[18:19]
; %bb.4641:                             ;   in Loop: Header=BB6_4475 Depth=2
	v_cmp_lt_u64_e32 vcc, s[62:63], v[22:23]
	v_add_u32_e32 v1, 15, v26
	v_cndmask_b32_e32 v1, v24, v1, vcc
	v_cndmask_b32_e64 v24, 0, 1, vcc
	v_lshrrev_b64 v[22:23], v24, v[22:23]
; %bb.4642:                             ;   in Loop: Header=BB6_4475 Depth=2
	s_andn2_saveexec_b64 s[18:19], s[18:19]
; %bb.4643:                             ;   in Loop: Header=BB6_4475 Depth=2
	v_bfe_u32 v1, v22, 23, 1
; %bb.4644:                             ;   in Loop: Header=BB6_4475 Depth=2
	s_or_b64 exec, exec, s[18:19]
	v_lshrrev_b64 v[22:23], 21, v[22:23]
	v_cmp_gt_i32_e32 vcc, 32, v1
	v_cndmask_b32_e32 v23, 0, v23, vcc
	v_cndmask_b32_e32 v22, 3, v22, vcc
	v_cmp_eq_u32_e32 vcc, 0, v1
	v_min_i32_e32 v1, 31, v1
	v_cmp_eq_u64_e64 s[18:19], 0, v[22:23]
	v_lshlrev_b32_e32 v1, 2, v1
	v_and_b32_e32 v1, 0xfc, v1
	v_and_or_b32 v1, v22, 3, v1
	s_and_b64 s[18:19], vcc, s[18:19]
	v_cndmask_b32_e64 v1, v1, 0, s[18:19]
	v_or_b32_e32 v0, v1, v0
	buffer_store_dword v0, off, s[0:3], s33 offset:108 ; 4-byte Folded Spill
.LBB6_4645:                             ;   in Loop: Header=BB6_4475 Depth=2
	s_or_b64 exec, exec, s[88:89]
                                        ; implicit-def: $vgpr0
.LBB6_4646:                             ;   in Loop: Header=BB6_4475 Depth=2
	s_andn2_saveexec_b64 s[18:19], s[78:79]
	s_cbranch_execz .LBB6_4648
; %bb.4647:                             ;   in Loop: Header=BB6_4475 Depth=2
	v_or_b32_e32 v0, 0x7b, v0
	buffer_store_dword v0, off, s[0:3], s33 offset:108 ; 4-byte Folded Spill
.LBB6_4648:                             ;   in Loop: Header=BB6_4475 Depth=2
	s_or_b64 exec, exec, s[18:19]
                                        ; implicit-def: $vgpr1
                                        ; implicit-def: $vgpr22_vgpr23
.LBB6_4649:                             ;   in Loop: Header=BB6_4475 Depth=2
	s_andn2_saveexec_b64 s[18:19], s[76:77]
	s_cbranch_execz .LBB6_4655
; %bb.4650:                             ;   in Loop: Header=BB6_4475 Depth=2
	v_cmp_ne_u64_e32 vcc, 0, v[22:23]
                                        ; implicit-def: $vgpr0
                                        ; kill: killed $vgpr0
	s_and_saveexec_b64 s[76:77], vcc
	s_xor_b64 s[76:77], exec, s[76:77]
	s_cbranch_execz .LBB6_4652
; %bb.4651:                             ;   in Loop: Header=BB6_4475 Depth=2
	v_or_b32_sdwa v0, v1, s54 dst_sel:DWORD dst_unused:UNUSED_PAD src0_sel:BYTE_3 src1_sel:DWORD
	buffer_store_dword v0, off, s[0:3], s33 offset:108 ; 4-byte Folded Spill
                                        ; implicit-def: $vgpr1
.LBB6_4652:                             ;   in Loop: Header=BB6_4475 Depth=2
	s_andn2_saveexec_b64 s[76:77], s[76:77]
	s_cbranch_execz .LBB6_4654
; %bb.4653:                             ;   in Loop: Header=BB6_4475 Depth=2
	v_cmp_lt_i32_e32 vcc, -1, v1
	v_bfrev_b32_e32 v0, 0.5
	v_mov_b32_e32 v1, 0x7c
	v_cndmask_b32_e32 v0, v0, v1, vcc
	buffer_store_dword v0, off, s[0:3], s33 offset:108 ; 4-byte Folded Spill
.LBB6_4654:                             ;   in Loop: Header=BB6_4475 Depth=2
	s_or_b64 exec, exec, s[76:77]
.LBB6_4655:                             ;   in Loop: Header=BB6_4475 Depth=2
	s_or_b64 exec, exec, s[18:19]
	v_lshrrev_b16_e32 v22, 8, v27
	v_cmp_ne_u16_e32 vcc, 0, v22
	v_mov_b32_e32 v0, 0
	v_mov_b32_e32 v1, 0
	s_and_saveexec_b64 s[18:19], vcc
	s_cbranch_execz .LBB6_4663
; %bb.4656:                             ;   in Loop: Header=BB6_4475 Depth=2
	v_cmp_ne_u16_e32 vcc, s52, v22
	v_bfrev_b32_e32 v1, 1
	s_and_saveexec_b64 s[76:77], vcc
	s_cbranch_execz .LBB6_4662
; %bb.4657:                             ;   in Loop: Header=BB6_4475 Depth=2
	v_and_b32_e32 v1, 0x7c, v22
	v_and_b32_e32 v24, 3, v22
	v_cmp_ne_u32_e32 vcc, s50, v1
                                        ; implicit-def: $vgpr1
	s_and_saveexec_b64 s[78:79], vcc
	s_xor_b64 s[78:79], exec, s[78:79]
	s_cbranch_execz .LBB6_4659
; %bb.4658:                             ;   in Loop: Header=BB6_4475 Depth=2
	v_ffbh_u32_e32 v26, v24
	v_min_u32_e32 v26, 32, v26
	v_mov_b32_e32 v23, v28
	v_subrev_u32_e32 v29, 29, v26
	v_bfe_u32 v1, v22, 2, 5
	v_lshlrev_b64 v[22:23], v29, v[22:23]
	v_sub_u32_e32 v23, 30, v26
	v_cmp_eq_u32_e32 vcc, 0, v1
	v_cndmask_b32_e32 v1, v1, v23, vcc
	v_lshlrev_b32_e32 v23, 16, v27
	v_and_b32_e32 v22, 3, v22
	v_and_b32_e32 v23, 0x80000000, v23
	v_cndmask_b32_e32 v22, v24, v22, vcc
	v_lshl_add_u32 v1, v1, 23, v23
	v_lshl_or_b32 v1, v22, 21, v1
	v_add_u32_e32 v1, 0x38000000, v1
                                        ; implicit-def: $vgpr24
.LBB6_4659:                             ;   in Loop: Header=BB6_4475 Depth=2
	s_andn2_saveexec_b64 s[78:79], s[78:79]
; %bb.4660:                             ;   in Loop: Header=BB6_4475 Depth=2
	v_cmp_lt_i16_e32 vcc, -1, v27
	v_mov_b32_e32 v1, 0xff800000
	v_mov_b32_e32 v22, 0x7f800000
	v_cndmask_b32_e32 v1, v1, v22, vcc
	v_cmp_eq_u32_e32 vcc, 0, v24
	v_mov_b32_e32 v22, 0x7f800001
	v_cndmask_b32_e32 v1, v22, v1, vcc
; %bb.4661:                             ;   in Loop: Header=BB6_4475 Depth=2
	s_or_b64 exec, exec, s[78:79]
.LBB6_4662:                             ;   in Loop: Header=BB6_4475 Depth=2
	s_or_b64 exec, exec, s[76:77]
.LBB6_4663:                             ;   in Loop: Header=BB6_4475 Depth=2
	s_or_b64 exec, exec, s[18:19]
	v_lshrrev_b16_e32 v22, 8, v37
	v_cmp_ne_u16_e32 vcc, 0, v22
	s_and_saveexec_b64 s[18:19], vcc
	s_cbranch_execz .LBB6_4671
; %bb.4664:                             ;   in Loop: Header=BB6_4475 Depth=2
	v_cmp_ne_u16_e32 vcc, s52, v22
	v_bfrev_b32_e32 v0, 1
	s_and_saveexec_b64 s[76:77], vcc
	s_cbranch_execz .LBB6_4670
; %bb.4665:                             ;   in Loop: Header=BB6_4475 Depth=2
	v_and_b32_e32 v0, 0x7c, v22
	v_and_b32_e32 v24, 3, v22
	v_cmp_ne_u32_e32 vcc, s50, v0
                                        ; implicit-def: $vgpr0
	s_and_saveexec_b64 s[78:79], vcc
	s_xor_b64 s[78:79], exec, s[78:79]
	s_cbranch_execz .LBB6_4667
; %bb.4666:                             ;   in Loop: Header=BB6_4475 Depth=2
	v_ffbh_u32_e32 v26, v24
	v_min_u32_e32 v26, 32, v26
	v_mov_b32_e32 v23, v28
	v_subrev_u32_e32 v27, 29, v26
	v_bfe_u32 v0, v22, 2, 5
	v_lshlrev_b64 v[22:23], v27, v[22:23]
	v_sub_u32_e32 v23, 30, v26
	v_cmp_eq_u32_e32 vcc, 0, v0
	v_cndmask_b32_e32 v0, v0, v23, vcc
	v_lshlrev_b32_e32 v23, 16, v37
	v_and_b32_e32 v22, 3, v22
	v_and_b32_e32 v23, 0x80000000, v23
	v_cndmask_b32_e32 v22, v24, v22, vcc
	v_lshl_add_u32 v0, v0, 23, v23
	v_lshl_or_b32 v0, v22, 21, v0
	v_add_u32_e32 v0, 0x38000000, v0
                                        ; implicit-def: $vgpr24
.LBB6_4667:                             ;   in Loop: Header=BB6_4475 Depth=2
	s_andn2_saveexec_b64 s[78:79], s[78:79]
; %bb.4668:                             ;   in Loop: Header=BB6_4475 Depth=2
	v_cmp_lt_i16_e32 vcc, -1, v37
	v_mov_b32_e32 v0, 0xff800000
	v_mov_b32_e32 v22, 0x7f800000
	v_cndmask_b32_e32 v0, v0, v22, vcc
	v_cmp_eq_u32_e32 vcc, 0, v24
	v_mov_b32_e32 v22, 0x7f800001
	v_cndmask_b32_e32 v0, v22, v0, vcc
; %bb.4669:                             ;   in Loop: Header=BB6_4475 Depth=2
	s_or_b64 exec, exec, s[78:79]
.LBB6_4670:                             ;   in Loop: Header=BB6_4475 Depth=2
	s_or_b64 exec, exec, s[76:77]
.LBB6_4671:                             ;   in Loop: Header=BB6_4475 Depth=2
	s_or_b64 exec, exec, s[18:19]
	v_mul_f32_e32 v1, v1, v0
	v_and_b32_e32 v22, 0x7f800000, v1
	v_mov_b32_e32 v23, v28
	v_cmp_ne_u64_e32 vcc, s[58:59], v[22:23]
	v_and_b32_e32 v27, 0x7fffff, v1
                                        ; implicit-def: $vgpr0
                                        ; kill: killed $vgpr0
	s_and_saveexec_b64 s[18:19], vcc
	s_xor_b64 s[76:77], exec, s[18:19]
	s_cbranch_execz .LBB6_4685
; %bb.4672:                             ;   in Loop: Header=BB6_4475 Depth=2
	v_and_b32_e32 v22, 0x7fffffff, v1
	v_mov_b32_e32 v23, v28
	v_cmp_gt_u64_e32 vcc, s[60:61], v[22:23]
	v_and_b32_sdwa v0, v1, s52 dst_sel:DWORD dst_unused:UNUSED_PAD src0_sel:BYTE_3 src1_sel:DWORD
                                        ; implicit-def: $vgpr22
                                        ; kill: killed $vgpr22
	s_and_saveexec_b64 s[18:19], vcc
	s_xor_b64 s[78:79], exec, s[18:19]
	s_cbranch_execz .LBB6_4682
; %bb.4673:                             ;   in Loop: Header=BB6_4475 Depth=2
	v_mov_b32_e32 v22, 0
	v_cmp_ne_u32_e32 vcc, 0, v1
	buffer_store_dword v22, off, s[0:3], s33 offset:116 ; 4-byte Folded Spill
	s_and_saveexec_b64 s[88:89], vcc
	s_cbranch_execz .LBB6_4681
; %bb.4674:                             ;   in Loop: Header=BB6_4475 Depth=2
	v_bfe_u32 v1, v1, 23, 8
	v_cmp_gt_u32_e64 s[18:19], s53, v1
	v_sub_u32_e32 v22, 0x71, v1
	v_cmp_eq_u32_e32 vcc, 0, v1
	v_cndmask_b32_e64 v22, 0, v22, s[18:19]
	v_mov_b32_e32 v24, 0x70
	v_cndmask_b32_e32 v26, v22, v24, vcc
	v_add_u32_e32 v24, 21, v26
	v_or_b32_e32 v23, 0x800000, v27
	v_lshlrev_b64 v[29:30], v24, -1
	v_cndmask_b32_e32 v22, v23, v27, vcc
	v_mov_b32_e32 v23, v28
	v_add_u32_e32 v24, 20, v26
	v_bfi_b32 v29, v29, 0, v22
	v_lshlrev_b64 v[40:41], v24, 1
	v_lshrrev_b64 v[22:23], v26, v[22:23]
	v_bfi_b32 v30, v30, 0, 0
	v_cmp_eq_u64_e64 s[18:19], v[29:30], v[40:41]
	v_mov_b32_e32 v24, v23
	v_mov_b32_e32 v23, v22
	s_and_saveexec_b64 s[90:91], s[18:19]
; %bb.4675:                             ;   in Loop: Header=BB6_4475 Depth=2
	v_bfe_u32 v23, v22, 21, 1
	v_add_co_u32_e64 v23, s[18:19], v22, v23
	v_add_co_u32_e64 v23, s[18:19], -1, v23
; %bb.4676:                             ;   in Loop: Header=BB6_4475 Depth=2
	s_or_b64 exec, exec, s[90:91]
	v_add_u32_e32 v1, 0xffffff81, v1
	v_mov_b32_e32 v24, 0xffffff82
	v_cndmask_b32_e32 v1, v1, v24, vcc
	v_lshrrev_b32_e32 v24, 23, v22
	v_add3_u32 v26, v26, v1, v24
	v_add_u32_e32 v24, 14, v26
	v_and_b32_e32 v1, 0x1fffff, v23
	v_add_u32_e32 v27, v1, v22
	v_cmp_ne_u32_e32 vcc, 0, v24
                                        ; implicit-def: $vgpr22_vgpr23
                                        ; implicit-def: $vgpr1
	s_and_saveexec_b64 s[18:19], vcc
	s_xor_b64 s[18:19], exec, s[18:19]
; %bb.4677:                             ;   in Loop: Header=BB6_4475 Depth=2
	v_cmp_lt_u64_e32 vcc, s[62:63], v[27:28]
	v_add_u32_e32 v1, 15, v26
	v_cndmask_b32_e64 v22, 0, 1, vcc
	v_cndmask_b32_e32 v1, v24, v1, vcc
	v_lshrrev_b64 v[22:23], v22, v[27:28]
; %bb.4678:                             ;   in Loop: Header=BB6_4475 Depth=2
	s_andn2_saveexec_b64 s[18:19], s[18:19]
; %bb.4679:                             ;   in Loop: Header=BB6_4475 Depth=2
	v_mov_b32_e32 v22, v27
	v_mov_b32_e32 v23, v28
	v_bfe_u32 v1, v27, 23, 1
; %bb.4680:                             ;   in Loop: Header=BB6_4475 Depth=2
	s_or_b64 exec, exec, s[18:19]
	v_lshrrev_b64 v[22:23], 21, v[22:23]
	v_cmp_gt_i32_e32 vcc, 32, v1
	v_cndmask_b32_e32 v23, 0, v23, vcc
	v_cndmask_b32_e32 v22, 3, v22, vcc
	v_cmp_eq_u32_e32 vcc, 0, v1
	v_min_i32_e32 v1, 31, v1
	v_cmp_eq_u64_e64 s[18:19], 0, v[22:23]
	v_lshlrev_b32_e32 v1, 2, v1
	v_and_b32_e32 v1, 0xfc, v1
	v_and_or_b32 v1, v22, 3, v1
	s_and_b64 s[18:19], vcc, s[18:19]
	v_cndmask_b32_e64 v1, v1, 0, s[18:19]
	v_or_b32_e32 v0, v1, v0
	buffer_store_dword v0, off, s[0:3], s33 offset:116 ; 4-byte Folded Spill
.LBB6_4681:                             ;   in Loop: Header=BB6_4475 Depth=2
	s_or_b64 exec, exec, s[88:89]
                                        ; implicit-def: $vgpr0
.LBB6_4682:                             ;   in Loop: Header=BB6_4475 Depth=2
	s_andn2_saveexec_b64 s[18:19], s[78:79]
	s_cbranch_execz .LBB6_4684
; %bb.4683:                             ;   in Loop: Header=BB6_4475 Depth=2
	v_or_b32_e32 v0, 0x7b, v0
	buffer_store_dword v0, off, s[0:3], s33 offset:116 ; 4-byte Folded Spill
.LBB6_4684:                             ;   in Loop: Header=BB6_4475 Depth=2
	s_or_b64 exec, exec, s[18:19]
                                        ; implicit-def: $vgpr1
.LBB6_4685:                             ;   in Loop: Header=BB6_4475 Depth=2
	s_andn2_saveexec_b64 s[18:19], s[76:77]
	s_cbranch_execz .LBB6_4691
; %bb.4686:                             ;   in Loop: Header=BB6_4475 Depth=2
	v_cmp_ne_u64_e32 vcc, 0, v[27:28]
                                        ; implicit-def: $vgpr0
                                        ; kill: killed $vgpr0
	s_and_saveexec_b64 s[76:77], vcc
	s_xor_b64 s[76:77], exec, s[76:77]
	s_cbranch_execz .LBB6_4688
; %bb.4687:                             ;   in Loop: Header=BB6_4475 Depth=2
	v_or_b32_sdwa v0, v1, s54 dst_sel:DWORD dst_unused:UNUSED_PAD src0_sel:BYTE_3 src1_sel:DWORD
	buffer_store_dword v0, off, s[0:3], s33 offset:116 ; 4-byte Folded Spill
                                        ; implicit-def: $vgpr1
.LBB6_4688:                             ;   in Loop: Header=BB6_4475 Depth=2
	s_andn2_saveexec_b64 s[76:77], s[76:77]
	s_cbranch_execz .LBB6_4690
; %bb.4689:                             ;   in Loop: Header=BB6_4475 Depth=2
	v_cmp_lt_i32_e32 vcc, -1, v1
	v_bfrev_b32_e32 v0, 0.5
	v_mov_b32_e32 v1, 0x7c
	v_cndmask_b32_e32 v0, v0, v1, vcc
	buffer_store_dword v0, off, s[0:3], s33 offset:116 ; 4-byte Folded Spill
.LBB6_4690:                             ;   in Loop: Header=BB6_4475 Depth=2
	s_or_b64 exec, exec, s[76:77]
.LBB6_4691:                             ;   in Loop: Header=BB6_4475 Depth=2
	s_or_b64 exec, exec, s[18:19]
	v_lshrrev_b32_e32 v22, 16, v49
	v_cmp_ne_u16_sdwa s[76:77], v22, v28 src0_sel:BYTE_0 src1_sel:DWORD
	v_mov_b32_e32 v0, 0
	v_mov_b32_e32 v1, 0
	s_and_saveexec_b64 s[18:19], s[76:77]
	s_cbranch_execz .LBB6_4699
; %bb.4692:                             ;   in Loop: Header=BB6_4475 Depth=2
	v_cmp_ne_u16_sdwa s[78:79], v22, s52 src0_sel:BYTE_0 src1_sel:DWORD
	v_bfrev_b32_e32 v1, 1
	s_and_saveexec_b64 s[76:77], s[78:79]
	s_cbranch_execz .LBB6_4698
; %bb.4693:                             ;   in Loop: Header=BB6_4475 Depth=2
	v_and_b32_e32 v1, 0x7c0000, v49
	v_bfe_u32 v23, v49, 16, 2
	v_cmp_ne_u32_e32 vcc, s55, v1
                                        ; implicit-def: $vgpr1
	s_and_saveexec_b64 s[78:79], vcc
	s_xor_b64 s[78:79], exec, s[78:79]
	s_cbranch_execz .LBB6_4695
; %bb.4694:                             ;   in Loop: Header=BB6_4475 Depth=2
	v_ffbh_u32_e32 v24, v23
	v_min_u32_e32 v24, 32, v24
	v_subrev_u32_e32 v26, 29, v24
	v_lshlrev_b64 v[26:27], v26, v[22:23]
	v_bfe_u32 v1, v49, 18, 5
	v_sub_u32_e32 v22, 30, v24
	v_and_b32_e32 v24, 3, v26
	v_cmp_eq_u32_e32 vcc, 0, v1
	v_cndmask_b32_e32 v1, v1, v22, vcc
	v_cndmask_b32_e32 v22, v23, v24, vcc
	v_lshlrev_b32_e32 v23, 8, v49
	v_and_b32_e32 v23, 0x80000000, v23
	v_lshl_add_u32 v1, v1, 23, v23
	v_lshl_or_b32 v1, v22, 21, v1
	v_add_u32_e32 v1, 0x38000000, v1
                                        ; implicit-def: $vgpr23
                                        ; implicit-def: $vgpr22
.LBB6_4695:                             ;   in Loop: Header=BB6_4475 Depth=2
	s_andn2_saveexec_b64 s[78:79], s[78:79]
; %bb.4696:                             ;   in Loop: Header=BB6_4475 Depth=2
	v_mov_b32_e32 v1, -1
	v_cmp_gt_i16_sdwa vcc, sext(v22), v1 src0_sel:BYTE_0 src1_sel:DWORD
	v_mov_b32_e32 v1, 0xff800000
	v_mov_b32_e32 v22, 0x7f800000
	v_cndmask_b32_e32 v1, v1, v22, vcc
	v_cmp_eq_u32_e32 vcc, 0, v23
	v_mov_b32_e32 v22, 0x7f800001
	v_cndmask_b32_e32 v1, v22, v1, vcc
; %bb.4697:                             ;   in Loop: Header=BB6_4475 Depth=2
	s_or_b64 exec, exec, s[78:79]
.LBB6_4698:                             ;   in Loop: Header=BB6_4475 Depth=2
	s_or_b64 exec, exec, s[76:77]
.LBB6_4699:                             ;   in Loop: Header=BB6_4475 Depth=2
	s_or_b64 exec, exec, s[18:19]
	v_lshrrev_b32_e32 v22, 16, v37
	v_cmp_ne_u16_sdwa s[76:77], v22, v28 src0_sel:BYTE_0 src1_sel:DWORD
	s_and_saveexec_b64 s[18:19], s[76:77]
	s_cbranch_execz .LBB6_4707
; %bb.4700:                             ;   in Loop: Header=BB6_4475 Depth=2
	v_cmp_ne_u16_sdwa s[78:79], v22, s52 src0_sel:BYTE_0 src1_sel:DWORD
	v_bfrev_b32_e32 v0, 1
	s_and_saveexec_b64 s[76:77], s[78:79]
	s_cbranch_execz .LBB6_4706
; %bb.4701:                             ;   in Loop: Header=BB6_4475 Depth=2
	v_and_b32_e32 v0, 0x7c0000, v37
	v_bfe_u32 v23, v37, 16, 2
	v_cmp_ne_u32_e32 vcc, s55, v0
                                        ; implicit-def: $vgpr0
	s_and_saveexec_b64 s[78:79], vcc
	s_xor_b64 s[78:79], exec, s[78:79]
	s_cbranch_execz .LBB6_4703
; %bb.4702:                             ;   in Loop: Header=BB6_4475 Depth=2
	v_ffbh_u32_e32 v24, v23
	v_min_u32_e32 v24, 32, v24
	v_subrev_u32_e32 v26, 29, v24
	v_lshlrev_b64 v[26:27], v26, v[22:23]
	v_bfe_u32 v0, v37, 18, 5
	v_sub_u32_e32 v22, 30, v24
	v_and_b32_e32 v24, 3, v26
	v_cmp_eq_u32_e32 vcc, 0, v0
	v_cndmask_b32_e32 v0, v0, v22, vcc
	v_cndmask_b32_e32 v22, v23, v24, vcc
	v_lshlrev_b32_e32 v23, 8, v37
	v_and_b32_e32 v23, 0x80000000, v23
	v_lshl_add_u32 v0, v0, 23, v23
	v_lshl_or_b32 v0, v22, 21, v0
	v_add_u32_e32 v0, 0x38000000, v0
                                        ; implicit-def: $vgpr23
                                        ; implicit-def: $vgpr22
.LBB6_4703:                             ;   in Loop: Header=BB6_4475 Depth=2
	s_andn2_saveexec_b64 s[78:79], s[78:79]
; %bb.4704:                             ;   in Loop: Header=BB6_4475 Depth=2
	v_mov_b32_e32 v0, -1
	v_cmp_gt_i16_sdwa vcc, sext(v22), v0 src0_sel:BYTE_0 src1_sel:DWORD
	v_mov_b32_e32 v0, 0xff800000
	v_mov_b32_e32 v22, 0x7f800000
	v_cndmask_b32_e32 v0, v0, v22, vcc
	v_cmp_eq_u32_e32 vcc, 0, v23
	v_mov_b32_e32 v22, 0x7f800001
	v_cndmask_b32_e32 v0, v22, v0, vcc
; %bb.4705:                             ;   in Loop: Header=BB6_4475 Depth=2
	s_or_b64 exec, exec, s[78:79]
.LBB6_4706:                             ;   in Loop: Header=BB6_4475 Depth=2
	s_or_b64 exec, exec, s[76:77]
.LBB6_4707:                             ;   in Loop: Header=BB6_4475 Depth=2
	s_or_b64 exec, exec, s[18:19]
	v_mul_f32_e32 v1, v1, v0
	v_and_b32_e32 v22, 0x7f800000, v1
	v_mov_b32_e32 v23, v28
	v_cmp_ne_u64_e32 vcc, s[58:59], v[22:23]
	v_and_b32_e32 v27, 0x7fffff, v1
                                        ; implicit-def: $vgpr0
                                        ; kill: killed $vgpr0
	s_and_saveexec_b64 s[18:19], vcc
	s_xor_b64 s[76:77], exec, s[18:19]
	s_cbranch_execz .LBB6_4721
; %bb.4708:                             ;   in Loop: Header=BB6_4475 Depth=2
	v_and_b32_e32 v22, 0x7fffffff, v1
	v_mov_b32_e32 v23, v28
	v_cmp_gt_u64_e32 vcc, s[60:61], v[22:23]
	v_and_b32_sdwa v0, v1, s52 dst_sel:DWORD dst_unused:UNUSED_PAD src0_sel:BYTE_3 src1_sel:DWORD
                                        ; implicit-def: $vgpr22
                                        ; kill: killed $vgpr22
	s_and_saveexec_b64 s[18:19], vcc
	s_xor_b64 s[78:79], exec, s[18:19]
	s_cbranch_execz .LBB6_4718
; %bb.4709:                             ;   in Loop: Header=BB6_4475 Depth=2
	v_mov_b32_e32 v22, 0
	v_cmp_ne_u32_e32 vcc, 0, v1
	buffer_store_dword v22, off, s[0:3], s33 offset:124 ; 4-byte Folded Spill
	s_and_saveexec_b64 s[88:89], vcc
	s_cbranch_execz .LBB6_4717
; %bb.4710:                             ;   in Loop: Header=BB6_4475 Depth=2
	v_bfe_u32 v1, v1, 23, 8
	v_cmp_gt_u32_e64 s[18:19], s53, v1
	v_sub_u32_e32 v22, 0x71, v1
	v_cmp_eq_u32_e32 vcc, 0, v1
	v_cndmask_b32_e64 v22, 0, v22, s[18:19]
	v_mov_b32_e32 v24, 0x70
	v_cndmask_b32_e32 v26, v22, v24, vcc
	v_add_u32_e32 v24, 21, v26
	v_or_b32_e32 v23, 0x800000, v27
	v_lshlrev_b64 v[29:30], v24, -1
	v_cndmask_b32_e32 v22, v23, v27, vcc
	v_mov_b32_e32 v23, v28
	v_add_u32_e32 v24, 20, v26
	v_bfi_b32 v29, v29, 0, v22
	v_lshlrev_b64 v[40:41], v24, 1
	v_lshrrev_b64 v[22:23], v26, v[22:23]
	v_bfi_b32 v30, v30, 0, 0
	v_cmp_eq_u64_e64 s[18:19], v[29:30], v[40:41]
	v_mov_b32_e32 v24, v23
	v_mov_b32_e32 v23, v22
	s_and_saveexec_b64 s[90:91], s[18:19]
; %bb.4711:                             ;   in Loop: Header=BB6_4475 Depth=2
	v_bfe_u32 v23, v22, 21, 1
	v_add_co_u32_e64 v23, s[18:19], v22, v23
	v_add_co_u32_e64 v23, s[18:19], -1, v23
; %bb.4712:                             ;   in Loop: Header=BB6_4475 Depth=2
	s_or_b64 exec, exec, s[90:91]
	v_add_u32_e32 v1, 0xffffff81, v1
	v_mov_b32_e32 v24, 0xffffff82
	v_cndmask_b32_e32 v1, v1, v24, vcc
	v_lshrrev_b32_e32 v24, 23, v22
	v_add3_u32 v26, v26, v1, v24
	v_add_u32_e32 v24, 14, v26
	v_and_b32_e32 v1, 0x1fffff, v23
	v_add_u32_e32 v27, v1, v22
	v_cmp_ne_u32_e32 vcc, 0, v24
                                        ; implicit-def: $vgpr22_vgpr23
                                        ; implicit-def: $vgpr1
	s_and_saveexec_b64 s[18:19], vcc
	s_xor_b64 s[18:19], exec, s[18:19]
; %bb.4713:                             ;   in Loop: Header=BB6_4475 Depth=2
	v_cmp_lt_u64_e32 vcc, s[62:63], v[27:28]
	v_add_u32_e32 v1, 15, v26
	v_cndmask_b32_e64 v22, 0, 1, vcc
	v_cndmask_b32_e32 v1, v24, v1, vcc
	v_lshrrev_b64 v[22:23], v22, v[27:28]
; %bb.4714:                             ;   in Loop: Header=BB6_4475 Depth=2
	s_andn2_saveexec_b64 s[18:19], s[18:19]
; %bb.4715:                             ;   in Loop: Header=BB6_4475 Depth=2
	v_mov_b32_e32 v22, v27
	v_mov_b32_e32 v23, v28
	v_bfe_u32 v1, v27, 23, 1
; %bb.4716:                             ;   in Loop: Header=BB6_4475 Depth=2
	s_or_b64 exec, exec, s[18:19]
	v_lshrrev_b64 v[22:23], 21, v[22:23]
	v_cmp_gt_i32_e32 vcc, 32, v1
	v_cndmask_b32_e32 v23, 0, v23, vcc
	v_cndmask_b32_e32 v22, 3, v22, vcc
	v_cmp_eq_u32_e32 vcc, 0, v1
	v_min_i32_e32 v1, 31, v1
	v_cmp_eq_u64_e64 s[18:19], 0, v[22:23]
	v_lshlrev_b32_e32 v1, 2, v1
	v_and_b32_e32 v1, 0xfc, v1
	v_and_or_b32 v1, v22, 3, v1
	s_and_b64 s[18:19], vcc, s[18:19]
	v_cndmask_b32_e64 v1, v1, 0, s[18:19]
	v_or_b32_e32 v0, v1, v0
	buffer_store_dword v0, off, s[0:3], s33 offset:124 ; 4-byte Folded Spill
.LBB6_4717:                             ;   in Loop: Header=BB6_4475 Depth=2
	s_or_b64 exec, exec, s[88:89]
                                        ; implicit-def: $vgpr0
.LBB6_4718:                             ;   in Loop: Header=BB6_4475 Depth=2
	s_andn2_saveexec_b64 s[18:19], s[78:79]
	s_cbranch_execz .LBB6_4720
; %bb.4719:                             ;   in Loop: Header=BB6_4475 Depth=2
	v_or_b32_e32 v0, 0x7b, v0
	buffer_store_dword v0, off, s[0:3], s33 offset:124 ; 4-byte Folded Spill
.LBB6_4720:                             ;   in Loop: Header=BB6_4475 Depth=2
	s_or_b64 exec, exec, s[18:19]
                                        ; implicit-def: $vgpr1
.LBB6_4721:                             ;   in Loop: Header=BB6_4475 Depth=2
	s_andn2_saveexec_b64 s[18:19], s[76:77]
	s_cbranch_execz .LBB6_4727
; %bb.4722:                             ;   in Loop: Header=BB6_4475 Depth=2
	v_cmp_ne_u64_e32 vcc, 0, v[27:28]
                                        ; implicit-def: $vgpr0
                                        ; kill: killed $vgpr0
	s_and_saveexec_b64 s[76:77], vcc
	s_xor_b64 s[76:77], exec, s[76:77]
	s_cbranch_execz .LBB6_4724
; %bb.4723:                             ;   in Loop: Header=BB6_4475 Depth=2
	v_or_b32_sdwa v0, v1, s54 dst_sel:DWORD dst_unused:UNUSED_PAD src0_sel:BYTE_3 src1_sel:DWORD
	buffer_store_dword v0, off, s[0:3], s33 offset:124 ; 4-byte Folded Spill
                                        ; implicit-def: $vgpr1
.LBB6_4724:                             ;   in Loop: Header=BB6_4475 Depth=2
	s_andn2_saveexec_b64 s[76:77], s[76:77]
	s_cbranch_execz .LBB6_4726
; %bb.4725:                             ;   in Loop: Header=BB6_4475 Depth=2
	v_cmp_lt_i32_e32 vcc, -1, v1
	v_bfrev_b32_e32 v0, 0.5
	v_mov_b32_e32 v1, 0x7c
	v_cndmask_b32_e32 v0, v0, v1, vcc
	buffer_store_dword v0, off, s[0:3], s33 offset:124 ; 4-byte Folded Spill
.LBB6_4726:                             ;   in Loop: Header=BB6_4475 Depth=2
	s_or_b64 exec, exec, s[76:77]
.LBB6_4727:                             ;   in Loop: Header=BB6_4475 Depth=2
	s_or_b64 exec, exec, s[18:19]
	v_cmp_lt_u64_e32 vcc, s[56:57], v[48:49]
	v_mov_b32_e32 v0, 0
	v_mov_b32_e32 v1, 0
	s_and_saveexec_b64 s[18:19], vcc
	s_cbranch_execz .LBB6_4735
; %bb.4728:                             ;   in Loop: Header=BB6_4475 Depth=2
	v_lshrrev_b32_e32 v22, 24, v49
	v_cmp_ne_u32_e32 vcc, s52, v22
	v_bfrev_b32_e32 v1, 1
	s_and_saveexec_b64 s[76:77], vcc
	s_cbranch_execz .LBB6_4734
; %bb.4729:                             ;   in Loop: Header=BB6_4475 Depth=2
	v_and_b32_e32 v1, 0x7c000000, v49
	v_bfe_u32 v23, v49, 24, 2
	v_cmp_ne_u32_e32 vcc, s64, v1
                                        ; implicit-def: $vgpr1
	s_and_saveexec_b64 s[78:79], vcc
	s_xor_b64 s[78:79], exec, s[78:79]
	s_cbranch_execz .LBB6_4731
; %bb.4730:                             ;   in Loop: Header=BB6_4475 Depth=2
	v_ffbh_u32_e32 v24, v23
	v_min_u32_e32 v24, 32, v24
	v_subrev_u32_e32 v26, 29, v24
	v_lshlrev_b64 v[26:27], v26, v[22:23]
	v_bfe_u32 v1, v49, 26, 5
	v_sub_u32_e32 v22, 30, v24
	v_and_b32_e32 v24, 3, v26
	v_cmp_eq_u32_e32 vcc, 0, v1
	v_cndmask_b32_e32 v1, v1, v22, vcc
	v_cndmask_b32_e32 v22, v23, v24, vcc
	v_and_b32_e32 v23, 0x80000000, v49
	v_lshl_add_u32 v1, v1, 23, v23
	v_lshl_or_b32 v1, v22, 21, v1
	v_add_u32_e32 v1, 0x38000000, v1
                                        ; implicit-def: $vgpr23
.LBB6_4731:                             ;   in Loop: Header=BB6_4475 Depth=2
	s_andn2_saveexec_b64 s[78:79], s[78:79]
; %bb.4732:                             ;   in Loop: Header=BB6_4475 Depth=2
	v_cmp_lt_i64_e32 vcc, -1, v[48:49]
	v_mov_b32_e32 v1, 0xff800000
	v_mov_b32_e32 v22, 0x7f800000
	v_cndmask_b32_e32 v1, v1, v22, vcc
	v_cmp_eq_u32_e32 vcc, 0, v23
	v_mov_b32_e32 v22, 0x7f800001
	v_cndmask_b32_e32 v1, v22, v1, vcc
; %bb.4733:                             ;   in Loop: Header=BB6_4475 Depth=2
	s_or_b64 exec, exec, s[78:79]
.LBB6_4734:                             ;   in Loop: Header=BB6_4475 Depth=2
	s_or_b64 exec, exec, s[76:77]
.LBB6_4735:                             ;   in Loop: Header=BB6_4475 Depth=2
	s_or_b64 exec, exec, s[18:19]
	v_cmp_lt_u64_e32 vcc, s[56:57], v[36:37]
	s_and_saveexec_b64 s[18:19], vcc
	s_cbranch_execz .LBB6_4743
; %bb.4736:                             ;   in Loop: Header=BB6_4475 Depth=2
	v_lshrrev_b32_e32 v22, 24, v37
	v_cmp_ne_u32_e32 vcc, s52, v22
	v_bfrev_b32_e32 v0, 1
	s_and_saveexec_b64 s[76:77], vcc
	s_cbranch_execz .LBB6_4742
; %bb.4737:                             ;   in Loop: Header=BB6_4475 Depth=2
	v_and_b32_e32 v0, 0x7c000000, v37
	v_bfe_u32 v23, v37, 24, 2
	v_cmp_ne_u32_e32 vcc, s64, v0
                                        ; implicit-def: $vgpr0
	s_and_saveexec_b64 s[78:79], vcc
	s_xor_b64 s[78:79], exec, s[78:79]
	s_cbranch_execz .LBB6_4739
; %bb.4738:                             ;   in Loop: Header=BB6_4475 Depth=2
	v_ffbh_u32_e32 v24, v23
	v_min_u32_e32 v24, 32, v24
	v_subrev_u32_e32 v26, 29, v24
	v_lshlrev_b64 v[26:27], v26, v[22:23]
	v_bfe_u32 v0, v37, 26, 5
	v_sub_u32_e32 v22, 30, v24
	v_and_b32_e32 v24, 3, v26
	v_cmp_eq_u32_e32 vcc, 0, v0
	v_cndmask_b32_e32 v0, v0, v22, vcc
	v_cndmask_b32_e32 v22, v23, v24, vcc
	v_and_b32_e32 v23, 0x80000000, v37
	v_lshl_add_u32 v0, v0, 23, v23
	v_lshl_or_b32 v0, v22, 21, v0
	v_add_u32_e32 v0, 0x38000000, v0
                                        ; implicit-def: $vgpr23
.LBB6_4739:                             ;   in Loop: Header=BB6_4475 Depth=2
	s_andn2_saveexec_b64 s[78:79], s[78:79]
; %bb.4740:                             ;   in Loop: Header=BB6_4475 Depth=2
	v_cmp_lt_i64_e32 vcc, -1, v[36:37]
	v_mov_b32_e32 v0, 0xff800000
	v_mov_b32_e32 v22, 0x7f800000
	v_cndmask_b32_e32 v0, v0, v22, vcc
	v_cmp_eq_u32_e32 vcc, 0, v23
	v_mov_b32_e32 v22, 0x7f800001
	v_cndmask_b32_e32 v0, v22, v0, vcc
; %bb.4741:                             ;   in Loop: Header=BB6_4475 Depth=2
	s_or_b64 exec, exec, s[78:79]
.LBB6_4742:                             ;   in Loop: Header=BB6_4475 Depth=2
	s_or_b64 exec, exec, s[76:77]
.LBB6_4743:                             ;   in Loop: Header=BB6_4475 Depth=2
	s_or_b64 exec, exec, s[18:19]
	v_mul_f32_e32 v1, v1, v0
	v_and_b32_e32 v22, 0x7f800000, v1
	v_mov_b32_e32 v23, v28
	v_cmp_ne_u64_e32 vcc, s[58:59], v[22:23]
	v_and_b32_e32 v27, 0x7fffff, v1
                                        ; implicit-def: $vgpr0
                                        ; kill: killed $vgpr0
	s_and_saveexec_b64 s[18:19], vcc
	s_xor_b64 s[76:77], exec, s[18:19]
	s_cbranch_execz .LBB6_4757
; %bb.4744:                             ;   in Loop: Header=BB6_4475 Depth=2
	v_and_b32_e32 v22, 0x7fffffff, v1
	v_mov_b32_e32 v23, v28
	v_cmp_gt_u64_e32 vcc, s[60:61], v[22:23]
	v_and_b32_sdwa v0, v1, s52 dst_sel:DWORD dst_unused:UNUSED_PAD src0_sel:BYTE_3 src1_sel:DWORD
                                        ; implicit-def: $vgpr22
                                        ; kill: killed $vgpr22
	s_and_saveexec_b64 s[18:19], vcc
	s_xor_b64 s[78:79], exec, s[18:19]
	s_cbranch_execz .LBB6_4754
; %bb.4745:                             ;   in Loop: Header=BB6_4475 Depth=2
	v_mov_b32_e32 v22, 0
	v_cmp_ne_u32_e32 vcc, 0, v1
	buffer_store_dword v22, off, s[0:3], s33 offset:132 ; 4-byte Folded Spill
	s_and_saveexec_b64 s[88:89], vcc
	s_cbranch_execz .LBB6_4753
; %bb.4746:                             ;   in Loop: Header=BB6_4475 Depth=2
	v_bfe_u32 v1, v1, 23, 8
	v_cmp_gt_u32_e64 s[18:19], s53, v1
	v_sub_u32_e32 v22, 0x71, v1
	v_cmp_eq_u32_e32 vcc, 0, v1
	v_cndmask_b32_e64 v22, 0, v22, s[18:19]
	v_mov_b32_e32 v24, 0x70
	v_cndmask_b32_e32 v26, v22, v24, vcc
	v_add_u32_e32 v24, 21, v26
	v_or_b32_e32 v23, 0x800000, v27
	v_lshlrev_b64 v[29:30], v24, -1
	v_cndmask_b32_e32 v22, v23, v27, vcc
	v_mov_b32_e32 v23, v28
	v_add_u32_e32 v24, 20, v26
	v_bfi_b32 v29, v29, 0, v22
	v_lshlrev_b64 v[36:37], v24, 1
	v_lshrrev_b64 v[22:23], v26, v[22:23]
	v_bfi_b32 v30, v30, 0, 0
	v_cmp_eq_u64_e64 s[18:19], v[29:30], v[36:37]
	v_mov_b32_e32 v24, v23
	v_mov_b32_e32 v23, v22
	s_and_saveexec_b64 s[90:91], s[18:19]
; %bb.4747:                             ;   in Loop: Header=BB6_4475 Depth=2
	v_bfe_u32 v23, v22, 21, 1
	v_add_co_u32_e64 v23, s[18:19], v22, v23
	v_add_co_u32_e64 v23, s[18:19], -1, v23
; %bb.4748:                             ;   in Loop: Header=BB6_4475 Depth=2
	s_or_b64 exec, exec, s[90:91]
	v_add_u32_e32 v1, 0xffffff81, v1
	v_mov_b32_e32 v24, 0xffffff82
	v_cndmask_b32_e32 v1, v1, v24, vcc
	v_lshrrev_b32_e32 v24, 23, v22
	v_add3_u32 v26, v26, v1, v24
	v_add_u32_e32 v24, 14, v26
	v_and_b32_e32 v1, 0x1fffff, v23
	v_add_u32_e32 v27, v1, v22
	v_cmp_ne_u32_e32 vcc, 0, v24
                                        ; implicit-def: $vgpr22_vgpr23
                                        ; implicit-def: $vgpr1
	s_and_saveexec_b64 s[18:19], vcc
	s_xor_b64 s[18:19], exec, s[18:19]
; %bb.4749:                             ;   in Loop: Header=BB6_4475 Depth=2
	v_cmp_lt_u64_e32 vcc, s[62:63], v[27:28]
	v_add_u32_e32 v1, 15, v26
	v_cndmask_b32_e64 v22, 0, 1, vcc
	v_cndmask_b32_e32 v1, v24, v1, vcc
	v_lshrrev_b64 v[22:23], v22, v[27:28]
; %bb.4750:                             ;   in Loop: Header=BB6_4475 Depth=2
	s_andn2_saveexec_b64 s[18:19], s[18:19]
; %bb.4751:                             ;   in Loop: Header=BB6_4475 Depth=2
	v_mov_b32_e32 v22, v27
	v_mov_b32_e32 v23, v28
	v_bfe_u32 v1, v27, 23, 1
; %bb.4752:                             ;   in Loop: Header=BB6_4475 Depth=2
	s_or_b64 exec, exec, s[18:19]
	v_lshrrev_b64 v[22:23], 21, v[22:23]
	v_cmp_gt_i32_e32 vcc, 32, v1
	v_cndmask_b32_e32 v23, 0, v23, vcc
	v_cndmask_b32_e32 v22, 3, v22, vcc
	v_cmp_eq_u32_e32 vcc, 0, v1
	v_min_i32_e32 v1, 31, v1
	v_cmp_eq_u64_e64 s[18:19], 0, v[22:23]
	v_lshlrev_b32_e32 v1, 2, v1
	v_and_b32_e32 v1, 0xfc, v1
	v_and_or_b32 v1, v22, 3, v1
	s_and_b64 s[18:19], vcc, s[18:19]
	v_cndmask_b32_e64 v1, v1, 0, s[18:19]
	v_or_b32_e32 v0, v1, v0
	buffer_store_dword v0, off, s[0:3], s33 offset:132 ; 4-byte Folded Spill
.LBB6_4753:                             ;   in Loop: Header=BB6_4475 Depth=2
	s_or_b64 exec, exec, s[88:89]
                                        ; implicit-def: $vgpr0
.LBB6_4754:                             ;   in Loop: Header=BB6_4475 Depth=2
	s_andn2_saveexec_b64 s[18:19], s[78:79]
	s_cbranch_execz .LBB6_4756
; %bb.4755:                             ;   in Loop: Header=BB6_4475 Depth=2
	v_or_b32_e32 v0, 0x7b, v0
	buffer_store_dword v0, off, s[0:3], s33 offset:132 ; 4-byte Folded Spill
.LBB6_4756:                             ;   in Loop: Header=BB6_4475 Depth=2
	s_or_b64 exec, exec, s[18:19]
                                        ; implicit-def: $vgpr1
.LBB6_4757:                             ;   in Loop: Header=BB6_4475 Depth=2
	s_andn2_saveexec_b64 s[18:19], s[76:77]
	s_cbranch_execz .LBB6_4763
; %bb.4758:                             ;   in Loop: Header=BB6_4475 Depth=2
	v_cmp_ne_u64_e32 vcc, 0, v[27:28]
                                        ; implicit-def: $vgpr0
                                        ; kill: killed $vgpr0
	s_and_saveexec_b64 s[76:77], vcc
	s_xor_b64 s[76:77], exec, s[76:77]
	s_cbranch_execz .LBB6_4760
; %bb.4759:                             ;   in Loop: Header=BB6_4475 Depth=2
	v_or_b32_sdwa v0, v1, s54 dst_sel:DWORD dst_unused:UNUSED_PAD src0_sel:BYTE_3 src1_sel:DWORD
	buffer_store_dword v0, off, s[0:3], s33 offset:132 ; 4-byte Folded Spill
                                        ; implicit-def: $vgpr1
.LBB6_4760:                             ;   in Loop: Header=BB6_4475 Depth=2
	s_andn2_saveexec_b64 s[76:77], s[76:77]
	s_cbranch_execz .LBB6_4762
; %bb.4761:                             ;   in Loop: Header=BB6_4475 Depth=2
	v_cmp_lt_i32_e32 vcc, -1, v1
	v_bfrev_b32_e32 v0, 0.5
	v_mov_b32_e32 v1, 0x7c
	v_cndmask_b32_e32 v0, v0, v1, vcc
	buffer_store_dword v0, off, s[0:3], s33 offset:132 ; 4-byte Folded Spill
.LBB6_4762:                             ;   in Loop: Header=BB6_4475 Depth=2
	s_or_b64 exec, exec, s[76:77]
.LBB6_4763:                             ;   in Loop: Header=BB6_4475 Depth=2
	s_or_b64 exec, exec, s[18:19]
	v_cmp_ne_u16_sdwa s[76:77], v50, v28 src0_sel:BYTE_0 src1_sel:DWORD
	v_mov_b32_e32 v0, 0
	v_mov_b32_e32 v1, 0
	s_and_saveexec_b64 s[18:19], s[76:77]
	s_cbranch_execz .LBB6_4771
; %bb.4764:                             ;   in Loop: Header=BB6_4475 Depth=2
	v_cmp_ne_u16_sdwa s[78:79], sext(v50), s49 src0_sel:BYTE_0 src1_sel:DWORD
	v_bfrev_b32_e32 v1, 1
	s_and_saveexec_b64 s[76:77], s[78:79]
	s_cbranch_execz .LBB6_4770
; %bb.4765:                             ;   in Loop: Header=BB6_4475 Depth=2
	v_and_b32_e32 v1, 0x7c, v50
	v_and_b32_e32 v22, 3, v50
	v_cmp_ne_u32_e32 vcc, s50, v1
                                        ; implicit-def: $vgpr1
	s_and_saveexec_b64 s[78:79], vcc
	s_xor_b64 s[78:79], exec, s[78:79]
	s_cbranch_execz .LBB6_4767
; %bb.4766:                             ;   in Loop: Header=BB6_4475 Depth=2
	v_ffbh_u32_e32 v23, v22
	v_min_u32_e32 v26, 32, v23
	v_subrev_u32_e32 v23, 29, v26
	v_lshlrev_b64 v[23:24], v23, v[50:51]
	v_bfe_u32 v1, v50, 2, 5
	v_and_b32_e32 v23, 3, v23
	v_cmp_eq_u32_e32 vcc, 0, v1
	v_sub_u32_e32 v24, 30, v26
	v_cndmask_b32_e32 v22, v22, v23, vcc
	v_lshlrev_b32_e32 v23, 24, v50
	v_cndmask_b32_e32 v1, v1, v24, vcc
	v_and_b32_e32 v23, 0x80000000, v23
	v_lshl_add_u32 v1, v1, 23, v23
	v_lshl_or_b32 v1, v22, 21, v1
	v_add_u32_e32 v1, 0x38000000, v1
                                        ; implicit-def: $vgpr22
.LBB6_4767:                             ;   in Loop: Header=BB6_4475 Depth=2
	s_andn2_saveexec_b64 s[78:79], s[78:79]
; %bb.4768:                             ;   in Loop: Header=BB6_4475 Depth=2
	v_mov_b32_e32 v1, -1
	v_cmp_gt_i16_sdwa vcc, sext(v50), v1 src0_sel:BYTE_0 src1_sel:DWORD
	v_mov_b32_e32 v1, 0xff800000
	v_mov_b32_e32 v23, 0x7f800000
	v_cndmask_b32_e32 v1, v1, v23, vcc
	v_cmp_eq_u32_e32 vcc, 0, v22
	v_mov_b32_e32 v22, 0x7f800001
	v_cndmask_b32_e32 v1, v22, v1, vcc
; %bb.4769:                             ;   in Loop: Header=BB6_4475 Depth=2
	s_or_b64 exec, exec, s[78:79]
.LBB6_4770:                             ;   in Loop: Header=BB6_4475 Depth=2
	s_or_b64 exec, exec, s[76:77]
.LBB6_4771:                             ;   in Loop: Header=BB6_4475 Depth=2
	s_or_b64 exec, exec, s[18:19]
	v_cmp_ne_u16_sdwa s[76:77], v38, v28 src0_sel:BYTE_0 src1_sel:DWORD
	s_and_saveexec_b64 s[18:19], s[76:77]
	s_cbranch_execz .LBB6_4779
; %bb.4772:                             ;   in Loop: Header=BB6_4475 Depth=2
	v_cmp_ne_u16_sdwa s[78:79], sext(v38), s49 src0_sel:BYTE_0 src1_sel:DWORD
	v_bfrev_b32_e32 v0, 1
	s_and_saveexec_b64 s[76:77], s[78:79]
	s_cbranch_execz .LBB6_4778
; %bb.4773:                             ;   in Loop: Header=BB6_4475 Depth=2
	v_and_b32_e32 v0, 0x7c, v38
	v_and_b32_e32 v22, 3, v38
	v_cmp_ne_u32_e32 vcc, s50, v0
                                        ; implicit-def: $vgpr0
	s_and_saveexec_b64 s[78:79], vcc
	s_xor_b64 s[78:79], exec, s[78:79]
	s_cbranch_execz .LBB6_4775
; %bb.4774:                             ;   in Loop: Header=BB6_4475 Depth=2
	v_ffbh_u32_e32 v23, v22
	v_min_u32_e32 v26, 32, v23
	v_subrev_u32_e32 v23, 29, v26
	v_lshlrev_b64 v[23:24], v23, v[38:39]
	v_bfe_u32 v0, v38, 2, 5
	v_and_b32_e32 v23, 3, v23
	v_cmp_eq_u32_e32 vcc, 0, v0
	v_sub_u32_e32 v24, 30, v26
	v_cndmask_b32_e32 v22, v22, v23, vcc
	v_lshlrev_b32_e32 v23, 24, v38
	v_cndmask_b32_e32 v0, v0, v24, vcc
	v_and_b32_e32 v23, 0x80000000, v23
	v_lshl_add_u32 v0, v0, 23, v23
	v_lshl_or_b32 v0, v22, 21, v0
	v_add_u32_e32 v0, 0x38000000, v0
                                        ; implicit-def: $vgpr22
.LBB6_4775:                             ;   in Loop: Header=BB6_4475 Depth=2
	s_andn2_saveexec_b64 s[78:79], s[78:79]
; %bb.4776:                             ;   in Loop: Header=BB6_4475 Depth=2
	v_mov_b32_e32 v0, -1
	v_cmp_gt_i16_sdwa vcc, sext(v38), v0 src0_sel:BYTE_0 src1_sel:DWORD
	v_mov_b32_e32 v0, 0xff800000
	v_mov_b32_e32 v23, 0x7f800000
	v_cndmask_b32_e32 v0, v0, v23, vcc
	v_cmp_eq_u32_e32 vcc, 0, v22
	v_mov_b32_e32 v22, 0x7f800001
	v_cndmask_b32_e32 v0, v22, v0, vcc
; %bb.4777:                             ;   in Loop: Header=BB6_4475 Depth=2
	s_or_b64 exec, exec, s[78:79]
.LBB6_4778:                             ;   in Loop: Header=BB6_4475 Depth=2
	s_or_b64 exec, exec, s[76:77]
.LBB6_4779:                             ;   in Loop: Header=BB6_4475 Depth=2
	s_or_b64 exec, exec, s[18:19]
	v_mul_f32_e32 v1, v1, v0
	v_and_b32_e32 v22, 0x7f800000, v1
	v_mov_b32_e32 v23, v28
	v_cmp_ne_u64_e32 vcc, s[58:59], v[22:23]
	v_and_b32_e32 v27, 0x7fffff, v1
                                        ; implicit-def: $vgpr0
                                        ; kill: killed $vgpr0
	s_and_saveexec_b64 s[18:19], vcc
	s_xor_b64 s[76:77], exec, s[18:19]
	s_cbranch_execz .LBB6_4793
; %bb.4780:                             ;   in Loop: Header=BB6_4475 Depth=2
	v_and_b32_e32 v22, 0x7fffffff, v1
	v_mov_b32_e32 v23, v28
	v_cmp_gt_u64_e32 vcc, s[60:61], v[22:23]
	v_and_b32_sdwa v0, v1, s52 dst_sel:DWORD dst_unused:UNUSED_PAD src0_sel:BYTE_3 src1_sel:DWORD
                                        ; implicit-def: $vgpr22
                                        ; kill: killed $vgpr22
	s_and_saveexec_b64 s[18:19], vcc
	s_xor_b64 s[78:79], exec, s[18:19]
	s_cbranch_execz .LBB6_4790
; %bb.4781:                             ;   in Loop: Header=BB6_4475 Depth=2
	v_mov_b32_e32 v22, 0
	v_cmp_ne_u32_e32 vcc, 0, v1
	buffer_store_dword v22, off, s[0:3], s33 offset:140 ; 4-byte Folded Spill
	s_and_saveexec_b64 s[88:89], vcc
	s_cbranch_execz .LBB6_4789
; %bb.4782:                             ;   in Loop: Header=BB6_4475 Depth=2
	v_bfe_u32 v1, v1, 23, 8
	v_cmp_gt_u32_e64 s[18:19], s53, v1
	v_sub_u32_e32 v22, 0x71, v1
	v_cmp_eq_u32_e32 vcc, 0, v1
	v_cndmask_b32_e64 v22, 0, v22, s[18:19]
	v_mov_b32_e32 v24, 0x70
	v_cndmask_b32_e32 v26, v22, v24, vcc
	v_add_u32_e32 v24, 21, v26
	v_or_b32_e32 v23, 0x800000, v27
	v_lshlrev_b64 v[29:30], v24, -1
	v_cndmask_b32_e32 v22, v23, v27, vcc
	v_mov_b32_e32 v23, v28
	v_add_u32_e32 v24, 20, v26
	v_bfi_b32 v29, v29, 0, v22
	v_lshlrev_b64 v[36:37], v24, 1
	v_lshrrev_b64 v[22:23], v26, v[22:23]
	v_bfi_b32 v30, v30, 0, 0
	v_cmp_eq_u64_e64 s[18:19], v[29:30], v[36:37]
	v_mov_b32_e32 v24, v23
	v_mov_b32_e32 v23, v22
	s_and_saveexec_b64 s[90:91], s[18:19]
; %bb.4783:                             ;   in Loop: Header=BB6_4475 Depth=2
	v_bfe_u32 v23, v22, 21, 1
	v_add_co_u32_e64 v23, s[18:19], v22, v23
	v_add_co_u32_e64 v23, s[18:19], -1, v23
; %bb.4784:                             ;   in Loop: Header=BB6_4475 Depth=2
	s_or_b64 exec, exec, s[90:91]
	v_add_u32_e32 v1, 0xffffff81, v1
	v_mov_b32_e32 v24, 0xffffff82
	v_cndmask_b32_e32 v1, v1, v24, vcc
	v_lshrrev_b32_e32 v24, 23, v22
	v_add3_u32 v26, v26, v1, v24
	v_add_u32_e32 v24, 14, v26
	v_and_b32_e32 v1, 0x1fffff, v23
	v_add_u32_e32 v27, v1, v22
	v_cmp_ne_u32_e32 vcc, 0, v24
                                        ; implicit-def: $vgpr22_vgpr23
                                        ; implicit-def: $vgpr1
	s_and_saveexec_b64 s[18:19], vcc
	s_xor_b64 s[18:19], exec, s[18:19]
; %bb.4785:                             ;   in Loop: Header=BB6_4475 Depth=2
	v_cmp_lt_u64_e32 vcc, s[62:63], v[27:28]
	v_add_u32_e32 v1, 15, v26
	v_cndmask_b32_e64 v22, 0, 1, vcc
	v_cndmask_b32_e32 v1, v24, v1, vcc
	v_lshrrev_b64 v[22:23], v22, v[27:28]
; %bb.4786:                             ;   in Loop: Header=BB6_4475 Depth=2
	s_andn2_saveexec_b64 s[18:19], s[18:19]
; %bb.4787:                             ;   in Loop: Header=BB6_4475 Depth=2
	v_mov_b32_e32 v22, v27
	v_mov_b32_e32 v23, v28
	v_bfe_u32 v1, v27, 23, 1
; %bb.4788:                             ;   in Loop: Header=BB6_4475 Depth=2
	s_or_b64 exec, exec, s[18:19]
	v_lshrrev_b64 v[22:23], 21, v[22:23]
	v_cmp_gt_i32_e32 vcc, 32, v1
	v_cndmask_b32_e32 v23, 0, v23, vcc
	v_cndmask_b32_e32 v22, 3, v22, vcc
	v_cmp_eq_u32_e32 vcc, 0, v1
	v_min_i32_e32 v1, 31, v1
	v_cmp_eq_u64_e64 s[18:19], 0, v[22:23]
	v_lshlrev_b32_e32 v1, 2, v1
	v_and_b32_e32 v1, 0xfc, v1
	v_and_or_b32 v1, v22, 3, v1
	s_and_b64 s[18:19], vcc, s[18:19]
	v_cndmask_b32_e64 v1, v1, 0, s[18:19]
	v_or_b32_e32 v0, v1, v0
	buffer_store_dword v0, off, s[0:3], s33 offset:140 ; 4-byte Folded Spill
.LBB6_4789:                             ;   in Loop: Header=BB6_4475 Depth=2
	s_or_b64 exec, exec, s[88:89]
                                        ; implicit-def: $vgpr0
.LBB6_4790:                             ;   in Loop: Header=BB6_4475 Depth=2
	s_andn2_saveexec_b64 s[18:19], s[78:79]
	s_cbranch_execz .LBB6_4792
; %bb.4791:                             ;   in Loop: Header=BB6_4475 Depth=2
	v_or_b32_e32 v0, 0x7b, v0
	buffer_store_dword v0, off, s[0:3], s33 offset:140 ; 4-byte Folded Spill
.LBB6_4792:                             ;   in Loop: Header=BB6_4475 Depth=2
	s_or_b64 exec, exec, s[18:19]
                                        ; implicit-def: $vgpr1
.LBB6_4793:                             ;   in Loop: Header=BB6_4475 Depth=2
	s_andn2_saveexec_b64 s[18:19], s[76:77]
	s_cbranch_execz .LBB6_4799
; %bb.4794:                             ;   in Loop: Header=BB6_4475 Depth=2
	v_cmp_ne_u64_e32 vcc, 0, v[27:28]
                                        ; implicit-def: $vgpr0
                                        ; kill: killed $vgpr0
	s_and_saveexec_b64 s[76:77], vcc
	s_xor_b64 s[76:77], exec, s[76:77]
	s_cbranch_execz .LBB6_4796
; %bb.4795:                             ;   in Loop: Header=BB6_4475 Depth=2
	v_or_b32_sdwa v0, v1, s54 dst_sel:DWORD dst_unused:UNUSED_PAD src0_sel:BYTE_3 src1_sel:DWORD
	buffer_store_dword v0, off, s[0:3], s33 offset:140 ; 4-byte Folded Spill
                                        ; implicit-def: $vgpr1
.LBB6_4796:                             ;   in Loop: Header=BB6_4475 Depth=2
	s_andn2_saveexec_b64 s[76:77], s[76:77]
	s_cbranch_execz .LBB6_4798
; %bb.4797:                             ;   in Loop: Header=BB6_4475 Depth=2
	v_cmp_lt_i32_e32 vcc, -1, v1
	v_bfrev_b32_e32 v0, 0.5
	v_mov_b32_e32 v1, 0x7c
	v_cndmask_b32_e32 v0, v0, v1, vcc
	buffer_store_dword v0, off, s[0:3], s33 offset:140 ; 4-byte Folded Spill
.LBB6_4798:                             ;   in Loop: Header=BB6_4475 Depth=2
	s_or_b64 exec, exec, s[76:77]
.LBB6_4799:                             ;   in Loop: Header=BB6_4475 Depth=2
	s_or_b64 exec, exec, s[18:19]
	v_lshrrev_b16_e32 v22, 8, v50
	v_cmp_ne_u16_e32 vcc, 0, v22
	v_mov_b32_e32 v0, 0
	v_mov_b32_e32 v1, 0
	s_and_saveexec_b64 s[18:19], vcc
	s_cbranch_execz .LBB6_4807
; %bb.4800:                             ;   in Loop: Header=BB6_4475 Depth=2
	v_cmp_ne_u16_e32 vcc, s52, v22
	v_bfrev_b32_e32 v1, 1
	s_and_saveexec_b64 s[76:77], vcc
	s_cbranch_execz .LBB6_4806
; %bb.4801:                             ;   in Loop: Header=BB6_4475 Depth=2
	v_and_b32_e32 v1, 0x7c, v22
	v_and_b32_e32 v24, 3, v22
	v_cmp_ne_u32_e32 vcc, s50, v1
                                        ; implicit-def: $vgpr1
	s_and_saveexec_b64 s[78:79], vcc
	s_xor_b64 s[78:79], exec, s[78:79]
	s_cbranch_execz .LBB6_4803
; %bb.4802:                             ;   in Loop: Header=BB6_4475 Depth=2
	v_ffbh_u32_e32 v26, v24
	v_min_u32_e32 v26, 32, v26
	v_mov_b32_e32 v23, v28
	v_subrev_u32_e32 v27, 29, v26
	v_bfe_u32 v1, v22, 2, 5
	v_lshlrev_b64 v[22:23], v27, v[22:23]
	v_sub_u32_e32 v23, 30, v26
	v_cmp_eq_u32_e32 vcc, 0, v1
	v_cndmask_b32_e32 v1, v1, v23, vcc
	v_lshlrev_b32_e32 v23, 16, v50
	v_and_b32_e32 v22, 3, v22
	v_and_b32_e32 v23, 0x80000000, v23
	v_cndmask_b32_e32 v22, v24, v22, vcc
	v_lshl_add_u32 v1, v1, 23, v23
	v_lshl_or_b32 v1, v22, 21, v1
	v_add_u32_e32 v1, 0x38000000, v1
                                        ; implicit-def: $vgpr24
.LBB6_4803:                             ;   in Loop: Header=BB6_4475 Depth=2
	s_andn2_saveexec_b64 s[78:79], s[78:79]
; %bb.4804:                             ;   in Loop: Header=BB6_4475 Depth=2
	v_cmp_lt_i16_e32 vcc, -1, v50
	v_mov_b32_e32 v1, 0xff800000
	v_mov_b32_e32 v22, 0x7f800000
	v_cndmask_b32_e32 v1, v1, v22, vcc
	v_cmp_eq_u32_e32 vcc, 0, v24
	v_mov_b32_e32 v22, 0x7f800001
	v_cndmask_b32_e32 v1, v22, v1, vcc
; %bb.4805:                             ;   in Loop: Header=BB6_4475 Depth=2
	s_or_b64 exec, exec, s[78:79]
.LBB6_4806:                             ;   in Loop: Header=BB6_4475 Depth=2
	s_or_b64 exec, exec, s[76:77]
.LBB6_4807:                             ;   in Loop: Header=BB6_4475 Depth=2
	s_or_b64 exec, exec, s[18:19]
	v_lshrrev_b16_e32 v22, 8, v38
	v_cmp_ne_u16_e32 vcc, 0, v22
	s_and_saveexec_b64 s[18:19], vcc
	s_cbranch_execz .LBB6_4815
; %bb.4808:                             ;   in Loop: Header=BB6_4475 Depth=2
	v_cmp_ne_u16_e32 vcc, s52, v22
	v_bfrev_b32_e32 v0, 1
	s_and_saveexec_b64 s[76:77], vcc
	s_cbranch_execz .LBB6_4814
; %bb.4809:                             ;   in Loop: Header=BB6_4475 Depth=2
	v_and_b32_e32 v0, 0x7c, v22
	v_and_b32_e32 v24, 3, v22
	v_cmp_ne_u32_e32 vcc, s50, v0
                                        ; implicit-def: $vgpr0
	s_and_saveexec_b64 s[78:79], vcc
	s_xor_b64 s[78:79], exec, s[78:79]
	s_cbranch_execz .LBB6_4811
; %bb.4810:                             ;   in Loop: Header=BB6_4475 Depth=2
	v_ffbh_u32_e32 v26, v24
	v_min_u32_e32 v26, 32, v26
	v_mov_b32_e32 v23, v28
	v_subrev_u32_e32 v27, 29, v26
	v_bfe_u32 v0, v22, 2, 5
	v_lshlrev_b64 v[22:23], v27, v[22:23]
	v_sub_u32_e32 v23, 30, v26
	v_cmp_eq_u32_e32 vcc, 0, v0
	v_cndmask_b32_e32 v0, v0, v23, vcc
	v_lshlrev_b32_e32 v23, 16, v38
	v_and_b32_e32 v22, 3, v22
	v_and_b32_e32 v23, 0x80000000, v23
	v_cndmask_b32_e32 v22, v24, v22, vcc
	v_lshl_add_u32 v0, v0, 23, v23
	v_lshl_or_b32 v0, v22, 21, v0
	v_add_u32_e32 v0, 0x38000000, v0
                                        ; implicit-def: $vgpr24
.LBB6_4811:                             ;   in Loop: Header=BB6_4475 Depth=2
	s_andn2_saveexec_b64 s[78:79], s[78:79]
; %bb.4812:                             ;   in Loop: Header=BB6_4475 Depth=2
	v_cmp_lt_i16_e32 vcc, -1, v38
	v_mov_b32_e32 v0, 0xff800000
	v_mov_b32_e32 v22, 0x7f800000
	v_cndmask_b32_e32 v0, v0, v22, vcc
	v_cmp_eq_u32_e32 vcc, 0, v24
	v_mov_b32_e32 v22, 0x7f800001
	v_cndmask_b32_e32 v0, v22, v0, vcc
; %bb.4813:                             ;   in Loop: Header=BB6_4475 Depth=2
	s_or_b64 exec, exec, s[78:79]
.LBB6_4814:                             ;   in Loop: Header=BB6_4475 Depth=2
	s_or_b64 exec, exec, s[76:77]
.LBB6_4815:                             ;   in Loop: Header=BB6_4475 Depth=2
	s_or_b64 exec, exec, s[18:19]
	v_mul_f32_e32 v1, v1, v0
	v_and_b32_e32 v22, 0x7f800000, v1
	v_mov_b32_e32 v23, v28
	v_cmp_ne_u64_e32 vcc, s[58:59], v[22:23]
	v_and_b32_e32 v27, 0x7fffff, v1
                                        ; implicit-def: $vgpr0
                                        ; kill: killed $vgpr0
	s_and_saveexec_b64 s[18:19], vcc
	s_xor_b64 s[76:77], exec, s[18:19]
	s_cbranch_execz .LBB6_4829
; %bb.4816:                             ;   in Loop: Header=BB6_4475 Depth=2
	v_and_b32_e32 v22, 0x7fffffff, v1
	v_mov_b32_e32 v23, v28
	v_cmp_gt_u64_e32 vcc, s[60:61], v[22:23]
	v_and_b32_sdwa v0, v1, s52 dst_sel:DWORD dst_unused:UNUSED_PAD src0_sel:BYTE_3 src1_sel:DWORD
                                        ; implicit-def: $vgpr22
                                        ; kill: killed $vgpr22
	s_and_saveexec_b64 s[18:19], vcc
	s_xor_b64 s[78:79], exec, s[18:19]
	s_cbranch_execz .LBB6_4826
; %bb.4817:                             ;   in Loop: Header=BB6_4475 Depth=2
	v_mov_b32_e32 v22, 0
	v_cmp_ne_u32_e32 vcc, 0, v1
	buffer_store_dword v22, off, s[0:3], s33 offset:148 ; 4-byte Folded Spill
	s_and_saveexec_b64 s[88:89], vcc
	s_cbranch_execz .LBB6_4825
; %bb.4818:                             ;   in Loop: Header=BB6_4475 Depth=2
	v_bfe_u32 v1, v1, 23, 8
	v_cmp_gt_u32_e64 s[18:19], s53, v1
	v_sub_u32_e32 v22, 0x71, v1
	v_cmp_eq_u32_e32 vcc, 0, v1
	v_cndmask_b32_e64 v22, 0, v22, s[18:19]
	v_mov_b32_e32 v24, 0x70
	v_cndmask_b32_e32 v26, v22, v24, vcc
	v_add_u32_e32 v24, 21, v26
	v_or_b32_e32 v23, 0x800000, v27
	v_lshlrev_b64 v[29:30], v24, -1
	v_cndmask_b32_e32 v22, v23, v27, vcc
	v_mov_b32_e32 v23, v28
	v_add_u32_e32 v24, 20, v26
	v_bfi_b32 v29, v29, 0, v22
	v_lshlrev_b64 v[36:37], v24, 1
	v_lshrrev_b64 v[22:23], v26, v[22:23]
	v_bfi_b32 v30, v30, 0, 0
	v_cmp_eq_u64_e64 s[18:19], v[29:30], v[36:37]
	v_mov_b32_e32 v24, v23
	v_mov_b32_e32 v23, v22
	s_and_saveexec_b64 s[90:91], s[18:19]
; %bb.4819:                             ;   in Loop: Header=BB6_4475 Depth=2
	v_bfe_u32 v23, v22, 21, 1
	v_add_co_u32_e64 v23, s[18:19], v22, v23
	v_add_co_u32_e64 v23, s[18:19], -1, v23
; %bb.4820:                             ;   in Loop: Header=BB6_4475 Depth=2
	s_or_b64 exec, exec, s[90:91]
	v_add_u32_e32 v1, 0xffffff81, v1
	v_mov_b32_e32 v24, 0xffffff82
	v_cndmask_b32_e32 v1, v1, v24, vcc
	v_lshrrev_b32_e32 v24, 23, v22
	v_add3_u32 v26, v26, v1, v24
	v_add_u32_e32 v24, 14, v26
	v_and_b32_e32 v1, 0x1fffff, v23
	v_add_u32_e32 v27, v1, v22
	v_cmp_ne_u32_e32 vcc, 0, v24
                                        ; implicit-def: $vgpr22_vgpr23
                                        ; implicit-def: $vgpr1
	s_and_saveexec_b64 s[18:19], vcc
	s_xor_b64 s[18:19], exec, s[18:19]
; %bb.4821:                             ;   in Loop: Header=BB6_4475 Depth=2
	v_cmp_lt_u64_e32 vcc, s[62:63], v[27:28]
	v_add_u32_e32 v1, 15, v26
	v_cndmask_b32_e64 v22, 0, 1, vcc
	v_cndmask_b32_e32 v1, v24, v1, vcc
	v_lshrrev_b64 v[22:23], v22, v[27:28]
; %bb.4822:                             ;   in Loop: Header=BB6_4475 Depth=2
	s_andn2_saveexec_b64 s[18:19], s[18:19]
; %bb.4823:                             ;   in Loop: Header=BB6_4475 Depth=2
	v_mov_b32_e32 v22, v27
	v_mov_b32_e32 v23, v28
	v_bfe_u32 v1, v27, 23, 1
; %bb.4824:                             ;   in Loop: Header=BB6_4475 Depth=2
	s_or_b64 exec, exec, s[18:19]
	v_lshrrev_b64 v[22:23], 21, v[22:23]
	v_cmp_gt_i32_e32 vcc, 32, v1
	v_cndmask_b32_e32 v23, 0, v23, vcc
	v_cndmask_b32_e32 v22, 3, v22, vcc
	v_cmp_eq_u32_e32 vcc, 0, v1
	v_min_i32_e32 v1, 31, v1
	v_cmp_eq_u64_e64 s[18:19], 0, v[22:23]
	v_lshlrev_b32_e32 v1, 2, v1
	v_and_b32_e32 v1, 0xfc, v1
	v_and_or_b32 v1, v22, 3, v1
	s_and_b64 s[18:19], vcc, s[18:19]
	v_cndmask_b32_e64 v1, v1, 0, s[18:19]
	v_or_b32_e32 v0, v1, v0
	buffer_store_dword v0, off, s[0:3], s33 offset:148 ; 4-byte Folded Spill
.LBB6_4825:                             ;   in Loop: Header=BB6_4475 Depth=2
	s_or_b64 exec, exec, s[88:89]
                                        ; implicit-def: $vgpr0
.LBB6_4826:                             ;   in Loop: Header=BB6_4475 Depth=2
	s_andn2_saveexec_b64 s[18:19], s[78:79]
	s_cbranch_execz .LBB6_4828
; %bb.4827:                             ;   in Loop: Header=BB6_4475 Depth=2
	v_or_b32_e32 v0, 0x7b, v0
	buffer_store_dword v0, off, s[0:3], s33 offset:148 ; 4-byte Folded Spill
.LBB6_4828:                             ;   in Loop: Header=BB6_4475 Depth=2
	s_or_b64 exec, exec, s[18:19]
                                        ; implicit-def: $vgpr1
.LBB6_4829:                             ;   in Loop: Header=BB6_4475 Depth=2
	s_andn2_saveexec_b64 s[18:19], s[76:77]
	s_cbranch_execz .LBB6_4835
; %bb.4830:                             ;   in Loop: Header=BB6_4475 Depth=2
	v_cmp_ne_u64_e32 vcc, 0, v[27:28]
                                        ; implicit-def: $vgpr0
                                        ; kill: killed $vgpr0
	s_and_saveexec_b64 s[76:77], vcc
	s_xor_b64 s[76:77], exec, s[76:77]
	s_cbranch_execz .LBB6_4832
; %bb.4831:                             ;   in Loop: Header=BB6_4475 Depth=2
	v_or_b32_sdwa v0, v1, s54 dst_sel:DWORD dst_unused:UNUSED_PAD src0_sel:BYTE_3 src1_sel:DWORD
	buffer_store_dword v0, off, s[0:3], s33 offset:148 ; 4-byte Folded Spill
                                        ; implicit-def: $vgpr1
.LBB6_4832:                             ;   in Loop: Header=BB6_4475 Depth=2
	s_andn2_saveexec_b64 s[76:77], s[76:77]
	s_cbranch_execz .LBB6_4834
; %bb.4833:                             ;   in Loop: Header=BB6_4475 Depth=2
	v_cmp_lt_i32_e32 vcc, -1, v1
	v_bfrev_b32_e32 v0, 0.5
	v_mov_b32_e32 v1, 0x7c
	v_cndmask_b32_e32 v0, v0, v1, vcc
	buffer_store_dword v0, off, s[0:3], s33 offset:148 ; 4-byte Folded Spill
.LBB6_4834:                             ;   in Loop: Header=BB6_4475 Depth=2
	s_or_b64 exec, exec, s[76:77]
.LBB6_4835:                             ;   in Loop: Header=BB6_4475 Depth=2
	s_or_b64 exec, exec, s[18:19]
	v_lshrrev_b32_e32 v22, 16, v50
	v_cmp_ne_u16_sdwa s[76:77], v22, v28 src0_sel:BYTE_0 src1_sel:DWORD
	v_mov_b32_e32 v0, 0
	v_mov_b32_e32 v1, 0
	s_and_saveexec_b64 s[18:19], s[76:77]
	s_cbranch_execz .LBB6_4843
; %bb.4836:                             ;   in Loop: Header=BB6_4475 Depth=2
	v_cmp_ne_u16_sdwa s[78:79], v22, s52 src0_sel:BYTE_0 src1_sel:DWORD
	v_bfrev_b32_e32 v1, 1
	s_and_saveexec_b64 s[76:77], s[78:79]
	s_cbranch_execz .LBB6_4842
; %bb.4837:                             ;   in Loop: Header=BB6_4475 Depth=2
	v_and_b32_e32 v1, 0x7c0000, v50
	v_bfe_u32 v23, v50, 16, 2
	v_cmp_ne_u32_e32 vcc, s55, v1
                                        ; implicit-def: $vgpr1
	s_and_saveexec_b64 s[78:79], vcc
	s_xor_b64 s[78:79], exec, s[78:79]
	s_cbranch_execz .LBB6_4839
; %bb.4838:                             ;   in Loop: Header=BB6_4475 Depth=2
	v_ffbh_u32_e32 v24, v23
	v_min_u32_e32 v24, 32, v24
	v_subrev_u32_e32 v26, 29, v24
	v_lshlrev_b64 v[26:27], v26, v[22:23]
	v_bfe_u32 v1, v50, 18, 5
	v_sub_u32_e32 v22, 30, v24
	v_and_b32_e32 v24, 3, v26
	v_cmp_eq_u32_e32 vcc, 0, v1
	v_cndmask_b32_e32 v1, v1, v22, vcc
	v_cndmask_b32_e32 v22, v23, v24, vcc
	v_lshlrev_b32_e32 v23, 8, v50
	v_and_b32_e32 v23, 0x80000000, v23
	v_lshl_add_u32 v1, v1, 23, v23
	v_lshl_or_b32 v1, v22, 21, v1
	v_add_u32_e32 v1, 0x38000000, v1
                                        ; implicit-def: $vgpr23
                                        ; implicit-def: $vgpr22
.LBB6_4839:                             ;   in Loop: Header=BB6_4475 Depth=2
	s_andn2_saveexec_b64 s[78:79], s[78:79]
; %bb.4840:                             ;   in Loop: Header=BB6_4475 Depth=2
	v_mov_b32_e32 v1, -1
	v_cmp_gt_i16_sdwa vcc, sext(v22), v1 src0_sel:BYTE_0 src1_sel:DWORD
	v_mov_b32_e32 v1, 0xff800000
	v_mov_b32_e32 v22, 0x7f800000
	v_cndmask_b32_e32 v1, v1, v22, vcc
	v_cmp_eq_u32_e32 vcc, 0, v23
	v_mov_b32_e32 v22, 0x7f800001
	v_cndmask_b32_e32 v1, v22, v1, vcc
; %bb.4841:                             ;   in Loop: Header=BB6_4475 Depth=2
	s_or_b64 exec, exec, s[78:79]
.LBB6_4842:                             ;   in Loop: Header=BB6_4475 Depth=2
	s_or_b64 exec, exec, s[76:77]
.LBB6_4843:                             ;   in Loop: Header=BB6_4475 Depth=2
	s_or_b64 exec, exec, s[18:19]
	v_lshrrev_b32_e32 v22, 16, v38
	v_cmp_ne_u16_sdwa s[76:77], v22, v28 src0_sel:BYTE_0 src1_sel:DWORD
	s_and_saveexec_b64 s[18:19], s[76:77]
	s_cbranch_execz .LBB6_4851
; %bb.4844:                             ;   in Loop: Header=BB6_4475 Depth=2
	v_cmp_ne_u16_sdwa s[78:79], v22, s52 src0_sel:BYTE_0 src1_sel:DWORD
	v_bfrev_b32_e32 v0, 1
	s_and_saveexec_b64 s[76:77], s[78:79]
	s_cbranch_execz .LBB6_4850
; %bb.4845:                             ;   in Loop: Header=BB6_4475 Depth=2
	v_and_b32_e32 v0, 0x7c0000, v38
	v_bfe_u32 v23, v38, 16, 2
	v_cmp_ne_u32_e32 vcc, s55, v0
                                        ; implicit-def: $vgpr0
	s_and_saveexec_b64 s[78:79], vcc
	s_xor_b64 s[78:79], exec, s[78:79]
	s_cbranch_execz .LBB6_4847
; %bb.4846:                             ;   in Loop: Header=BB6_4475 Depth=2
	v_ffbh_u32_e32 v24, v23
	v_min_u32_e32 v24, 32, v24
	v_subrev_u32_e32 v26, 29, v24
	v_lshlrev_b64 v[26:27], v26, v[22:23]
	v_bfe_u32 v0, v38, 18, 5
	v_sub_u32_e32 v22, 30, v24
	v_and_b32_e32 v24, 3, v26
	v_cmp_eq_u32_e32 vcc, 0, v0
	v_cndmask_b32_e32 v0, v0, v22, vcc
	v_cndmask_b32_e32 v22, v23, v24, vcc
	v_lshlrev_b32_e32 v23, 8, v38
	v_and_b32_e32 v23, 0x80000000, v23
	v_lshl_add_u32 v0, v0, 23, v23
	v_lshl_or_b32 v0, v22, 21, v0
	v_add_u32_e32 v0, 0x38000000, v0
                                        ; implicit-def: $vgpr23
                                        ; implicit-def: $vgpr22
.LBB6_4847:                             ;   in Loop: Header=BB6_4475 Depth=2
	s_andn2_saveexec_b64 s[78:79], s[78:79]
; %bb.4848:                             ;   in Loop: Header=BB6_4475 Depth=2
	v_mov_b32_e32 v0, -1
	v_cmp_gt_i16_sdwa vcc, sext(v22), v0 src0_sel:BYTE_0 src1_sel:DWORD
	v_mov_b32_e32 v0, 0xff800000
	v_mov_b32_e32 v22, 0x7f800000
	v_cndmask_b32_e32 v0, v0, v22, vcc
	v_cmp_eq_u32_e32 vcc, 0, v23
	v_mov_b32_e32 v22, 0x7f800001
	v_cndmask_b32_e32 v0, v22, v0, vcc
; %bb.4849:                             ;   in Loop: Header=BB6_4475 Depth=2
	s_or_b64 exec, exec, s[78:79]
.LBB6_4850:                             ;   in Loop: Header=BB6_4475 Depth=2
	s_or_b64 exec, exec, s[76:77]
.LBB6_4851:                             ;   in Loop: Header=BB6_4475 Depth=2
	s_or_b64 exec, exec, s[18:19]
	v_mul_f32_e32 v1, v1, v0
	v_and_b32_e32 v22, 0x7f800000, v1
	v_mov_b32_e32 v23, v28
	v_cmp_ne_u64_e32 vcc, s[58:59], v[22:23]
	v_and_b32_e32 v27, 0x7fffff, v1
                                        ; implicit-def: $vgpr0
                                        ; kill: killed $vgpr0
	s_and_saveexec_b64 s[18:19], vcc
	s_xor_b64 s[76:77], exec, s[18:19]
	s_cbranch_execz .LBB6_4865
; %bb.4852:                             ;   in Loop: Header=BB6_4475 Depth=2
	v_and_b32_e32 v22, 0x7fffffff, v1
	v_mov_b32_e32 v23, v28
	v_cmp_gt_u64_e32 vcc, s[60:61], v[22:23]
	v_and_b32_sdwa v0, v1, s52 dst_sel:DWORD dst_unused:UNUSED_PAD src0_sel:BYTE_3 src1_sel:DWORD
                                        ; implicit-def: $vgpr22
                                        ; kill: killed $vgpr22
	s_and_saveexec_b64 s[18:19], vcc
	s_xor_b64 s[78:79], exec, s[18:19]
	s_cbranch_execz .LBB6_4862
; %bb.4853:                             ;   in Loop: Header=BB6_4475 Depth=2
	v_mov_b32_e32 v22, 0
	v_cmp_ne_u32_e32 vcc, 0, v1
	buffer_store_dword v22, off, s[0:3], s33 offset:156 ; 4-byte Folded Spill
	s_and_saveexec_b64 s[88:89], vcc
	s_cbranch_execz .LBB6_4861
; %bb.4854:                             ;   in Loop: Header=BB6_4475 Depth=2
	v_bfe_u32 v1, v1, 23, 8
	v_cmp_gt_u32_e64 s[18:19], s53, v1
	v_sub_u32_e32 v22, 0x71, v1
	v_cmp_eq_u32_e32 vcc, 0, v1
	v_cndmask_b32_e64 v22, 0, v22, s[18:19]
	v_mov_b32_e32 v24, 0x70
	v_cndmask_b32_e32 v26, v22, v24, vcc
	v_add_u32_e32 v24, 21, v26
	v_or_b32_e32 v23, 0x800000, v27
	v_lshlrev_b64 v[29:30], v24, -1
	v_cndmask_b32_e32 v22, v23, v27, vcc
	v_mov_b32_e32 v23, v28
	v_add_u32_e32 v24, 20, v26
	v_bfi_b32 v29, v29, 0, v22
	v_lshlrev_b64 v[36:37], v24, 1
	v_lshrrev_b64 v[22:23], v26, v[22:23]
	v_bfi_b32 v30, v30, 0, 0
	v_cmp_eq_u64_e64 s[18:19], v[29:30], v[36:37]
	v_mov_b32_e32 v24, v23
	v_mov_b32_e32 v23, v22
	s_and_saveexec_b64 s[90:91], s[18:19]
; %bb.4855:                             ;   in Loop: Header=BB6_4475 Depth=2
	v_bfe_u32 v23, v22, 21, 1
	v_add_co_u32_e64 v23, s[18:19], v22, v23
	v_add_co_u32_e64 v23, s[18:19], -1, v23
; %bb.4856:                             ;   in Loop: Header=BB6_4475 Depth=2
	s_or_b64 exec, exec, s[90:91]
	v_add_u32_e32 v1, 0xffffff81, v1
	v_mov_b32_e32 v24, 0xffffff82
	v_cndmask_b32_e32 v1, v1, v24, vcc
	v_lshrrev_b32_e32 v24, 23, v22
	v_add3_u32 v26, v26, v1, v24
	v_add_u32_e32 v24, 14, v26
	v_and_b32_e32 v1, 0x1fffff, v23
	v_add_u32_e32 v27, v1, v22
	v_cmp_ne_u32_e32 vcc, 0, v24
                                        ; implicit-def: $vgpr22_vgpr23
                                        ; implicit-def: $vgpr1
	s_and_saveexec_b64 s[18:19], vcc
	s_xor_b64 s[18:19], exec, s[18:19]
; %bb.4857:                             ;   in Loop: Header=BB6_4475 Depth=2
	v_cmp_lt_u64_e32 vcc, s[62:63], v[27:28]
	v_add_u32_e32 v1, 15, v26
	v_cndmask_b32_e64 v22, 0, 1, vcc
	v_cndmask_b32_e32 v1, v24, v1, vcc
	v_lshrrev_b64 v[22:23], v22, v[27:28]
; %bb.4858:                             ;   in Loop: Header=BB6_4475 Depth=2
	s_andn2_saveexec_b64 s[18:19], s[18:19]
; %bb.4859:                             ;   in Loop: Header=BB6_4475 Depth=2
	v_mov_b32_e32 v22, v27
	v_mov_b32_e32 v23, v28
	v_bfe_u32 v1, v27, 23, 1
; %bb.4860:                             ;   in Loop: Header=BB6_4475 Depth=2
	s_or_b64 exec, exec, s[18:19]
	v_lshrrev_b64 v[22:23], 21, v[22:23]
	v_cmp_gt_i32_e32 vcc, 32, v1
	v_cndmask_b32_e32 v23, 0, v23, vcc
	v_cndmask_b32_e32 v22, 3, v22, vcc
	v_cmp_eq_u32_e32 vcc, 0, v1
	v_min_i32_e32 v1, 31, v1
	v_cmp_eq_u64_e64 s[18:19], 0, v[22:23]
	v_lshlrev_b32_e32 v1, 2, v1
	v_and_b32_e32 v1, 0xfc, v1
	v_and_or_b32 v1, v22, 3, v1
	s_and_b64 s[18:19], vcc, s[18:19]
	v_cndmask_b32_e64 v1, v1, 0, s[18:19]
	v_or_b32_e32 v0, v1, v0
	buffer_store_dword v0, off, s[0:3], s33 offset:156 ; 4-byte Folded Spill
.LBB6_4861:                             ;   in Loop: Header=BB6_4475 Depth=2
	s_or_b64 exec, exec, s[88:89]
                                        ; implicit-def: $vgpr0
.LBB6_4862:                             ;   in Loop: Header=BB6_4475 Depth=2
	s_andn2_saveexec_b64 s[18:19], s[78:79]
	s_cbranch_execz .LBB6_4864
; %bb.4863:                             ;   in Loop: Header=BB6_4475 Depth=2
	v_or_b32_e32 v0, 0x7b, v0
	buffer_store_dword v0, off, s[0:3], s33 offset:156 ; 4-byte Folded Spill
.LBB6_4864:                             ;   in Loop: Header=BB6_4475 Depth=2
	s_or_b64 exec, exec, s[18:19]
                                        ; implicit-def: $vgpr1
.LBB6_4865:                             ;   in Loop: Header=BB6_4475 Depth=2
	s_andn2_saveexec_b64 s[18:19], s[76:77]
	s_cbranch_execz .LBB6_4871
; %bb.4866:                             ;   in Loop: Header=BB6_4475 Depth=2
	v_cmp_ne_u64_e32 vcc, 0, v[27:28]
                                        ; implicit-def: $vgpr0
                                        ; kill: killed $vgpr0
	s_and_saveexec_b64 s[76:77], vcc
	s_xor_b64 s[76:77], exec, s[76:77]
	s_cbranch_execz .LBB6_4868
; %bb.4867:                             ;   in Loop: Header=BB6_4475 Depth=2
	v_or_b32_sdwa v0, v1, s54 dst_sel:DWORD dst_unused:UNUSED_PAD src0_sel:BYTE_3 src1_sel:DWORD
	buffer_store_dword v0, off, s[0:3], s33 offset:156 ; 4-byte Folded Spill
                                        ; implicit-def: $vgpr1
.LBB6_4868:                             ;   in Loop: Header=BB6_4475 Depth=2
	s_andn2_saveexec_b64 s[76:77], s[76:77]
	s_cbranch_execz .LBB6_4870
; %bb.4869:                             ;   in Loop: Header=BB6_4475 Depth=2
	v_cmp_lt_i32_e32 vcc, -1, v1
	v_bfrev_b32_e32 v0, 0.5
	v_mov_b32_e32 v1, 0x7c
	v_cndmask_b32_e32 v0, v0, v1, vcc
	buffer_store_dword v0, off, s[0:3], s33 offset:156 ; 4-byte Folded Spill
.LBB6_4870:                             ;   in Loop: Header=BB6_4475 Depth=2
	s_or_b64 exec, exec, s[76:77]
.LBB6_4871:                             ;   in Loop: Header=BB6_4475 Depth=2
	s_or_b64 exec, exec, s[18:19]
	v_cmp_lt_u32_e32 vcc, s57, v50
	v_mov_b32_e32 v0, 0
	v_mov_b32_e32 v1, 0
	s_and_saveexec_b64 s[18:19], vcc
	s_cbranch_execz .LBB6_4879
; %bb.4872:                             ;   in Loop: Header=BB6_4475 Depth=2
	v_lshrrev_b32_e32 v22, 24, v50
	v_cmp_ne_u32_e32 vcc, s52, v22
	v_bfrev_b32_e32 v1, 1
	s_and_saveexec_b64 s[76:77], vcc
	s_cbranch_execz .LBB6_4878
; %bb.4873:                             ;   in Loop: Header=BB6_4475 Depth=2
	v_and_b32_e32 v1, 0x7c000000, v50
	v_bfe_u32 v23, v50, 24, 2
	v_cmp_ne_u32_e32 vcc, s64, v1
                                        ; implicit-def: $vgpr1
	s_and_saveexec_b64 s[78:79], vcc
	s_xor_b64 s[78:79], exec, s[78:79]
	s_cbranch_execz .LBB6_4875
; %bb.4874:                             ;   in Loop: Header=BB6_4475 Depth=2
	v_ffbh_u32_e32 v24, v23
	v_min_u32_e32 v24, 32, v24
	v_subrev_u32_e32 v26, 29, v24
	v_lshlrev_b64 v[26:27], v26, v[22:23]
	v_bfe_u32 v1, v50, 26, 5
	v_sub_u32_e32 v22, 30, v24
	v_and_b32_e32 v24, 3, v26
	v_cmp_eq_u32_e32 vcc, 0, v1
	v_cndmask_b32_e32 v1, v1, v22, vcc
	v_cndmask_b32_e32 v22, v23, v24, vcc
	v_and_b32_e32 v23, 0x80000000, v50
	v_lshl_add_u32 v1, v1, 23, v23
	v_lshl_or_b32 v1, v22, 21, v1
	v_add_u32_e32 v1, 0x38000000, v1
                                        ; implicit-def: $vgpr23
.LBB6_4875:                             ;   in Loop: Header=BB6_4475 Depth=2
	s_andn2_saveexec_b64 s[78:79], s[78:79]
; %bb.4876:                             ;   in Loop: Header=BB6_4475 Depth=2
	v_cmp_lt_i32_e32 vcc, -1, v50
	v_mov_b32_e32 v1, 0xff800000
	v_mov_b32_e32 v22, 0x7f800000
	v_cndmask_b32_e32 v1, v1, v22, vcc
	v_cmp_eq_u32_e32 vcc, 0, v23
	v_mov_b32_e32 v22, 0x7f800001
	v_cndmask_b32_e32 v1, v22, v1, vcc
; %bb.4877:                             ;   in Loop: Header=BB6_4475 Depth=2
	s_or_b64 exec, exec, s[78:79]
.LBB6_4878:                             ;   in Loop: Header=BB6_4475 Depth=2
	s_or_b64 exec, exec, s[76:77]
.LBB6_4879:                             ;   in Loop: Header=BB6_4475 Depth=2
	s_or_b64 exec, exec, s[18:19]
	v_cmp_lt_u32_e32 vcc, s57, v38
	s_and_saveexec_b64 s[18:19], vcc
	s_cbranch_execz .LBB6_4887
; %bb.4880:                             ;   in Loop: Header=BB6_4475 Depth=2
	v_lshrrev_b32_e32 v22, 24, v38
	v_cmp_ne_u32_e32 vcc, s52, v22
	v_bfrev_b32_e32 v0, 1
	s_and_saveexec_b64 s[76:77], vcc
	s_cbranch_execz .LBB6_4886
; %bb.4881:                             ;   in Loop: Header=BB6_4475 Depth=2
	v_and_b32_e32 v0, 0x7c000000, v38
	v_bfe_u32 v23, v38, 24, 2
	v_cmp_ne_u32_e32 vcc, s64, v0
                                        ; implicit-def: $vgpr0
	s_and_saveexec_b64 s[78:79], vcc
	s_xor_b64 s[78:79], exec, s[78:79]
	s_cbranch_execz .LBB6_4883
; %bb.4882:                             ;   in Loop: Header=BB6_4475 Depth=2
	v_ffbh_u32_e32 v24, v23
	v_min_u32_e32 v24, 32, v24
	v_subrev_u32_e32 v26, 29, v24
	v_lshlrev_b64 v[26:27], v26, v[22:23]
	v_bfe_u32 v0, v38, 26, 5
	v_sub_u32_e32 v22, 30, v24
	v_and_b32_e32 v24, 3, v26
	v_cmp_eq_u32_e32 vcc, 0, v0
	v_cndmask_b32_e32 v0, v0, v22, vcc
	v_cndmask_b32_e32 v22, v23, v24, vcc
	v_and_b32_e32 v23, 0x80000000, v38
	v_lshl_add_u32 v0, v0, 23, v23
	v_lshl_or_b32 v0, v22, 21, v0
	v_add_u32_e32 v0, 0x38000000, v0
                                        ; implicit-def: $vgpr23
.LBB6_4883:                             ;   in Loop: Header=BB6_4475 Depth=2
	s_andn2_saveexec_b64 s[78:79], s[78:79]
; %bb.4884:                             ;   in Loop: Header=BB6_4475 Depth=2
	v_cmp_lt_i32_e32 vcc, -1, v38
	v_mov_b32_e32 v0, 0xff800000
	v_mov_b32_e32 v22, 0x7f800000
	v_cndmask_b32_e32 v0, v0, v22, vcc
	v_cmp_eq_u32_e32 vcc, 0, v23
	v_mov_b32_e32 v22, 0x7f800001
	v_cndmask_b32_e32 v0, v22, v0, vcc
; %bb.4885:                             ;   in Loop: Header=BB6_4475 Depth=2
	s_or_b64 exec, exec, s[78:79]
.LBB6_4886:                             ;   in Loop: Header=BB6_4475 Depth=2
	s_or_b64 exec, exec, s[76:77]
.LBB6_4887:                             ;   in Loop: Header=BB6_4475 Depth=2
	s_or_b64 exec, exec, s[18:19]
	v_mul_f32_e32 v1, v1, v0
	v_and_b32_e32 v22, 0x7f800000, v1
	v_mov_b32_e32 v23, v28
	v_cmp_ne_u64_e32 vcc, s[58:59], v[22:23]
	v_and_b32_e32 v27, 0x7fffff, v1
                                        ; implicit-def: $vgpr0
                                        ; kill: killed $vgpr0
	s_and_saveexec_b64 s[18:19], vcc
	s_xor_b64 s[76:77], exec, s[18:19]
	s_cbranch_execz .LBB6_4901
; %bb.4888:                             ;   in Loop: Header=BB6_4475 Depth=2
	v_and_b32_e32 v22, 0x7fffffff, v1
	v_mov_b32_e32 v23, v28
	v_cmp_gt_u64_e32 vcc, s[60:61], v[22:23]
	v_and_b32_sdwa v0, v1, s52 dst_sel:DWORD dst_unused:UNUSED_PAD src0_sel:BYTE_3 src1_sel:DWORD
                                        ; implicit-def: $vgpr22
                                        ; kill: killed $vgpr22
	s_and_saveexec_b64 s[18:19], vcc
	s_xor_b64 s[78:79], exec, s[18:19]
	s_cbranch_execz .LBB6_4898
; %bb.4889:                             ;   in Loop: Header=BB6_4475 Depth=2
	v_mov_b32_e32 v22, 0
	v_cmp_ne_u32_e32 vcc, 0, v1
	buffer_store_dword v22, off, s[0:3], s33 offset:164 ; 4-byte Folded Spill
	s_and_saveexec_b64 s[88:89], vcc
	s_cbranch_execz .LBB6_4897
; %bb.4890:                             ;   in Loop: Header=BB6_4475 Depth=2
	v_bfe_u32 v1, v1, 23, 8
	v_cmp_gt_u32_e64 s[18:19], s53, v1
	v_sub_u32_e32 v22, 0x71, v1
	v_cmp_eq_u32_e32 vcc, 0, v1
	v_cndmask_b32_e64 v22, 0, v22, s[18:19]
	v_mov_b32_e32 v24, 0x70
	v_cndmask_b32_e32 v26, v22, v24, vcc
	v_add_u32_e32 v24, 21, v26
	v_or_b32_e32 v23, 0x800000, v27
	v_lshlrev_b64 v[29:30], v24, -1
	v_cndmask_b32_e32 v22, v23, v27, vcc
	v_mov_b32_e32 v23, v28
	v_add_u32_e32 v24, 20, v26
	v_bfi_b32 v29, v29, 0, v22
	v_lshlrev_b64 v[36:37], v24, 1
	v_lshrrev_b64 v[22:23], v26, v[22:23]
	v_bfi_b32 v30, v30, 0, 0
	v_cmp_eq_u64_e64 s[18:19], v[29:30], v[36:37]
	v_mov_b32_e32 v24, v23
	v_mov_b32_e32 v23, v22
	s_and_saveexec_b64 s[90:91], s[18:19]
; %bb.4891:                             ;   in Loop: Header=BB6_4475 Depth=2
	v_bfe_u32 v23, v22, 21, 1
	v_add_co_u32_e64 v23, s[18:19], v22, v23
	v_add_co_u32_e64 v23, s[18:19], -1, v23
; %bb.4892:                             ;   in Loop: Header=BB6_4475 Depth=2
	s_or_b64 exec, exec, s[90:91]
	v_add_u32_e32 v1, 0xffffff81, v1
	v_mov_b32_e32 v24, 0xffffff82
	v_cndmask_b32_e32 v1, v1, v24, vcc
	v_lshrrev_b32_e32 v24, 23, v22
	v_add3_u32 v26, v26, v1, v24
	v_add_u32_e32 v24, 14, v26
	v_and_b32_e32 v1, 0x1fffff, v23
	v_add_u32_e32 v27, v1, v22
	v_cmp_ne_u32_e32 vcc, 0, v24
                                        ; implicit-def: $vgpr22_vgpr23
                                        ; implicit-def: $vgpr1
	s_and_saveexec_b64 s[18:19], vcc
	s_xor_b64 s[18:19], exec, s[18:19]
; %bb.4893:                             ;   in Loop: Header=BB6_4475 Depth=2
	v_cmp_lt_u64_e32 vcc, s[62:63], v[27:28]
	v_add_u32_e32 v1, 15, v26
	v_cndmask_b32_e64 v22, 0, 1, vcc
	v_cndmask_b32_e32 v1, v24, v1, vcc
	v_lshrrev_b64 v[22:23], v22, v[27:28]
; %bb.4894:                             ;   in Loop: Header=BB6_4475 Depth=2
	s_andn2_saveexec_b64 s[18:19], s[18:19]
; %bb.4895:                             ;   in Loop: Header=BB6_4475 Depth=2
	v_mov_b32_e32 v22, v27
	v_mov_b32_e32 v23, v28
	v_bfe_u32 v1, v27, 23, 1
; %bb.4896:                             ;   in Loop: Header=BB6_4475 Depth=2
	s_or_b64 exec, exec, s[18:19]
	v_lshrrev_b64 v[22:23], 21, v[22:23]
	v_cmp_gt_i32_e32 vcc, 32, v1
	v_cndmask_b32_e32 v23, 0, v23, vcc
	v_cndmask_b32_e32 v22, 3, v22, vcc
	v_cmp_eq_u32_e32 vcc, 0, v1
	v_min_i32_e32 v1, 31, v1
	v_cmp_eq_u64_e64 s[18:19], 0, v[22:23]
	v_lshlrev_b32_e32 v1, 2, v1
	v_and_b32_e32 v1, 0xfc, v1
	v_and_or_b32 v1, v22, 3, v1
	s_and_b64 s[18:19], vcc, s[18:19]
	v_cndmask_b32_e64 v1, v1, 0, s[18:19]
	v_or_b32_e32 v0, v1, v0
	buffer_store_dword v0, off, s[0:3], s33 offset:164 ; 4-byte Folded Spill
.LBB6_4897:                             ;   in Loop: Header=BB6_4475 Depth=2
	s_or_b64 exec, exec, s[88:89]
                                        ; implicit-def: $vgpr0
.LBB6_4898:                             ;   in Loop: Header=BB6_4475 Depth=2
	s_andn2_saveexec_b64 s[18:19], s[78:79]
	s_cbranch_execz .LBB6_4900
; %bb.4899:                             ;   in Loop: Header=BB6_4475 Depth=2
	v_or_b32_e32 v0, 0x7b, v0
	buffer_store_dword v0, off, s[0:3], s33 offset:164 ; 4-byte Folded Spill
.LBB6_4900:                             ;   in Loop: Header=BB6_4475 Depth=2
	s_or_b64 exec, exec, s[18:19]
                                        ; implicit-def: $vgpr1
.LBB6_4901:                             ;   in Loop: Header=BB6_4475 Depth=2
	s_andn2_saveexec_b64 s[18:19], s[76:77]
	s_cbranch_execz .LBB6_4907
; %bb.4902:                             ;   in Loop: Header=BB6_4475 Depth=2
	v_cmp_ne_u64_e32 vcc, 0, v[27:28]
                                        ; implicit-def: $vgpr0
                                        ; kill: killed $vgpr0
	s_and_saveexec_b64 s[76:77], vcc
	s_xor_b64 s[76:77], exec, s[76:77]
	s_cbranch_execz .LBB6_4904
; %bb.4903:                             ;   in Loop: Header=BB6_4475 Depth=2
	v_or_b32_sdwa v0, v1, s54 dst_sel:DWORD dst_unused:UNUSED_PAD src0_sel:BYTE_3 src1_sel:DWORD
	buffer_store_dword v0, off, s[0:3], s33 offset:164 ; 4-byte Folded Spill
                                        ; implicit-def: $vgpr1
.LBB6_4904:                             ;   in Loop: Header=BB6_4475 Depth=2
	s_andn2_saveexec_b64 s[76:77], s[76:77]
	s_cbranch_execz .LBB6_4906
; %bb.4905:                             ;   in Loop: Header=BB6_4475 Depth=2
	v_cmp_lt_i32_e32 vcc, -1, v1
	v_bfrev_b32_e32 v0, 0.5
	v_mov_b32_e32 v1, 0x7c
	v_cndmask_b32_e32 v0, v0, v1, vcc
	buffer_store_dword v0, off, s[0:3], s33 offset:164 ; 4-byte Folded Spill
.LBB6_4906:                             ;   in Loop: Header=BB6_4475 Depth=2
	s_or_b64 exec, exec, s[76:77]
.LBB6_4907:                             ;   in Loop: Header=BB6_4475 Depth=2
	s_or_b64 exec, exec, s[18:19]
	v_mov_b32_e32 v27, v51
	v_cmp_ne_u16_sdwa s[76:77], v51, v28 src0_sel:BYTE_0 src1_sel:DWORD
	v_mov_b32_e32 v1, 0
	v_mov_b32_e32 v0, 0
	s_and_saveexec_b64 s[18:19], s[76:77]
	s_cbranch_execz .LBB6_4915
; %bb.4908:                             ;   in Loop: Header=BB6_4475 Depth=2
	v_cmp_ne_u16_sdwa s[78:79], v51, s52 src0_sel:BYTE_0 src1_sel:DWORD
	v_bfrev_b32_e32 v0, 1
	s_and_saveexec_b64 s[76:77], s[78:79]
	s_cbranch_execz .LBB6_4914
; %bb.4909:                             ;   in Loop: Header=BB6_4475 Depth=2
	v_and_b32_e32 v0, 0x7c, v51
	v_and_b32_e32 v22, 3, v51
	v_cmp_ne_u32_e32 vcc, s50, v0
                                        ; implicit-def: $vgpr0
	s_and_saveexec_b64 s[78:79], vcc
	s_xor_b64 s[78:79], exec, s[78:79]
	s_cbranch_execz .LBB6_4911
; %bb.4910:                             ;   in Loop: Header=BB6_4475 Depth=2
	v_ffbh_u32_e32 v23, v22
	v_min_u32_e32 v26, 32, v23
	v_subrev_u32_e32 v23, 29, v26
	v_lshlrev_b64 v[23:24], v23, v[27:28]
	v_bfe_u32 v0, v51, 2, 5
	v_and_b32_e32 v23, 3, v23
	v_cmp_eq_u32_e32 vcc, 0, v0
	v_sub_u32_e32 v24, 30, v26
	v_cndmask_b32_e32 v22, v22, v23, vcc
	v_lshlrev_b32_e32 v23, 24, v51
	v_cndmask_b32_e32 v0, v0, v24, vcc
	v_and_b32_e32 v23, 0x80000000, v23
	v_lshl_add_u32 v0, v0, 23, v23
	v_lshl_or_b32 v0, v22, 21, v0
	v_add_u32_e32 v0, 0x38000000, v0
                                        ; implicit-def: $vgpr22
.LBB6_4911:                             ;   in Loop: Header=BB6_4475 Depth=2
	s_andn2_saveexec_b64 s[78:79], s[78:79]
; %bb.4912:                             ;   in Loop: Header=BB6_4475 Depth=2
	v_mov_b32_e32 v0, -1
	v_cmp_gt_i16_sdwa vcc, sext(v51), v0 src0_sel:BYTE_0 src1_sel:DWORD
	v_mov_b32_e32 v0, 0xff800000
	v_mov_b32_e32 v23, 0x7f800000
	v_cndmask_b32_e32 v0, v0, v23, vcc
	v_cmp_eq_u32_e32 vcc, 0, v22
	v_mov_b32_e32 v22, 0x7f800001
	v_cndmask_b32_e32 v0, v22, v0, vcc
; %bb.4913:                             ;   in Loop: Header=BB6_4475 Depth=2
	s_or_b64 exec, exec, s[78:79]
.LBB6_4914:                             ;   in Loop: Header=BB6_4475 Depth=2
	s_or_b64 exec, exec, s[76:77]
.LBB6_4915:                             ;   in Loop: Header=BB6_4475 Depth=2
	s_or_b64 exec, exec, s[18:19]
	v_cmp_ne_u16_sdwa s[76:77], v39, v28 src0_sel:BYTE_0 src1_sel:DWORD
	s_and_saveexec_b64 s[18:19], s[76:77]
	s_cbranch_execz .LBB6_4923
; %bb.4916:                             ;   in Loop: Header=BB6_4475 Depth=2
	v_cmp_ne_u16_sdwa s[78:79], v39, s52 src0_sel:BYTE_0 src1_sel:DWORD
	v_bfrev_b32_e32 v1, 1
	s_and_saveexec_b64 s[76:77], s[78:79]
	s_cbranch_execz .LBB6_4922
; %bb.4917:                             ;   in Loop: Header=BB6_4475 Depth=2
	v_and_b32_e32 v1, 0x7c, v39
	v_and_b32_e32 v22, 3, v39
	v_cmp_ne_u32_e32 vcc, s50, v1
                                        ; implicit-def: $vgpr1
	s_and_saveexec_b64 s[78:79], vcc
	s_xor_b64 s[78:79], exec, s[78:79]
	s_cbranch_execz .LBB6_4919
; %bb.4918:                             ;   in Loop: Header=BB6_4475 Depth=2
	v_ffbh_u32_e32 v26, v22
	v_min_u32_e32 v26, 32, v26
	v_mov_b32_e32 v23, v39
	v_mov_b32_e32 v24, v28
	v_subrev_u32_e32 v29, 29, v26
	v_lshlrev_b64 v[23:24], v29, v[23:24]
	v_bfe_u32 v1, v39, 2, 5
	v_and_b32_e32 v23, 3, v23
	v_cmp_eq_u32_e32 vcc, 0, v1
	v_sub_u32_e32 v24, 30, v26
	v_cndmask_b32_e32 v22, v22, v23, vcc
	v_lshlrev_b32_e32 v23, 24, v39
	v_cndmask_b32_e32 v1, v1, v24, vcc
	v_and_b32_e32 v23, 0x80000000, v23
	v_lshl_add_u32 v1, v1, 23, v23
	v_lshl_or_b32 v1, v22, 21, v1
	v_add_u32_e32 v1, 0x38000000, v1
                                        ; implicit-def: $vgpr22
.LBB6_4919:                             ;   in Loop: Header=BB6_4475 Depth=2
	s_andn2_saveexec_b64 s[78:79], s[78:79]
; %bb.4920:                             ;   in Loop: Header=BB6_4475 Depth=2
	v_mov_b32_e32 v1, -1
	v_cmp_gt_i16_sdwa vcc, sext(v39), v1 src0_sel:BYTE_0 src1_sel:DWORD
	v_mov_b32_e32 v1, 0xff800000
	v_mov_b32_e32 v23, 0x7f800000
	v_cndmask_b32_e32 v1, v1, v23, vcc
	v_cmp_eq_u32_e32 vcc, 0, v22
	v_mov_b32_e32 v22, 0x7f800001
	v_cndmask_b32_e32 v1, v22, v1, vcc
; %bb.4921:                             ;   in Loop: Header=BB6_4475 Depth=2
	s_or_b64 exec, exec, s[78:79]
.LBB6_4922:                             ;   in Loop: Header=BB6_4475 Depth=2
	s_or_b64 exec, exec, s[76:77]
.LBB6_4923:                             ;   in Loop: Header=BB6_4475 Depth=2
	s_or_b64 exec, exec, s[18:19]
	v_mul_f32_e32 v1, v0, v1
	v_and_b32_e32 v23, 0x7f800000, v1
	v_mov_b32_e32 v24, v28
	v_cmp_ne_u64_e32 vcc, s[58:59], v[23:24]
	v_and_b32_e32 v22, 0x7fffff, v1
	v_mov_b32_e32 v23, v28
                                        ; implicit-def: $vgpr0
                                        ; kill: killed $vgpr0
	s_and_saveexec_b64 s[18:19], vcc
	s_xor_b64 s[76:77], exec, s[18:19]
	s_cbranch_execz .LBB6_4937
; %bb.4924:                             ;   in Loop: Header=BB6_4475 Depth=2
	v_and_b32_e32 v29, 0x7fffffff, v1
	v_mov_b32_e32 v30, v28
	v_cmp_gt_u64_e32 vcc, s[60:61], v[29:30]
	v_and_b32_sdwa v0, v1, s52 dst_sel:DWORD dst_unused:UNUSED_PAD src0_sel:BYTE_3 src1_sel:DWORD
                                        ; implicit-def: $vgpr24
                                        ; kill: killed $vgpr24
	s_and_saveexec_b64 s[18:19], vcc
	s_xor_b64 s[78:79], exec, s[18:19]
	s_cbranch_execz .LBB6_4934
; %bb.4925:                             ;   in Loop: Header=BB6_4475 Depth=2
	v_mov_b32_e32 v24, 0
	v_cmp_ne_u32_e32 vcc, 0, v1
	buffer_store_dword v24, off, s[0:3], s33 offset:172 ; 4-byte Folded Spill
	s_and_saveexec_b64 s[88:89], vcc
	s_cbranch_execz .LBB6_4933
; %bb.4926:                             ;   in Loop: Header=BB6_4475 Depth=2
	v_bfe_u32 v1, v1, 23, 8
	v_cmp_gt_u32_e64 s[18:19], s53, v1
	v_sub_u32_e32 v24, 0x71, v1
	v_cmp_eq_u32_e32 vcc, 0, v1
	v_cndmask_b32_e64 v24, 0, v24, s[18:19]
	v_mov_b32_e32 v26, 0x70
	v_cndmask_b32_e32 v26, v24, v26, vcc
	v_or_b32_e32 v29, 0x800000, v22
	v_add_u32_e32 v24, 21, v26
	v_cndmask_b32_e32 v22, v29, v22, vcc
	v_lshlrev_b64 v[29:30], v24, -1
	v_add_u32_e32 v24, 20, v26
	v_bfi_b32 v29, v29, 0, v22
	v_lshlrev_b64 v[36:37], v24, 1
	v_lshrrev_b64 v[22:23], v26, v[22:23]
	v_bfi_b32 v30, v30, 0, 0
	v_cmp_eq_u64_e64 s[18:19], v[29:30], v[36:37]
	v_mov_b32_e32 v24, v23
	v_mov_b32_e32 v23, v22
	s_and_saveexec_b64 s[90:91], s[18:19]
; %bb.4927:                             ;   in Loop: Header=BB6_4475 Depth=2
	v_bfe_u32 v23, v22, 21, 1
	v_add_co_u32_e64 v23, s[18:19], v22, v23
	v_add_co_u32_e64 v23, s[18:19], -1, v23
; %bb.4928:                             ;   in Loop: Header=BB6_4475 Depth=2
	s_or_b64 exec, exec, s[90:91]
	v_add_u32_e32 v1, 0xffffff81, v1
	v_mov_b32_e32 v24, 0xffffff82
	v_cndmask_b32_e32 v1, v1, v24, vcc
	v_lshrrev_b32_e32 v24, 23, v22
	v_add3_u32 v26, v26, v1, v24
	v_add_u32_e32 v24, 14, v26
	v_and_b32_e32 v1, 0x1fffff, v23
	v_add_u32_e32 v22, v1, v22
	v_mov_b32_e32 v23, v28
	v_cmp_ne_u32_e32 vcc, 0, v24
                                        ; implicit-def: $vgpr1
	s_and_saveexec_b64 s[18:19], vcc
	s_xor_b64 s[18:19], exec, s[18:19]
; %bb.4929:                             ;   in Loop: Header=BB6_4475 Depth=2
	v_cmp_lt_u64_e32 vcc, s[62:63], v[22:23]
	v_add_u32_e32 v1, 15, v26
	v_cndmask_b32_e32 v1, v24, v1, vcc
	v_cndmask_b32_e64 v24, 0, 1, vcc
	v_lshrrev_b64 v[22:23], v24, v[22:23]
; %bb.4930:                             ;   in Loop: Header=BB6_4475 Depth=2
	s_andn2_saveexec_b64 s[18:19], s[18:19]
; %bb.4931:                             ;   in Loop: Header=BB6_4475 Depth=2
	v_bfe_u32 v1, v22, 23, 1
; %bb.4932:                             ;   in Loop: Header=BB6_4475 Depth=2
	s_or_b64 exec, exec, s[18:19]
	v_lshrrev_b64 v[22:23], 21, v[22:23]
	v_cmp_gt_i32_e32 vcc, 32, v1
	v_cndmask_b32_e32 v23, 0, v23, vcc
	v_cndmask_b32_e32 v22, 3, v22, vcc
	v_cmp_eq_u32_e32 vcc, 0, v1
	v_min_i32_e32 v1, 31, v1
	v_cmp_eq_u64_e64 s[18:19], 0, v[22:23]
	v_lshlrev_b32_e32 v1, 2, v1
	v_and_b32_e32 v1, 0xfc, v1
	v_and_or_b32 v1, v22, 3, v1
	s_and_b64 s[18:19], vcc, s[18:19]
	v_cndmask_b32_e64 v1, v1, 0, s[18:19]
	v_or_b32_e32 v0, v1, v0
	buffer_store_dword v0, off, s[0:3], s33 offset:172 ; 4-byte Folded Spill
.LBB6_4933:                             ;   in Loop: Header=BB6_4475 Depth=2
	s_or_b64 exec, exec, s[88:89]
                                        ; implicit-def: $vgpr0
.LBB6_4934:                             ;   in Loop: Header=BB6_4475 Depth=2
	s_andn2_saveexec_b64 s[18:19], s[78:79]
	s_cbranch_execz .LBB6_4936
; %bb.4935:                             ;   in Loop: Header=BB6_4475 Depth=2
	v_or_b32_e32 v0, 0x7b, v0
	buffer_store_dword v0, off, s[0:3], s33 offset:172 ; 4-byte Folded Spill
.LBB6_4936:                             ;   in Loop: Header=BB6_4475 Depth=2
	s_or_b64 exec, exec, s[18:19]
                                        ; implicit-def: $vgpr1
                                        ; implicit-def: $vgpr22_vgpr23
.LBB6_4937:                             ;   in Loop: Header=BB6_4475 Depth=2
	s_andn2_saveexec_b64 s[18:19], s[76:77]
	s_cbranch_execz .LBB6_4943
; %bb.4938:                             ;   in Loop: Header=BB6_4475 Depth=2
	v_cmp_ne_u64_e32 vcc, 0, v[22:23]
                                        ; implicit-def: $vgpr0
                                        ; kill: killed $vgpr0
	s_and_saveexec_b64 s[76:77], vcc
	s_xor_b64 s[76:77], exec, s[76:77]
	s_cbranch_execz .LBB6_4940
; %bb.4939:                             ;   in Loop: Header=BB6_4475 Depth=2
	v_or_b32_sdwa v0, v1, s54 dst_sel:DWORD dst_unused:UNUSED_PAD src0_sel:BYTE_3 src1_sel:DWORD
	buffer_store_dword v0, off, s[0:3], s33 offset:172 ; 4-byte Folded Spill
                                        ; implicit-def: $vgpr1
.LBB6_4940:                             ;   in Loop: Header=BB6_4475 Depth=2
	s_andn2_saveexec_b64 s[76:77], s[76:77]
	s_cbranch_execz .LBB6_4942
; %bb.4941:                             ;   in Loop: Header=BB6_4475 Depth=2
	v_cmp_lt_i32_e32 vcc, -1, v1
	v_bfrev_b32_e32 v0, 0.5
	v_mov_b32_e32 v1, 0x7c
	v_cndmask_b32_e32 v0, v0, v1, vcc
	buffer_store_dword v0, off, s[0:3], s33 offset:172 ; 4-byte Folded Spill
.LBB6_4942:                             ;   in Loop: Header=BB6_4475 Depth=2
	s_or_b64 exec, exec, s[76:77]
.LBB6_4943:                             ;   in Loop: Header=BB6_4475 Depth=2
	s_or_b64 exec, exec, s[18:19]
	v_lshrrev_b16_e32 v22, 8, v27
	v_cmp_ne_u16_e32 vcc, 0, v22
	v_mov_b32_e32 v0, 0
	v_mov_b32_e32 v1, 0
	s_and_saveexec_b64 s[18:19], vcc
	s_cbranch_execz .LBB6_4951
; %bb.4944:                             ;   in Loop: Header=BB6_4475 Depth=2
	v_cmp_ne_u16_e32 vcc, s52, v22
	v_bfrev_b32_e32 v1, 1
	s_and_saveexec_b64 s[76:77], vcc
	s_cbranch_execz .LBB6_4950
; %bb.4945:                             ;   in Loop: Header=BB6_4475 Depth=2
	v_and_b32_e32 v1, 0x7c, v22
	v_and_b32_e32 v24, 3, v22
	v_cmp_ne_u32_e32 vcc, s50, v1
                                        ; implicit-def: $vgpr1
	s_and_saveexec_b64 s[78:79], vcc
	s_xor_b64 s[78:79], exec, s[78:79]
	s_cbranch_execz .LBB6_4947
; %bb.4946:                             ;   in Loop: Header=BB6_4475 Depth=2
	v_ffbh_u32_e32 v26, v24
	v_min_u32_e32 v26, 32, v26
	v_mov_b32_e32 v23, v28
	v_subrev_u32_e32 v29, 29, v26
	v_bfe_u32 v1, v22, 2, 5
	v_lshlrev_b64 v[22:23], v29, v[22:23]
	v_sub_u32_e32 v23, 30, v26
	v_cmp_eq_u32_e32 vcc, 0, v1
	v_cndmask_b32_e32 v1, v1, v23, vcc
	v_lshlrev_b32_e32 v23, 16, v27
	v_and_b32_e32 v22, 3, v22
	v_and_b32_e32 v23, 0x80000000, v23
	v_cndmask_b32_e32 v22, v24, v22, vcc
	v_lshl_add_u32 v1, v1, 23, v23
	v_lshl_or_b32 v1, v22, 21, v1
	v_add_u32_e32 v1, 0x38000000, v1
                                        ; implicit-def: $vgpr24
.LBB6_4947:                             ;   in Loop: Header=BB6_4475 Depth=2
	s_andn2_saveexec_b64 s[78:79], s[78:79]
; %bb.4948:                             ;   in Loop: Header=BB6_4475 Depth=2
	v_cmp_lt_i16_e32 vcc, -1, v27
	v_mov_b32_e32 v1, 0xff800000
	v_mov_b32_e32 v22, 0x7f800000
	v_cndmask_b32_e32 v1, v1, v22, vcc
	v_cmp_eq_u32_e32 vcc, 0, v24
	v_mov_b32_e32 v22, 0x7f800001
	v_cndmask_b32_e32 v1, v22, v1, vcc
; %bb.4949:                             ;   in Loop: Header=BB6_4475 Depth=2
	s_or_b64 exec, exec, s[78:79]
.LBB6_4950:                             ;   in Loop: Header=BB6_4475 Depth=2
	s_or_b64 exec, exec, s[76:77]
.LBB6_4951:                             ;   in Loop: Header=BB6_4475 Depth=2
	s_or_b64 exec, exec, s[18:19]
	v_lshrrev_b16_e32 v22, 8, v39
	v_cmp_ne_u16_e32 vcc, 0, v22
	s_and_saveexec_b64 s[18:19], vcc
	s_cbranch_execz .LBB6_4959
; %bb.4952:                             ;   in Loop: Header=BB6_4475 Depth=2
	v_cmp_ne_u16_e32 vcc, s52, v22
	v_bfrev_b32_e32 v0, 1
	s_and_saveexec_b64 s[76:77], vcc
	s_cbranch_execz .LBB6_4958
; %bb.4953:                             ;   in Loop: Header=BB6_4475 Depth=2
	v_and_b32_e32 v0, 0x7c, v22
	v_and_b32_e32 v24, 3, v22
	v_cmp_ne_u32_e32 vcc, s50, v0
                                        ; implicit-def: $vgpr0
	s_and_saveexec_b64 s[78:79], vcc
	s_xor_b64 s[78:79], exec, s[78:79]
	s_cbranch_execz .LBB6_4955
; %bb.4954:                             ;   in Loop: Header=BB6_4475 Depth=2
	v_ffbh_u32_e32 v26, v24
	v_min_u32_e32 v26, 32, v26
	v_mov_b32_e32 v23, v28
	v_subrev_u32_e32 v27, 29, v26
	v_bfe_u32 v0, v22, 2, 5
	v_lshlrev_b64 v[22:23], v27, v[22:23]
	v_sub_u32_e32 v23, 30, v26
	v_cmp_eq_u32_e32 vcc, 0, v0
	v_cndmask_b32_e32 v0, v0, v23, vcc
	v_lshlrev_b32_e32 v23, 16, v39
	v_and_b32_e32 v22, 3, v22
	v_and_b32_e32 v23, 0x80000000, v23
	v_cndmask_b32_e32 v22, v24, v22, vcc
	v_lshl_add_u32 v0, v0, 23, v23
	v_lshl_or_b32 v0, v22, 21, v0
	v_add_u32_e32 v0, 0x38000000, v0
                                        ; implicit-def: $vgpr24
.LBB6_4955:                             ;   in Loop: Header=BB6_4475 Depth=2
	s_andn2_saveexec_b64 s[78:79], s[78:79]
; %bb.4956:                             ;   in Loop: Header=BB6_4475 Depth=2
	v_cmp_lt_i16_e32 vcc, -1, v39
	v_mov_b32_e32 v0, 0xff800000
	v_mov_b32_e32 v22, 0x7f800000
	v_cndmask_b32_e32 v0, v0, v22, vcc
	v_cmp_eq_u32_e32 vcc, 0, v24
	v_mov_b32_e32 v22, 0x7f800001
	v_cndmask_b32_e32 v0, v22, v0, vcc
; %bb.4957:                             ;   in Loop: Header=BB6_4475 Depth=2
	s_or_b64 exec, exec, s[78:79]
.LBB6_4958:                             ;   in Loop: Header=BB6_4475 Depth=2
	s_or_b64 exec, exec, s[76:77]
.LBB6_4959:                             ;   in Loop: Header=BB6_4475 Depth=2
	s_or_b64 exec, exec, s[18:19]
	v_mul_f32_e32 v1, v1, v0
	v_and_b32_e32 v22, 0x7f800000, v1
	v_mov_b32_e32 v23, v28
	v_cmp_ne_u64_e32 vcc, s[58:59], v[22:23]
	v_and_b32_e32 v27, 0x7fffff, v1
                                        ; implicit-def: $vgpr0
                                        ; kill: killed $vgpr0
	s_and_saveexec_b64 s[18:19], vcc
	s_xor_b64 s[76:77], exec, s[18:19]
	s_cbranch_execz .LBB6_4973
; %bb.4960:                             ;   in Loop: Header=BB6_4475 Depth=2
	v_and_b32_e32 v22, 0x7fffffff, v1
	v_mov_b32_e32 v23, v28
	v_cmp_gt_u64_e32 vcc, s[60:61], v[22:23]
	v_and_b32_sdwa v0, v1, s52 dst_sel:DWORD dst_unused:UNUSED_PAD src0_sel:BYTE_3 src1_sel:DWORD
                                        ; implicit-def: $vgpr22
                                        ; kill: killed $vgpr22
	s_and_saveexec_b64 s[18:19], vcc
	s_xor_b64 s[78:79], exec, s[18:19]
	s_cbranch_execz .LBB6_4970
; %bb.4961:                             ;   in Loop: Header=BB6_4475 Depth=2
	v_mov_b32_e32 v22, 0
	v_cmp_ne_u32_e32 vcc, 0, v1
	buffer_store_dword v22, off, s[0:3], s33 offset:180 ; 4-byte Folded Spill
	s_and_saveexec_b64 s[88:89], vcc
	s_cbranch_execz .LBB6_4969
; %bb.4962:                             ;   in Loop: Header=BB6_4475 Depth=2
	v_bfe_u32 v1, v1, 23, 8
	v_cmp_gt_u32_e64 s[18:19], s53, v1
	v_sub_u32_e32 v22, 0x71, v1
	v_cmp_eq_u32_e32 vcc, 0, v1
	v_cndmask_b32_e64 v22, 0, v22, s[18:19]
	v_mov_b32_e32 v24, 0x70
	v_cndmask_b32_e32 v26, v22, v24, vcc
	v_add_u32_e32 v24, 21, v26
	v_or_b32_e32 v23, 0x800000, v27
	v_lshlrev_b64 v[29:30], v24, -1
	v_cndmask_b32_e32 v22, v23, v27, vcc
	v_mov_b32_e32 v23, v28
	v_add_u32_e32 v24, 20, v26
	v_bfi_b32 v29, v29, 0, v22
	v_lshlrev_b64 v[36:37], v24, 1
	v_lshrrev_b64 v[22:23], v26, v[22:23]
	v_bfi_b32 v30, v30, 0, 0
	v_cmp_eq_u64_e64 s[18:19], v[29:30], v[36:37]
	v_mov_b32_e32 v24, v23
	v_mov_b32_e32 v23, v22
	s_and_saveexec_b64 s[90:91], s[18:19]
; %bb.4963:                             ;   in Loop: Header=BB6_4475 Depth=2
	v_bfe_u32 v23, v22, 21, 1
	v_add_co_u32_e64 v23, s[18:19], v22, v23
	v_add_co_u32_e64 v23, s[18:19], -1, v23
; %bb.4964:                             ;   in Loop: Header=BB6_4475 Depth=2
	s_or_b64 exec, exec, s[90:91]
	v_add_u32_e32 v1, 0xffffff81, v1
	v_mov_b32_e32 v24, 0xffffff82
	v_cndmask_b32_e32 v1, v1, v24, vcc
	v_lshrrev_b32_e32 v24, 23, v22
	v_add3_u32 v26, v26, v1, v24
	v_add_u32_e32 v24, 14, v26
	v_and_b32_e32 v1, 0x1fffff, v23
	v_add_u32_e32 v27, v1, v22
	v_cmp_ne_u32_e32 vcc, 0, v24
                                        ; implicit-def: $vgpr22_vgpr23
                                        ; implicit-def: $vgpr1
	s_and_saveexec_b64 s[18:19], vcc
	s_xor_b64 s[18:19], exec, s[18:19]
; %bb.4965:                             ;   in Loop: Header=BB6_4475 Depth=2
	v_cmp_lt_u64_e32 vcc, s[62:63], v[27:28]
	v_add_u32_e32 v1, 15, v26
	v_cndmask_b32_e64 v22, 0, 1, vcc
	v_cndmask_b32_e32 v1, v24, v1, vcc
	v_lshrrev_b64 v[22:23], v22, v[27:28]
; %bb.4966:                             ;   in Loop: Header=BB6_4475 Depth=2
	s_andn2_saveexec_b64 s[18:19], s[18:19]
; %bb.4967:                             ;   in Loop: Header=BB6_4475 Depth=2
	v_mov_b32_e32 v22, v27
	v_mov_b32_e32 v23, v28
	v_bfe_u32 v1, v27, 23, 1
; %bb.4968:                             ;   in Loop: Header=BB6_4475 Depth=2
	s_or_b64 exec, exec, s[18:19]
	v_lshrrev_b64 v[22:23], 21, v[22:23]
	v_cmp_gt_i32_e32 vcc, 32, v1
	v_cndmask_b32_e32 v23, 0, v23, vcc
	v_cndmask_b32_e32 v22, 3, v22, vcc
	v_cmp_eq_u32_e32 vcc, 0, v1
	v_min_i32_e32 v1, 31, v1
	v_cmp_eq_u64_e64 s[18:19], 0, v[22:23]
	v_lshlrev_b32_e32 v1, 2, v1
	v_and_b32_e32 v1, 0xfc, v1
	v_and_or_b32 v1, v22, 3, v1
	s_and_b64 s[18:19], vcc, s[18:19]
	v_cndmask_b32_e64 v1, v1, 0, s[18:19]
	v_or_b32_e32 v0, v1, v0
	buffer_store_dword v0, off, s[0:3], s33 offset:180 ; 4-byte Folded Spill
.LBB6_4969:                             ;   in Loop: Header=BB6_4475 Depth=2
	s_or_b64 exec, exec, s[88:89]
                                        ; implicit-def: $vgpr0
.LBB6_4970:                             ;   in Loop: Header=BB6_4475 Depth=2
	s_andn2_saveexec_b64 s[18:19], s[78:79]
	s_cbranch_execz .LBB6_4972
; %bb.4971:                             ;   in Loop: Header=BB6_4475 Depth=2
	v_or_b32_e32 v0, 0x7b, v0
	buffer_store_dword v0, off, s[0:3], s33 offset:180 ; 4-byte Folded Spill
.LBB6_4972:                             ;   in Loop: Header=BB6_4475 Depth=2
	s_or_b64 exec, exec, s[18:19]
                                        ; implicit-def: $vgpr1
.LBB6_4973:                             ;   in Loop: Header=BB6_4475 Depth=2
	s_andn2_saveexec_b64 s[18:19], s[76:77]
	s_cbranch_execz .LBB6_4979
; %bb.4974:                             ;   in Loop: Header=BB6_4475 Depth=2
	v_cmp_ne_u64_e32 vcc, 0, v[27:28]
                                        ; implicit-def: $vgpr0
                                        ; kill: killed $vgpr0
	s_and_saveexec_b64 s[76:77], vcc
	s_xor_b64 s[76:77], exec, s[76:77]
	s_cbranch_execz .LBB6_4976
; %bb.4975:                             ;   in Loop: Header=BB6_4475 Depth=2
	v_or_b32_sdwa v0, v1, s54 dst_sel:DWORD dst_unused:UNUSED_PAD src0_sel:BYTE_3 src1_sel:DWORD
	buffer_store_dword v0, off, s[0:3], s33 offset:180 ; 4-byte Folded Spill
                                        ; implicit-def: $vgpr1
.LBB6_4976:                             ;   in Loop: Header=BB6_4475 Depth=2
	s_andn2_saveexec_b64 s[76:77], s[76:77]
	s_cbranch_execz .LBB6_4978
; %bb.4977:                             ;   in Loop: Header=BB6_4475 Depth=2
	v_cmp_lt_i32_e32 vcc, -1, v1
	v_bfrev_b32_e32 v0, 0.5
	v_mov_b32_e32 v1, 0x7c
	v_cndmask_b32_e32 v0, v0, v1, vcc
	buffer_store_dword v0, off, s[0:3], s33 offset:180 ; 4-byte Folded Spill
.LBB6_4978:                             ;   in Loop: Header=BB6_4475 Depth=2
	s_or_b64 exec, exec, s[76:77]
.LBB6_4979:                             ;   in Loop: Header=BB6_4475 Depth=2
	s_or_b64 exec, exec, s[18:19]
	v_lshrrev_b32_e32 v22, 16, v51
	v_cmp_ne_u16_sdwa s[76:77], v22, v28 src0_sel:BYTE_0 src1_sel:DWORD
	v_mov_b32_e32 v0, 0
	v_mov_b32_e32 v1, 0
	s_and_saveexec_b64 s[18:19], s[76:77]
	s_cbranch_execz .LBB6_4987
; %bb.4980:                             ;   in Loop: Header=BB6_4475 Depth=2
	v_cmp_ne_u16_sdwa s[78:79], v22, s52 src0_sel:BYTE_0 src1_sel:DWORD
	v_bfrev_b32_e32 v1, 1
	s_and_saveexec_b64 s[76:77], s[78:79]
	s_cbranch_execz .LBB6_4986
; %bb.4981:                             ;   in Loop: Header=BB6_4475 Depth=2
	v_and_b32_e32 v1, 0x7c0000, v51
	v_bfe_u32 v23, v51, 16, 2
	v_cmp_ne_u32_e32 vcc, s55, v1
                                        ; implicit-def: $vgpr1
	s_and_saveexec_b64 s[78:79], vcc
	s_xor_b64 s[78:79], exec, s[78:79]
	s_cbranch_execz .LBB6_4983
; %bb.4982:                             ;   in Loop: Header=BB6_4475 Depth=2
	v_ffbh_u32_e32 v24, v23
	v_min_u32_e32 v24, 32, v24
	v_subrev_u32_e32 v26, 29, v24
	v_lshlrev_b64 v[26:27], v26, v[22:23]
	v_bfe_u32 v1, v51, 18, 5
	v_sub_u32_e32 v22, 30, v24
	v_and_b32_e32 v24, 3, v26
	v_cmp_eq_u32_e32 vcc, 0, v1
	v_cndmask_b32_e32 v1, v1, v22, vcc
	v_cndmask_b32_e32 v22, v23, v24, vcc
	v_lshlrev_b32_e32 v23, 8, v51
	v_and_b32_e32 v23, 0x80000000, v23
	v_lshl_add_u32 v1, v1, 23, v23
	v_lshl_or_b32 v1, v22, 21, v1
	v_add_u32_e32 v1, 0x38000000, v1
                                        ; implicit-def: $vgpr23
                                        ; implicit-def: $vgpr22
.LBB6_4983:                             ;   in Loop: Header=BB6_4475 Depth=2
	s_andn2_saveexec_b64 s[78:79], s[78:79]
; %bb.4984:                             ;   in Loop: Header=BB6_4475 Depth=2
	v_mov_b32_e32 v1, -1
	v_cmp_gt_i16_sdwa vcc, sext(v22), v1 src0_sel:BYTE_0 src1_sel:DWORD
	v_mov_b32_e32 v1, 0xff800000
	v_mov_b32_e32 v22, 0x7f800000
	v_cndmask_b32_e32 v1, v1, v22, vcc
	v_cmp_eq_u32_e32 vcc, 0, v23
	v_mov_b32_e32 v22, 0x7f800001
	v_cndmask_b32_e32 v1, v22, v1, vcc
; %bb.4985:                             ;   in Loop: Header=BB6_4475 Depth=2
	s_or_b64 exec, exec, s[78:79]
.LBB6_4986:                             ;   in Loop: Header=BB6_4475 Depth=2
	s_or_b64 exec, exec, s[76:77]
.LBB6_4987:                             ;   in Loop: Header=BB6_4475 Depth=2
	s_or_b64 exec, exec, s[18:19]
	v_lshrrev_b32_e32 v22, 16, v39
	v_cmp_ne_u16_sdwa s[76:77], v22, v28 src0_sel:BYTE_0 src1_sel:DWORD
	s_and_saveexec_b64 s[18:19], s[76:77]
	s_cbranch_execz .LBB6_4995
; %bb.4988:                             ;   in Loop: Header=BB6_4475 Depth=2
	v_cmp_ne_u16_sdwa s[78:79], v22, s52 src0_sel:BYTE_0 src1_sel:DWORD
	v_bfrev_b32_e32 v0, 1
	s_and_saveexec_b64 s[76:77], s[78:79]
	s_cbranch_execz .LBB6_4994
; %bb.4989:                             ;   in Loop: Header=BB6_4475 Depth=2
	v_and_b32_e32 v0, 0x7c0000, v39
	v_bfe_u32 v23, v39, 16, 2
	v_cmp_ne_u32_e32 vcc, s55, v0
                                        ; implicit-def: $vgpr0
	s_and_saveexec_b64 s[78:79], vcc
	s_xor_b64 s[78:79], exec, s[78:79]
	s_cbranch_execz .LBB6_4991
; %bb.4990:                             ;   in Loop: Header=BB6_4475 Depth=2
	v_ffbh_u32_e32 v24, v23
	v_min_u32_e32 v24, 32, v24
	v_subrev_u32_e32 v26, 29, v24
	v_lshlrev_b64 v[26:27], v26, v[22:23]
	v_bfe_u32 v0, v39, 18, 5
	v_sub_u32_e32 v22, 30, v24
	v_and_b32_e32 v24, 3, v26
	v_cmp_eq_u32_e32 vcc, 0, v0
	v_cndmask_b32_e32 v0, v0, v22, vcc
	v_cndmask_b32_e32 v22, v23, v24, vcc
	v_lshlrev_b32_e32 v23, 8, v39
	v_and_b32_e32 v23, 0x80000000, v23
	v_lshl_add_u32 v0, v0, 23, v23
	v_lshl_or_b32 v0, v22, 21, v0
	v_add_u32_e32 v0, 0x38000000, v0
                                        ; implicit-def: $vgpr23
                                        ; implicit-def: $vgpr22
.LBB6_4991:                             ;   in Loop: Header=BB6_4475 Depth=2
	s_andn2_saveexec_b64 s[78:79], s[78:79]
; %bb.4992:                             ;   in Loop: Header=BB6_4475 Depth=2
	v_mov_b32_e32 v0, -1
	v_cmp_gt_i16_sdwa vcc, sext(v22), v0 src0_sel:BYTE_0 src1_sel:DWORD
	v_mov_b32_e32 v0, 0xff800000
	v_mov_b32_e32 v22, 0x7f800000
	v_cndmask_b32_e32 v0, v0, v22, vcc
	v_cmp_eq_u32_e32 vcc, 0, v23
	v_mov_b32_e32 v22, 0x7f800001
	v_cndmask_b32_e32 v0, v22, v0, vcc
; %bb.4993:                             ;   in Loop: Header=BB6_4475 Depth=2
	s_or_b64 exec, exec, s[78:79]
.LBB6_4994:                             ;   in Loop: Header=BB6_4475 Depth=2
	s_or_b64 exec, exec, s[76:77]
.LBB6_4995:                             ;   in Loop: Header=BB6_4475 Depth=2
	s_or_b64 exec, exec, s[18:19]
	v_mul_f32_e32 v1, v1, v0
	v_and_b32_e32 v22, 0x7f800000, v1
	v_mov_b32_e32 v23, v28
	v_cmp_ne_u64_e32 vcc, s[58:59], v[22:23]
	v_and_b32_e32 v27, 0x7fffff, v1
                                        ; implicit-def: $vgpr0
                                        ; kill: killed $vgpr0
	s_and_saveexec_b64 s[18:19], vcc
	s_xor_b64 s[76:77], exec, s[18:19]
	s_cbranch_execz .LBB6_5009
; %bb.4996:                             ;   in Loop: Header=BB6_4475 Depth=2
	v_and_b32_e32 v22, 0x7fffffff, v1
	v_mov_b32_e32 v23, v28
	v_cmp_gt_u64_e32 vcc, s[60:61], v[22:23]
	v_and_b32_sdwa v0, v1, s52 dst_sel:DWORD dst_unused:UNUSED_PAD src0_sel:BYTE_3 src1_sel:DWORD
                                        ; implicit-def: $vgpr22
                                        ; kill: killed $vgpr22
	s_and_saveexec_b64 s[18:19], vcc
	s_xor_b64 s[78:79], exec, s[18:19]
	s_cbranch_execz .LBB6_5006
; %bb.4997:                             ;   in Loop: Header=BB6_4475 Depth=2
	v_mov_b32_e32 v22, 0
	v_cmp_ne_u32_e32 vcc, 0, v1
	buffer_store_dword v22, off, s[0:3], s33 offset:188 ; 4-byte Folded Spill
	s_and_saveexec_b64 s[88:89], vcc
	s_cbranch_execz .LBB6_5005
; %bb.4998:                             ;   in Loop: Header=BB6_4475 Depth=2
	v_bfe_u32 v1, v1, 23, 8
	v_cmp_gt_u32_e64 s[18:19], s53, v1
	v_sub_u32_e32 v22, 0x71, v1
	v_cmp_eq_u32_e32 vcc, 0, v1
	v_cndmask_b32_e64 v22, 0, v22, s[18:19]
	v_mov_b32_e32 v24, 0x70
	v_cndmask_b32_e32 v26, v22, v24, vcc
	v_add_u32_e32 v24, 21, v26
	v_or_b32_e32 v23, 0x800000, v27
	v_lshlrev_b64 v[29:30], v24, -1
	v_cndmask_b32_e32 v22, v23, v27, vcc
	v_mov_b32_e32 v23, v28
	v_add_u32_e32 v24, 20, v26
	v_bfi_b32 v29, v29, 0, v22
	v_lshlrev_b64 v[36:37], v24, 1
	v_lshrrev_b64 v[22:23], v26, v[22:23]
	v_bfi_b32 v30, v30, 0, 0
	v_cmp_eq_u64_e64 s[18:19], v[29:30], v[36:37]
	v_mov_b32_e32 v24, v23
	v_mov_b32_e32 v23, v22
	s_and_saveexec_b64 s[90:91], s[18:19]
; %bb.4999:                             ;   in Loop: Header=BB6_4475 Depth=2
	v_bfe_u32 v23, v22, 21, 1
	v_add_co_u32_e64 v23, s[18:19], v22, v23
	v_add_co_u32_e64 v23, s[18:19], -1, v23
; %bb.5000:                             ;   in Loop: Header=BB6_4475 Depth=2
	s_or_b64 exec, exec, s[90:91]
	v_add_u32_e32 v1, 0xffffff81, v1
	v_mov_b32_e32 v24, 0xffffff82
	v_cndmask_b32_e32 v1, v1, v24, vcc
	v_lshrrev_b32_e32 v24, 23, v22
	v_add3_u32 v26, v26, v1, v24
	v_add_u32_e32 v24, 14, v26
	v_and_b32_e32 v1, 0x1fffff, v23
	v_add_u32_e32 v27, v1, v22
	v_cmp_ne_u32_e32 vcc, 0, v24
                                        ; implicit-def: $vgpr22_vgpr23
                                        ; implicit-def: $vgpr1
	s_and_saveexec_b64 s[18:19], vcc
	s_xor_b64 s[18:19], exec, s[18:19]
; %bb.5001:                             ;   in Loop: Header=BB6_4475 Depth=2
	v_cmp_lt_u64_e32 vcc, s[62:63], v[27:28]
	v_add_u32_e32 v1, 15, v26
	v_cndmask_b32_e64 v22, 0, 1, vcc
	v_cndmask_b32_e32 v1, v24, v1, vcc
	v_lshrrev_b64 v[22:23], v22, v[27:28]
; %bb.5002:                             ;   in Loop: Header=BB6_4475 Depth=2
	s_andn2_saveexec_b64 s[18:19], s[18:19]
; %bb.5003:                             ;   in Loop: Header=BB6_4475 Depth=2
	v_mov_b32_e32 v22, v27
	v_mov_b32_e32 v23, v28
	v_bfe_u32 v1, v27, 23, 1
; %bb.5004:                             ;   in Loop: Header=BB6_4475 Depth=2
	s_or_b64 exec, exec, s[18:19]
	v_lshrrev_b64 v[22:23], 21, v[22:23]
	v_cmp_gt_i32_e32 vcc, 32, v1
	v_cndmask_b32_e32 v23, 0, v23, vcc
	v_cndmask_b32_e32 v22, 3, v22, vcc
	v_cmp_eq_u32_e32 vcc, 0, v1
	v_min_i32_e32 v1, 31, v1
	v_cmp_eq_u64_e64 s[18:19], 0, v[22:23]
	v_lshlrev_b32_e32 v1, 2, v1
	v_and_b32_e32 v1, 0xfc, v1
	v_and_or_b32 v1, v22, 3, v1
	s_and_b64 s[18:19], vcc, s[18:19]
	v_cndmask_b32_e64 v1, v1, 0, s[18:19]
	v_or_b32_e32 v0, v1, v0
	buffer_store_dword v0, off, s[0:3], s33 offset:188 ; 4-byte Folded Spill
.LBB6_5005:                             ;   in Loop: Header=BB6_4475 Depth=2
	s_or_b64 exec, exec, s[88:89]
                                        ; implicit-def: $vgpr0
.LBB6_5006:                             ;   in Loop: Header=BB6_4475 Depth=2
	s_andn2_saveexec_b64 s[18:19], s[78:79]
	s_cbranch_execz .LBB6_5008
; %bb.5007:                             ;   in Loop: Header=BB6_4475 Depth=2
	v_or_b32_e32 v0, 0x7b, v0
	buffer_store_dword v0, off, s[0:3], s33 offset:188 ; 4-byte Folded Spill
.LBB6_5008:                             ;   in Loop: Header=BB6_4475 Depth=2
	s_or_b64 exec, exec, s[18:19]
                                        ; implicit-def: $vgpr1
.LBB6_5009:                             ;   in Loop: Header=BB6_4475 Depth=2
	s_andn2_saveexec_b64 s[18:19], s[76:77]
	s_cbranch_execz .LBB6_5015
; %bb.5010:                             ;   in Loop: Header=BB6_4475 Depth=2
	v_cmp_ne_u64_e32 vcc, 0, v[27:28]
                                        ; implicit-def: $vgpr0
                                        ; kill: killed $vgpr0
	s_and_saveexec_b64 s[76:77], vcc
	s_xor_b64 s[76:77], exec, s[76:77]
	s_cbranch_execz .LBB6_5012
; %bb.5011:                             ;   in Loop: Header=BB6_4475 Depth=2
	v_or_b32_sdwa v0, v1, s54 dst_sel:DWORD dst_unused:UNUSED_PAD src0_sel:BYTE_3 src1_sel:DWORD
	buffer_store_dword v0, off, s[0:3], s33 offset:188 ; 4-byte Folded Spill
                                        ; implicit-def: $vgpr1
.LBB6_5012:                             ;   in Loop: Header=BB6_4475 Depth=2
	s_andn2_saveexec_b64 s[76:77], s[76:77]
	s_cbranch_execz .LBB6_5014
; %bb.5013:                             ;   in Loop: Header=BB6_4475 Depth=2
	v_cmp_lt_i32_e32 vcc, -1, v1
	v_bfrev_b32_e32 v0, 0.5
	v_mov_b32_e32 v1, 0x7c
	v_cndmask_b32_e32 v0, v0, v1, vcc
	buffer_store_dword v0, off, s[0:3], s33 offset:188 ; 4-byte Folded Spill
.LBB6_5014:                             ;   in Loop: Header=BB6_4475 Depth=2
	s_or_b64 exec, exec, s[76:77]
.LBB6_5015:                             ;   in Loop: Header=BB6_4475 Depth=2
	s_or_b64 exec, exec, s[18:19]
	v_cmp_lt_u64_e32 vcc, s[56:57], v[50:51]
	v_mov_b32_e32 v0, 0
	v_mov_b32_e32 v1, 0
	s_and_saveexec_b64 s[18:19], vcc
	s_cbranch_execz .LBB6_5023
; %bb.5016:                             ;   in Loop: Header=BB6_4475 Depth=2
	v_lshrrev_b32_e32 v22, 24, v51
	v_cmp_ne_u32_e32 vcc, s52, v22
	v_bfrev_b32_e32 v1, 1
	s_and_saveexec_b64 s[76:77], vcc
	s_cbranch_execz .LBB6_5022
; %bb.5017:                             ;   in Loop: Header=BB6_4475 Depth=2
	v_and_b32_e32 v1, 0x7c000000, v51
	v_bfe_u32 v23, v51, 24, 2
	v_cmp_ne_u32_e32 vcc, s64, v1
                                        ; implicit-def: $vgpr1
	s_and_saveexec_b64 s[78:79], vcc
	s_xor_b64 s[78:79], exec, s[78:79]
	s_cbranch_execz .LBB6_5019
; %bb.5018:                             ;   in Loop: Header=BB6_4475 Depth=2
	v_ffbh_u32_e32 v24, v23
	v_min_u32_e32 v24, 32, v24
	v_subrev_u32_e32 v26, 29, v24
	v_lshlrev_b64 v[26:27], v26, v[22:23]
	v_bfe_u32 v1, v51, 26, 5
	v_sub_u32_e32 v22, 30, v24
	v_and_b32_e32 v24, 3, v26
	v_cmp_eq_u32_e32 vcc, 0, v1
	v_cndmask_b32_e32 v1, v1, v22, vcc
	v_cndmask_b32_e32 v22, v23, v24, vcc
	v_and_b32_e32 v23, 0x80000000, v51
	v_lshl_add_u32 v1, v1, 23, v23
	v_lshl_or_b32 v1, v22, 21, v1
	v_add_u32_e32 v1, 0x38000000, v1
                                        ; implicit-def: $vgpr23
                                        ; implicit-def: $vgpr50_vgpr51
.LBB6_5019:                             ;   in Loop: Header=BB6_4475 Depth=2
	s_andn2_saveexec_b64 s[78:79], s[78:79]
; %bb.5020:                             ;   in Loop: Header=BB6_4475 Depth=2
	v_cmp_lt_i64_e32 vcc, -1, v[50:51]
	v_mov_b32_e32 v1, 0xff800000
	v_mov_b32_e32 v22, 0x7f800000
	v_cndmask_b32_e32 v1, v1, v22, vcc
	v_cmp_eq_u32_e32 vcc, 0, v23
	v_mov_b32_e32 v22, 0x7f800001
	v_cndmask_b32_e32 v1, v22, v1, vcc
; %bb.5021:                             ;   in Loop: Header=BB6_4475 Depth=2
	s_or_b64 exec, exec, s[78:79]
.LBB6_5022:                             ;   in Loop: Header=BB6_4475 Depth=2
	s_or_b64 exec, exec, s[76:77]
.LBB6_5023:                             ;   in Loop: Header=BB6_4475 Depth=2
	s_or_b64 exec, exec, s[18:19]
	v_cmp_lt_u64_e32 vcc, s[56:57], v[38:39]
	s_and_saveexec_b64 s[18:19], vcc
	s_cbranch_execz .LBB6_5031
; %bb.5024:                             ;   in Loop: Header=BB6_4475 Depth=2
	v_lshrrev_b32_e32 v22, 24, v39
	v_cmp_ne_u32_e32 vcc, s52, v22
	v_bfrev_b32_e32 v0, 1
	s_and_saveexec_b64 s[76:77], vcc
	s_cbranch_execz .LBB6_5030
; %bb.5025:                             ;   in Loop: Header=BB6_4475 Depth=2
	v_and_b32_e32 v0, 0x7c000000, v39
	v_bfe_u32 v23, v39, 24, 2
	v_cmp_ne_u32_e32 vcc, s64, v0
                                        ; implicit-def: $vgpr0
	s_and_saveexec_b64 s[78:79], vcc
	s_xor_b64 s[78:79], exec, s[78:79]
	s_cbranch_execz .LBB6_5027
; %bb.5026:                             ;   in Loop: Header=BB6_4475 Depth=2
	v_ffbh_u32_e32 v24, v23
	v_min_u32_e32 v24, 32, v24
	v_subrev_u32_e32 v26, 29, v24
	v_lshlrev_b64 v[26:27], v26, v[22:23]
	v_bfe_u32 v0, v39, 26, 5
	v_sub_u32_e32 v22, 30, v24
	v_and_b32_e32 v24, 3, v26
	v_cmp_eq_u32_e32 vcc, 0, v0
	v_cndmask_b32_e32 v0, v0, v22, vcc
	v_cndmask_b32_e32 v22, v23, v24, vcc
	v_and_b32_e32 v23, 0x80000000, v39
	v_lshl_add_u32 v0, v0, 23, v23
	v_lshl_or_b32 v0, v22, 21, v0
	v_add_u32_e32 v0, 0x38000000, v0
                                        ; implicit-def: $vgpr23
                                        ; implicit-def: $vgpr38_vgpr39
.LBB6_5027:                             ;   in Loop: Header=BB6_4475 Depth=2
	s_andn2_saveexec_b64 s[78:79], s[78:79]
; %bb.5028:                             ;   in Loop: Header=BB6_4475 Depth=2
	v_cmp_lt_i64_e32 vcc, -1, v[38:39]
	v_mov_b32_e32 v0, 0xff800000
	v_mov_b32_e32 v22, 0x7f800000
	v_cndmask_b32_e32 v0, v0, v22, vcc
	v_cmp_eq_u32_e32 vcc, 0, v23
	v_mov_b32_e32 v22, 0x7f800001
	v_cndmask_b32_e32 v0, v22, v0, vcc
; %bb.5029:                             ;   in Loop: Header=BB6_4475 Depth=2
	s_or_b64 exec, exec, s[78:79]
.LBB6_5030:                             ;   in Loop: Header=BB6_4475 Depth=2
	s_or_b64 exec, exec, s[76:77]
.LBB6_5031:                             ;   in Loop: Header=BB6_4475 Depth=2
	s_or_b64 exec, exec, s[18:19]
	v_mul_f32_e32 v1, v1, v0
	v_and_b32_e32 v22, 0x7f800000, v1
	v_mov_b32_e32 v23, v28
	v_cmp_ne_u64_e32 vcc, s[58:59], v[22:23]
	v_and_b32_e32 v27, 0x7fffff, v1
                                        ; implicit-def: $vgpr0
                                        ; kill: killed $vgpr0
	s_and_saveexec_b64 s[18:19], vcc
	s_xor_b64 s[76:77], exec, s[18:19]
	s_cbranch_execz .LBB6_5045
; %bb.5032:                             ;   in Loop: Header=BB6_4475 Depth=2
	v_and_b32_e32 v22, 0x7fffffff, v1
	v_mov_b32_e32 v23, v28
	v_cmp_gt_u64_e32 vcc, s[60:61], v[22:23]
	v_and_b32_sdwa v0, v1, s52 dst_sel:DWORD dst_unused:UNUSED_PAD src0_sel:BYTE_3 src1_sel:DWORD
                                        ; implicit-def: $vgpr22
                                        ; kill: killed $vgpr22
	s_and_saveexec_b64 s[18:19], vcc
	s_xor_b64 s[78:79], exec, s[18:19]
	s_cbranch_execz .LBB6_5042
; %bb.5033:                             ;   in Loop: Header=BB6_4475 Depth=2
	v_mov_b32_e32 v22, 0
	v_cmp_ne_u32_e32 vcc, 0, v1
	buffer_store_dword v22, off, s[0:3], s33 offset:196 ; 4-byte Folded Spill
	s_and_saveexec_b64 s[88:89], vcc
	s_cbranch_execz .LBB6_5041
; %bb.5034:                             ;   in Loop: Header=BB6_4475 Depth=2
	v_bfe_u32 v1, v1, 23, 8
	v_cmp_gt_u32_e64 s[18:19], s53, v1
	v_sub_u32_e32 v22, 0x71, v1
	v_cmp_eq_u32_e32 vcc, 0, v1
	v_cndmask_b32_e64 v22, 0, v22, s[18:19]
	v_mov_b32_e32 v24, 0x70
	v_cndmask_b32_e32 v26, v22, v24, vcc
	v_add_u32_e32 v24, 21, v26
	v_or_b32_e32 v23, 0x800000, v27
	v_lshlrev_b64 v[29:30], v24, -1
	v_cndmask_b32_e32 v22, v23, v27, vcc
	v_mov_b32_e32 v23, v28
	v_add_u32_e32 v24, 20, v26
	v_bfi_b32 v29, v29, 0, v22
	v_lshlrev_b64 v[36:37], v24, 1
	v_lshrrev_b64 v[22:23], v26, v[22:23]
	v_bfi_b32 v30, v30, 0, 0
	v_cmp_eq_u64_e64 s[18:19], v[29:30], v[36:37]
	v_mov_b32_e32 v24, v23
	v_mov_b32_e32 v23, v22
	s_and_saveexec_b64 s[90:91], s[18:19]
; %bb.5035:                             ;   in Loop: Header=BB6_4475 Depth=2
	v_bfe_u32 v23, v22, 21, 1
	v_add_co_u32_e64 v23, s[18:19], v22, v23
	v_add_co_u32_e64 v23, s[18:19], -1, v23
; %bb.5036:                             ;   in Loop: Header=BB6_4475 Depth=2
	s_or_b64 exec, exec, s[90:91]
	v_add_u32_e32 v1, 0xffffff81, v1
	v_mov_b32_e32 v24, 0xffffff82
	v_cndmask_b32_e32 v1, v1, v24, vcc
	v_lshrrev_b32_e32 v24, 23, v22
	v_add3_u32 v26, v26, v1, v24
	v_add_u32_e32 v24, 14, v26
	v_and_b32_e32 v1, 0x1fffff, v23
	v_add_u32_e32 v27, v1, v22
	v_cmp_ne_u32_e32 vcc, 0, v24
                                        ; implicit-def: $vgpr22_vgpr23
                                        ; implicit-def: $vgpr1
	s_and_saveexec_b64 s[18:19], vcc
	s_xor_b64 s[18:19], exec, s[18:19]
; %bb.5037:                             ;   in Loop: Header=BB6_4475 Depth=2
	v_cmp_lt_u64_e32 vcc, s[62:63], v[27:28]
	v_add_u32_e32 v1, 15, v26
	v_cndmask_b32_e64 v22, 0, 1, vcc
	v_cndmask_b32_e32 v1, v24, v1, vcc
	v_lshrrev_b64 v[22:23], v22, v[27:28]
; %bb.5038:                             ;   in Loop: Header=BB6_4475 Depth=2
	s_andn2_saveexec_b64 s[18:19], s[18:19]
; %bb.5039:                             ;   in Loop: Header=BB6_4475 Depth=2
	v_mov_b32_e32 v22, v27
	v_mov_b32_e32 v23, v28
	v_bfe_u32 v1, v27, 23, 1
; %bb.5040:                             ;   in Loop: Header=BB6_4475 Depth=2
	s_or_b64 exec, exec, s[18:19]
	v_lshrrev_b64 v[22:23], 21, v[22:23]
	v_cmp_gt_i32_e32 vcc, 32, v1
	v_cndmask_b32_e32 v23, 0, v23, vcc
	v_cndmask_b32_e32 v22, 3, v22, vcc
	v_cmp_eq_u32_e32 vcc, 0, v1
	v_min_i32_e32 v1, 31, v1
	v_cmp_eq_u64_e64 s[18:19], 0, v[22:23]
	v_lshlrev_b32_e32 v1, 2, v1
	v_and_b32_e32 v1, 0xfc, v1
	v_and_or_b32 v1, v22, 3, v1
	s_and_b64 s[18:19], vcc, s[18:19]
	v_cndmask_b32_e64 v1, v1, 0, s[18:19]
	v_or_b32_e32 v0, v1, v0
	buffer_store_dword v0, off, s[0:3], s33 offset:196 ; 4-byte Folded Spill
.LBB6_5041:                             ;   in Loop: Header=BB6_4475 Depth=2
	s_or_b64 exec, exec, s[88:89]
                                        ; implicit-def: $vgpr0
.LBB6_5042:                             ;   in Loop: Header=BB6_4475 Depth=2
	s_andn2_saveexec_b64 s[18:19], s[78:79]
	s_cbranch_execz .LBB6_5044
; %bb.5043:                             ;   in Loop: Header=BB6_4475 Depth=2
	v_or_b32_e32 v0, 0x7b, v0
	buffer_store_dword v0, off, s[0:3], s33 offset:196 ; 4-byte Folded Spill
.LBB6_5044:                             ;   in Loop: Header=BB6_4475 Depth=2
	s_or_b64 exec, exec, s[18:19]
                                        ; implicit-def: $vgpr1
.LBB6_5045:                             ;   in Loop: Header=BB6_4475 Depth=2
	s_andn2_saveexec_b64 s[18:19], s[76:77]
	s_cbranch_execz .LBB6_5051
; %bb.5046:                             ;   in Loop: Header=BB6_4475 Depth=2
	v_cmp_ne_u64_e32 vcc, 0, v[27:28]
                                        ; implicit-def: $vgpr0
                                        ; kill: killed $vgpr0
	s_and_saveexec_b64 s[76:77], vcc
	s_xor_b64 s[76:77], exec, s[76:77]
	s_cbranch_execz .LBB6_5048
; %bb.5047:                             ;   in Loop: Header=BB6_4475 Depth=2
	v_or_b32_sdwa v0, v1, s54 dst_sel:DWORD dst_unused:UNUSED_PAD src0_sel:BYTE_3 src1_sel:DWORD
	buffer_store_dword v0, off, s[0:3], s33 offset:196 ; 4-byte Folded Spill
                                        ; implicit-def: $vgpr1
.LBB6_5048:                             ;   in Loop: Header=BB6_4475 Depth=2
	s_andn2_saveexec_b64 s[76:77], s[76:77]
	s_cbranch_execz .LBB6_5050
; %bb.5049:                             ;   in Loop: Header=BB6_4475 Depth=2
	v_cmp_lt_i32_e32 vcc, -1, v1
	v_bfrev_b32_e32 v0, 0.5
	v_mov_b32_e32 v1, 0x7c
	v_cndmask_b32_e32 v0, v0, v1, vcc
	buffer_store_dword v0, off, s[0:3], s33 offset:196 ; 4-byte Folded Spill
.LBB6_5050:                             ;   in Loop: Header=BB6_4475 Depth=2
	s_or_b64 exec, exec, s[76:77]
.LBB6_5051:                             ;   in Loop: Header=BB6_4475 Depth=2
	s_or_b64 exec, exec, s[18:19]
	v_cmp_ne_u16_sdwa s[76:77], v32, v28 src0_sel:BYTE_0 src1_sel:DWORD
	v_mov_b32_e32 v0, 0
	v_mov_b32_e32 v1, 0
	s_and_saveexec_b64 s[18:19], s[76:77]
	s_cbranch_execz .LBB6_5059
; %bb.5052:                             ;   in Loop: Header=BB6_4475 Depth=2
	v_cmp_ne_u16_sdwa s[78:79], sext(v32), s49 src0_sel:BYTE_0 src1_sel:DWORD
	v_bfrev_b32_e32 v1, 1
	s_and_saveexec_b64 s[76:77], s[78:79]
	s_cbranch_execz .LBB6_5058
; %bb.5053:                             ;   in Loop: Header=BB6_4475 Depth=2
	v_and_b32_e32 v1, 0x7c, v32
	v_and_b32_e32 v22, 3, v32
	v_cmp_ne_u32_e32 vcc, s50, v1
                                        ; implicit-def: $vgpr1
	s_and_saveexec_b64 s[78:79], vcc
	s_xor_b64 s[78:79], exec, s[78:79]
	s_cbranch_execz .LBB6_5055
; %bb.5054:                             ;   in Loop: Header=BB6_4475 Depth=2
	v_ffbh_u32_e32 v23, v22
	v_min_u32_e32 v26, 32, v23
	v_subrev_u32_e32 v23, 29, v26
	v_lshlrev_b64 v[23:24], v23, v[32:33]
	v_bfe_u32 v1, v32, 2, 5
	v_and_b32_e32 v23, 3, v23
	v_cmp_eq_u32_e32 vcc, 0, v1
	v_sub_u32_e32 v24, 30, v26
	v_cndmask_b32_e32 v22, v22, v23, vcc
	v_lshlrev_b32_e32 v23, 24, v32
	v_cndmask_b32_e32 v1, v1, v24, vcc
	v_and_b32_e32 v23, 0x80000000, v23
	v_lshl_add_u32 v1, v1, 23, v23
	v_lshl_or_b32 v1, v22, 21, v1
	v_add_u32_e32 v1, 0x38000000, v1
                                        ; implicit-def: $vgpr22
.LBB6_5055:                             ;   in Loop: Header=BB6_4475 Depth=2
	s_andn2_saveexec_b64 s[78:79], s[78:79]
; %bb.5056:                             ;   in Loop: Header=BB6_4475 Depth=2
	v_mov_b32_e32 v1, -1
	v_cmp_gt_i16_sdwa vcc, sext(v32), v1 src0_sel:BYTE_0 src1_sel:DWORD
	v_mov_b32_e32 v1, 0xff800000
	v_mov_b32_e32 v23, 0x7f800000
	v_cndmask_b32_e32 v1, v1, v23, vcc
	v_cmp_eq_u32_e32 vcc, 0, v22
	v_mov_b32_e32 v22, 0x7f800001
	v_cndmask_b32_e32 v1, v22, v1, vcc
; %bb.5057:                             ;   in Loop: Header=BB6_4475 Depth=2
	s_or_b64 exec, exec, s[78:79]
.LBB6_5058:                             ;   in Loop: Header=BB6_4475 Depth=2
	s_or_b64 exec, exec, s[76:77]
.LBB6_5059:                             ;   in Loop: Header=BB6_4475 Depth=2
	s_or_b64 exec, exec, s[18:19]
	s_waitcnt vmcnt(2)
	v_cmp_ne_u16_sdwa s[76:77], v6, v28 src0_sel:BYTE_0 src1_sel:DWORD
	s_and_saveexec_b64 s[18:19], s[76:77]
	s_cbranch_execz .LBB6_5067
; %bb.5060:                             ;   in Loop: Header=BB6_4475 Depth=2
	v_cmp_ne_u16_sdwa s[78:79], sext(v6), s49 src0_sel:BYTE_0 src1_sel:DWORD
	v_bfrev_b32_e32 v0, 1
	s_and_saveexec_b64 s[76:77], s[78:79]
	s_cbranch_execz .LBB6_5066
; %bb.5061:                             ;   in Loop: Header=BB6_4475 Depth=2
	v_and_b32_e32 v0, 0x7c, v6
	v_and_b32_e32 v22, 3, v6
	v_cmp_ne_u32_e32 vcc, s50, v0
                                        ; implicit-def: $vgpr0
	s_and_saveexec_b64 s[78:79], vcc
	s_xor_b64 s[78:79], exec, s[78:79]
	s_cbranch_execz .LBB6_5063
; %bb.5062:                             ;   in Loop: Header=BB6_4475 Depth=2
	v_ffbh_u32_e32 v23, v22
	v_min_u32_e32 v26, 32, v23
	v_subrev_u32_e32 v23, 29, v26
	v_lshlrev_b64 v[23:24], v23, v[6:7]
	v_bfe_u32 v0, v6, 2, 5
	v_and_b32_e32 v23, 3, v23
	v_cmp_eq_u32_e32 vcc, 0, v0
	v_sub_u32_e32 v24, 30, v26
	v_cndmask_b32_e32 v22, v22, v23, vcc
	v_lshlrev_b32_e32 v23, 24, v6
	v_cndmask_b32_e32 v0, v0, v24, vcc
	v_and_b32_e32 v23, 0x80000000, v23
	v_lshl_add_u32 v0, v0, 23, v23
	v_lshl_or_b32 v0, v22, 21, v0
	v_add_u32_e32 v0, 0x38000000, v0
                                        ; implicit-def: $vgpr22
.LBB6_5063:                             ;   in Loop: Header=BB6_4475 Depth=2
	s_andn2_saveexec_b64 s[78:79], s[78:79]
; %bb.5064:                             ;   in Loop: Header=BB6_4475 Depth=2
	v_mov_b32_e32 v0, -1
	v_cmp_gt_i16_sdwa vcc, sext(v6), v0 src0_sel:BYTE_0 src1_sel:DWORD
	v_mov_b32_e32 v0, 0xff800000
	v_mov_b32_e32 v23, 0x7f800000
	v_cndmask_b32_e32 v0, v0, v23, vcc
	v_cmp_eq_u32_e32 vcc, 0, v22
	v_mov_b32_e32 v22, 0x7f800001
	v_cndmask_b32_e32 v0, v22, v0, vcc
; %bb.5065:                             ;   in Loop: Header=BB6_4475 Depth=2
	s_or_b64 exec, exec, s[78:79]
.LBB6_5066:                             ;   in Loop: Header=BB6_4475 Depth=2
	s_or_b64 exec, exec, s[76:77]
.LBB6_5067:                             ;   in Loop: Header=BB6_4475 Depth=2
	s_or_b64 exec, exec, s[18:19]
	v_mul_f32_e32 v1, v1, v0
	v_and_b32_e32 v22, 0x7f800000, v1
	v_mov_b32_e32 v23, v28
	v_cmp_ne_u64_e32 vcc, s[58:59], v[22:23]
	v_and_b32_e32 v27, 0x7fffff, v1
                                        ; implicit-def: $vgpr0
                                        ; kill: killed $vgpr0
	s_and_saveexec_b64 s[18:19], vcc
	s_xor_b64 s[76:77], exec, s[18:19]
	s_cbranch_execz .LBB6_5081
; %bb.5068:                             ;   in Loop: Header=BB6_4475 Depth=2
	v_and_b32_e32 v22, 0x7fffffff, v1
	v_mov_b32_e32 v23, v28
	v_cmp_gt_u64_e32 vcc, s[60:61], v[22:23]
	v_and_b32_sdwa v0, v1, s52 dst_sel:DWORD dst_unused:UNUSED_PAD src0_sel:BYTE_3 src1_sel:DWORD
                                        ; implicit-def: $vgpr22
                                        ; kill: killed $vgpr22
	s_and_saveexec_b64 s[18:19], vcc
	s_xor_b64 s[78:79], exec, s[18:19]
	s_cbranch_execz .LBB6_5078
; %bb.5069:                             ;   in Loop: Header=BB6_4475 Depth=2
	v_mov_b32_e32 v22, 0
	v_cmp_ne_u32_e32 vcc, 0, v1
	buffer_store_dword v22, off, s[0:3], s33 offset:204 ; 4-byte Folded Spill
	s_and_saveexec_b64 s[88:89], vcc
	s_cbranch_execz .LBB6_5077
; %bb.5070:                             ;   in Loop: Header=BB6_4475 Depth=2
	v_bfe_u32 v1, v1, 23, 8
	v_cmp_gt_u32_e64 s[18:19], s53, v1
	v_sub_u32_e32 v22, 0x71, v1
	v_cmp_eq_u32_e32 vcc, 0, v1
	v_cndmask_b32_e64 v22, 0, v22, s[18:19]
	v_mov_b32_e32 v24, 0x70
	v_cndmask_b32_e32 v26, v22, v24, vcc
	v_add_u32_e32 v24, 21, v26
	v_or_b32_e32 v23, 0x800000, v27
	v_lshlrev_b64 v[29:30], v24, -1
	v_cndmask_b32_e32 v22, v23, v27, vcc
	v_mov_b32_e32 v23, v28
	v_add_u32_e32 v24, 20, v26
	v_bfi_b32 v29, v29, 0, v22
	v_lshlrev_b64 v[36:37], v24, 1
	v_lshrrev_b64 v[22:23], v26, v[22:23]
	v_bfi_b32 v30, v30, 0, 0
	v_cmp_eq_u64_e64 s[18:19], v[29:30], v[36:37]
	v_mov_b32_e32 v24, v23
	v_mov_b32_e32 v23, v22
	s_and_saveexec_b64 s[90:91], s[18:19]
; %bb.5071:                             ;   in Loop: Header=BB6_4475 Depth=2
	v_bfe_u32 v23, v22, 21, 1
	v_add_co_u32_e64 v23, s[18:19], v22, v23
	v_add_co_u32_e64 v23, s[18:19], -1, v23
; %bb.5072:                             ;   in Loop: Header=BB6_4475 Depth=2
	s_or_b64 exec, exec, s[90:91]
	v_add_u32_e32 v1, 0xffffff81, v1
	v_mov_b32_e32 v24, 0xffffff82
	v_cndmask_b32_e32 v1, v1, v24, vcc
	v_lshrrev_b32_e32 v24, 23, v22
	v_add3_u32 v26, v26, v1, v24
	v_add_u32_e32 v24, 14, v26
	v_and_b32_e32 v1, 0x1fffff, v23
	v_add_u32_e32 v27, v1, v22
	v_cmp_ne_u32_e32 vcc, 0, v24
                                        ; implicit-def: $vgpr22_vgpr23
                                        ; implicit-def: $vgpr1
	s_and_saveexec_b64 s[18:19], vcc
	s_xor_b64 s[18:19], exec, s[18:19]
; %bb.5073:                             ;   in Loop: Header=BB6_4475 Depth=2
	v_cmp_lt_u64_e32 vcc, s[62:63], v[27:28]
	v_add_u32_e32 v1, 15, v26
	v_cndmask_b32_e64 v22, 0, 1, vcc
	v_lshrrev_b64 v[22:23], v22, v[27:28]
	v_cndmask_b32_e32 v1, v24, v1, vcc
; %bb.5074:                             ;   in Loop: Header=BB6_4475 Depth=2
	s_andn2_saveexec_b64 s[18:19], s[18:19]
; %bb.5075:                             ;   in Loop: Header=BB6_4475 Depth=2
	v_mov_b32_e32 v22, v27
	v_mov_b32_e32 v23, v28
	v_bfe_u32 v1, v27, 23, 1
; %bb.5076:                             ;   in Loop: Header=BB6_4475 Depth=2
	s_or_b64 exec, exec, s[18:19]
	v_lshrrev_b64 v[22:23], 21, v[22:23]
	v_cmp_gt_i32_e32 vcc, 32, v1
	v_cndmask_b32_e32 v23, 0, v23, vcc
	v_cndmask_b32_e32 v22, 3, v22, vcc
	v_cmp_eq_u32_e32 vcc, 0, v1
	v_min_i32_e32 v1, 31, v1
	v_cmp_eq_u64_e64 s[18:19], 0, v[22:23]
	v_lshlrev_b32_e32 v1, 2, v1
	v_and_b32_e32 v1, 0xfc, v1
	v_and_or_b32 v1, v22, 3, v1
	s_and_b64 s[18:19], vcc, s[18:19]
	v_cndmask_b32_e64 v1, v1, 0, s[18:19]
	v_or_b32_e32 v0, v1, v0
	buffer_store_dword v0, off, s[0:3], s33 offset:204 ; 4-byte Folded Spill
.LBB6_5077:                             ;   in Loop: Header=BB6_4475 Depth=2
	s_or_b64 exec, exec, s[88:89]
                                        ; implicit-def: $vgpr0
.LBB6_5078:                             ;   in Loop: Header=BB6_4475 Depth=2
	s_andn2_saveexec_b64 s[18:19], s[78:79]
	s_cbranch_execz .LBB6_5080
; %bb.5079:                             ;   in Loop: Header=BB6_4475 Depth=2
	v_or_b32_e32 v0, 0x7b, v0
	buffer_store_dword v0, off, s[0:3], s33 offset:204 ; 4-byte Folded Spill
.LBB6_5080:                             ;   in Loop: Header=BB6_4475 Depth=2
	s_or_b64 exec, exec, s[18:19]
                                        ; implicit-def: $vgpr1
.LBB6_5081:                             ;   in Loop: Header=BB6_4475 Depth=2
	s_andn2_saveexec_b64 s[18:19], s[76:77]
	s_cbranch_execz .LBB6_5087
; %bb.5082:                             ;   in Loop: Header=BB6_4475 Depth=2
	v_cmp_ne_u64_e32 vcc, 0, v[27:28]
                                        ; implicit-def: $vgpr0
                                        ; kill: killed $vgpr0
	s_and_saveexec_b64 s[76:77], vcc
	s_xor_b64 s[76:77], exec, s[76:77]
	s_cbranch_execz .LBB6_5084
; %bb.5083:                             ;   in Loop: Header=BB6_4475 Depth=2
	v_or_b32_sdwa v0, v1, s54 dst_sel:DWORD dst_unused:UNUSED_PAD src0_sel:BYTE_3 src1_sel:DWORD
	buffer_store_dword v0, off, s[0:3], s33 offset:204 ; 4-byte Folded Spill
                                        ; implicit-def: $vgpr1
.LBB6_5084:                             ;   in Loop: Header=BB6_4475 Depth=2
	s_andn2_saveexec_b64 s[76:77], s[76:77]
	s_cbranch_execz .LBB6_5086
; %bb.5085:                             ;   in Loop: Header=BB6_4475 Depth=2
	v_cmp_lt_i32_e32 vcc, -1, v1
	v_bfrev_b32_e32 v0, 0.5
	v_mov_b32_e32 v1, 0x7c
	v_cndmask_b32_e32 v0, v0, v1, vcc
	buffer_store_dword v0, off, s[0:3], s33 offset:204 ; 4-byte Folded Spill
.LBB6_5086:                             ;   in Loop: Header=BB6_4475 Depth=2
	s_or_b64 exec, exec, s[76:77]
.LBB6_5087:                             ;   in Loop: Header=BB6_4475 Depth=2
	s_or_b64 exec, exec, s[18:19]
	v_lshrrev_b16_e32 v22, 8, v32
	v_cmp_ne_u16_e32 vcc, 0, v22
	v_mov_b32_e32 v0, 0
	v_mov_b32_e32 v1, 0
	s_and_saveexec_b64 s[18:19], vcc
	s_cbranch_execz .LBB6_5095
; %bb.5088:                             ;   in Loop: Header=BB6_4475 Depth=2
	v_cmp_ne_u16_e32 vcc, s52, v22
	v_bfrev_b32_e32 v1, 1
	s_and_saveexec_b64 s[76:77], vcc
	s_cbranch_execz .LBB6_5094
; %bb.5089:                             ;   in Loop: Header=BB6_4475 Depth=2
	v_and_b32_e32 v1, 0x7c, v22
	v_and_b32_e32 v24, 3, v22
	v_cmp_ne_u32_e32 vcc, s50, v1
                                        ; implicit-def: $vgpr1
	s_and_saveexec_b64 s[78:79], vcc
	s_xor_b64 s[78:79], exec, s[78:79]
	s_cbranch_execz .LBB6_5091
; %bb.5090:                             ;   in Loop: Header=BB6_4475 Depth=2
	v_ffbh_u32_e32 v26, v24
	v_min_u32_e32 v26, 32, v26
	v_mov_b32_e32 v23, v28
	v_subrev_u32_e32 v27, 29, v26
	v_bfe_u32 v1, v22, 2, 5
	v_lshlrev_b64 v[22:23], v27, v[22:23]
	v_sub_u32_e32 v23, 30, v26
	v_cmp_eq_u32_e32 vcc, 0, v1
	v_cndmask_b32_e32 v1, v1, v23, vcc
	v_lshlrev_b32_e32 v23, 16, v32
	v_and_b32_e32 v22, 3, v22
	v_and_b32_e32 v23, 0x80000000, v23
	v_cndmask_b32_e32 v22, v24, v22, vcc
	v_lshl_add_u32 v1, v1, 23, v23
	v_lshl_or_b32 v1, v22, 21, v1
	v_add_u32_e32 v1, 0x38000000, v1
                                        ; implicit-def: $vgpr24
.LBB6_5091:                             ;   in Loop: Header=BB6_4475 Depth=2
	s_andn2_saveexec_b64 s[78:79], s[78:79]
; %bb.5092:                             ;   in Loop: Header=BB6_4475 Depth=2
	v_cmp_lt_i16_e32 vcc, -1, v32
	v_mov_b32_e32 v1, 0xff800000
	v_mov_b32_e32 v22, 0x7f800000
	v_cndmask_b32_e32 v1, v1, v22, vcc
	v_cmp_eq_u32_e32 vcc, 0, v24
	v_mov_b32_e32 v22, 0x7f800001
	v_cndmask_b32_e32 v1, v22, v1, vcc
; %bb.5093:                             ;   in Loop: Header=BB6_4475 Depth=2
	s_or_b64 exec, exec, s[78:79]
.LBB6_5094:                             ;   in Loop: Header=BB6_4475 Depth=2
	s_or_b64 exec, exec, s[76:77]
.LBB6_5095:                             ;   in Loop: Header=BB6_4475 Depth=2
	s_or_b64 exec, exec, s[18:19]
	v_lshrrev_b16_e32 v22, 8, v6
	v_cmp_ne_u16_e32 vcc, 0, v22
	s_and_saveexec_b64 s[18:19], vcc
	s_cbranch_execz .LBB6_5103
; %bb.5096:                             ;   in Loop: Header=BB6_4475 Depth=2
	v_cmp_ne_u16_e32 vcc, s52, v22
	v_bfrev_b32_e32 v0, 1
	s_and_saveexec_b64 s[76:77], vcc
	s_cbranch_execz .LBB6_5102
; %bb.5097:                             ;   in Loop: Header=BB6_4475 Depth=2
	v_and_b32_e32 v0, 0x7c, v22
	v_and_b32_e32 v24, 3, v22
	v_cmp_ne_u32_e32 vcc, s50, v0
                                        ; implicit-def: $vgpr0
	s_and_saveexec_b64 s[78:79], vcc
	s_xor_b64 s[78:79], exec, s[78:79]
	s_cbranch_execz .LBB6_5099
; %bb.5098:                             ;   in Loop: Header=BB6_4475 Depth=2
	v_ffbh_u32_e32 v26, v24
	v_min_u32_e32 v26, 32, v26
	v_mov_b32_e32 v23, v28
	v_subrev_u32_e32 v27, 29, v26
	v_bfe_u32 v0, v22, 2, 5
	v_lshlrev_b64 v[22:23], v27, v[22:23]
	v_sub_u32_e32 v23, 30, v26
	v_cmp_eq_u32_e32 vcc, 0, v0
	v_cndmask_b32_e32 v0, v0, v23, vcc
	v_lshlrev_b32_e32 v23, 16, v6
	v_and_b32_e32 v22, 3, v22
	v_and_b32_e32 v23, 0x80000000, v23
	v_cndmask_b32_e32 v22, v24, v22, vcc
	v_lshl_add_u32 v0, v0, 23, v23
	v_lshl_or_b32 v0, v22, 21, v0
	v_add_u32_e32 v0, 0x38000000, v0
                                        ; implicit-def: $vgpr24
.LBB6_5099:                             ;   in Loop: Header=BB6_4475 Depth=2
	s_andn2_saveexec_b64 s[78:79], s[78:79]
; %bb.5100:                             ;   in Loop: Header=BB6_4475 Depth=2
	v_cmp_lt_i16_e32 vcc, -1, v6
	v_mov_b32_e32 v0, 0xff800000
	v_mov_b32_e32 v22, 0x7f800000
	v_cndmask_b32_e32 v0, v0, v22, vcc
	v_cmp_eq_u32_e32 vcc, 0, v24
	v_mov_b32_e32 v22, 0x7f800001
	v_cndmask_b32_e32 v0, v22, v0, vcc
; %bb.5101:                             ;   in Loop: Header=BB6_4475 Depth=2
	s_or_b64 exec, exec, s[78:79]
.LBB6_5102:                             ;   in Loop: Header=BB6_4475 Depth=2
	s_or_b64 exec, exec, s[76:77]
.LBB6_5103:                             ;   in Loop: Header=BB6_4475 Depth=2
	s_or_b64 exec, exec, s[18:19]
	v_mul_f32_e32 v1, v1, v0
	v_and_b32_e32 v22, 0x7f800000, v1
	v_mov_b32_e32 v23, v28
	v_cmp_ne_u64_e32 vcc, s[58:59], v[22:23]
	v_and_b32_e32 v27, 0x7fffff, v1
                                        ; implicit-def: $vgpr0
                                        ; kill: killed $vgpr0
	s_and_saveexec_b64 s[18:19], vcc
	s_xor_b64 s[76:77], exec, s[18:19]
	s_cbranch_execz .LBB6_5117
; %bb.5104:                             ;   in Loop: Header=BB6_4475 Depth=2
	v_and_b32_e32 v22, 0x7fffffff, v1
	v_mov_b32_e32 v23, v28
	v_cmp_gt_u64_e32 vcc, s[60:61], v[22:23]
	v_and_b32_sdwa v0, v1, s52 dst_sel:DWORD dst_unused:UNUSED_PAD src0_sel:BYTE_3 src1_sel:DWORD
                                        ; implicit-def: $vgpr22
                                        ; kill: killed $vgpr22
	s_and_saveexec_b64 s[18:19], vcc
	s_xor_b64 s[78:79], exec, s[18:19]
	s_cbranch_execz .LBB6_5114
; %bb.5105:                             ;   in Loop: Header=BB6_4475 Depth=2
	v_mov_b32_e32 v22, 0
	v_cmp_ne_u32_e32 vcc, 0, v1
	buffer_store_dword v22, off, s[0:3], s33 offset:212 ; 4-byte Folded Spill
	s_and_saveexec_b64 s[88:89], vcc
	s_cbranch_execz .LBB6_5113
; %bb.5106:                             ;   in Loop: Header=BB6_4475 Depth=2
	v_bfe_u32 v1, v1, 23, 8
	v_cmp_gt_u32_e64 s[18:19], s53, v1
	v_sub_u32_e32 v22, 0x71, v1
	v_cmp_eq_u32_e32 vcc, 0, v1
	v_cndmask_b32_e64 v22, 0, v22, s[18:19]
	v_mov_b32_e32 v24, 0x70
	v_cndmask_b32_e32 v26, v22, v24, vcc
	v_add_u32_e32 v24, 21, v26
	v_or_b32_e32 v23, 0x800000, v27
	v_lshlrev_b64 v[29:30], v24, -1
	v_cndmask_b32_e32 v22, v23, v27, vcc
	v_mov_b32_e32 v23, v28
	v_add_u32_e32 v24, 20, v26
	v_bfi_b32 v29, v29, 0, v22
	v_lshlrev_b64 v[36:37], v24, 1
	v_lshrrev_b64 v[22:23], v26, v[22:23]
	v_bfi_b32 v30, v30, 0, 0
	v_cmp_eq_u64_e64 s[18:19], v[29:30], v[36:37]
	v_mov_b32_e32 v24, v23
	v_mov_b32_e32 v23, v22
	s_and_saveexec_b64 s[90:91], s[18:19]
; %bb.5107:                             ;   in Loop: Header=BB6_4475 Depth=2
	v_bfe_u32 v23, v22, 21, 1
	v_add_co_u32_e64 v23, s[18:19], v22, v23
	v_add_co_u32_e64 v23, s[18:19], -1, v23
; %bb.5108:                             ;   in Loop: Header=BB6_4475 Depth=2
	s_or_b64 exec, exec, s[90:91]
	v_add_u32_e32 v1, 0xffffff81, v1
	v_mov_b32_e32 v24, 0xffffff82
	v_cndmask_b32_e32 v1, v1, v24, vcc
	v_lshrrev_b32_e32 v24, 23, v22
	v_add3_u32 v26, v26, v1, v24
	v_add_u32_e32 v24, 14, v26
	v_and_b32_e32 v1, 0x1fffff, v23
	v_add_u32_e32 v27, v1, v22
	v_cmp_ne_u32_e32 vcc, 0, v24
                                        ; implicit-def: $vgpr22_vgpr23
                                        ; implicit-def: $vgpr1
	s_and_saveexec_b64 s[18:19], vcc
	s_xor_b64 s[18:19], exec, s[18:19]
; %bb.5109:                             ;   in Loop: Header=BB6_4475 Depth=2
	v_cmp_lt_u64_e32 vcc, s[62:63], v[27:28]
	v_add_u32_e32 v1, 15, v26
	v_cndmask_b32_e64 v22, 0, 1, vcc
	v_lshrrev_b64 v[22:23], v22, v[27:28]
	v_cndmask_b32_e32 v1, v24, v1, vcc
; %bb.5110:                             ;   in Loop: Header=BB6_4475 Depth=2
	s_andn2_saveexec_b64 s[18:19], s[18:19]
; %bb.5111:                             ;   in Loop: Header=BB6_4475 Depth=2
	v_mov_b32_e32 v22, v27
	v_mov_b32_e32 v23, v28
	v_bfe_u32 v1, v27, 23, 1
; %bb.5112:                             ;   in Loop: Header=BB6_4475 Depth=2
	s_or_b64 exec, exec, s[18:19]
	v_lshrrev_b64 v[22:23], 21, v[22:23]
	v_cmp_gt_i32_e32 vcc, 32, v1
	v_cndmask_b32_e32 v23, 0, v23, vcc
	v_cndmask_b32_e32 v22, 3, v22, vcc
	v_cmp_eq_u32_e32 vcc, 0, v1
	v_min_i32_e32 v1, 31, v1
	v_cmp_eq_u64_e64 s[18:19], 0, v[22:23]
	v_lshlrev_b32_e32 v1, 2, v1
	v_and_b32_e32 v1, 0xfc, v1
	v_and_or_b32 v1, v22, 3, v1
	s_and_b64 s[18:19], vcc, s[18:19]
	v_cndmask_b32_e64 v1, v1, 0, s[18:19]
	v_or_b32_e32 v0, v1, v0
	buffer_store_dword v0, off, s[0:3], s33 offset:212 ; 4-byte Folded Spill
.LBB6_5113:                             ;   in Loop: Header=BB6_4475 Depth=2
	s_or_b64 exec, exec, s[88:89]
                                        ; implicit-def: $vgpr0
.LBB6_5114:                             ;   in Loop: Header=BB6_4475 Depth=2
	s_andn2_saveexec_b64 s[18:19], s[78:79]
	s_cbranch_execz .LBB6_5116
; %bb.5115:                             ;   in Loop: Header=BB6_4475 Depth=2
	v_or_b32_e32 v0, 0x7b, v0
	buffer_store_dword v0, off, s[0:3], s33 offset:212 ; 4-byte Folded Spill
.LBB6_5116:                             ;   in Loop: Header=BB6_4475 Depth=2
	s_or_b64 exec, exec, s[18:19]
                                        ; implicit-def: $vgpr1
.LBB6_5117:                             ;   in Loop: Header=BB6_4475 Depth=2
	s_andn2_saveexec_b64 s[18:19], s[76:77]
	s_cbranch_execz .LBB6_5123
; %bb.5118:                             ;   in Loop: Header=BB6_4475 Depth=2
	v_cmp_ne_u64_e32 vcc, 0, v[27:28]
                                        ; implicit-def: $vgpr0
                                        ; kill: killed $vgpr0
	s_and_saveexec_b64 s[76:77], vcc
	s_xor_b64 s[76:77], exec, s[76:77]
	s_cbranch_execz .LBB6_5120
; %bb.5119:                             ;   in Loop: Header=BB6_4475 Depth=2
	v_or_b32_sdwa v0, v1, s54 dst_sel:DWORD dst_unused:UNUSED_PAD src0_sel:BYTE_3 src1_sel:DWORD
	buffer_store_dword v0, off, s[0:3], s33 offset:212 ; 4-byte Folded Spill
                                        ; implicit-def: $vgpr1
.LBB6_5120:                             ;   in Loop: Header=BB6_4475 Depth=2
	s_andn2_saveexec_b64 s[76:77], s[76:77]
	s_cbranch_execz .LBB6_5122
; %bb.5121:                             ;   in Loop: Header=BB6_4475 Depth=2
	v_cmp_lt_i32_e32 vcc, -1, v1
	v_bfrev_b32_e32 v0, 0.5
	v_mov_b32_e32 v1, 0x7c
	v_cndmask_b32_e32 v0, v0, v1, vcc
	buffer_store_dword v0, off, s[0:3], s33 offset:212 ; 4-byte Folded Spill
.LBB6_5122:                             ;   in Loop: Header=BB6_4475 Depth=2
	s_or_b64 exec, exec, s[76:77]
.LBB6_5123:                             ;   in Loop: Header=BB6_4475 Depth=2
	s_or_b64 exec, exec, s[18:19]
	v_lshrrev_b32_e32 v22, 16, v32
	v_cmp_ne_u16_sdwa s[76:77], v22, v28 src0_sel:BYTE_0 src1_sel:DWORD
	v_mov_b32_e32 v0, 0
	v_mov_b32_e32 v1, 0
	s_and_saveexec_b64 s[18:19], s[76:77]
	s_cbranch_execz .LBB6_5131
; %bb.5124:                             ;   in Loop: Header=BB6_4475 Depth=2
	v_cmp_ne_u16_sdwa s[78:79], v22, s52 src0_sel:BYTE_0 src1_sel:DWORD
	v_bfrev_b32_e32 v1, 1
	s_and_saveexec_b64 s[76:77], s[78:79]
	s_cbranch_execz .LBB6_5130
; %bb.5125:                             ;   in Loop: Header=BB6_4475 Depth=2
	v_and_b32_e32 v1, 0x7c0000, v32
	v_bfe_u32 v23, v32, 16, 2
	v_cmp_ne_u32_e32 vcc, s55, v1
                                        ; implicit-def: $vgpr1
	s_and_saveexec_b64 s[78:79], vcc
	s_xor_b64 s[78:79], exec, s[78:79]
	s_cbranch_execz .LBB6_5127
; %bb.5126:                             ;   in Loop: Header=BB6_4475 Depth=2
	v_ffbh_u32_e32 v24, v23
	v_min_u32_e32 v24, 32, v24
	v_subrev_u32_e32 v26, 29, v24
	v_lshlrev_b64 v[26:27], v26, v[22:23]
	v_bfe_u32 v1, v32, 18, 5
	v_sub_u32_e32 v22, 30, v24
	v_and_b32_e32 v24, 3, v26
	v_cmp_eq_u32_e32 vcc, 0, v1
	v_cndmask_b32_e32 v1, v1, v22, vcc
	v_cndmask_b32_e32 v22, v23, v24, vcc
	v_lshlrev_b32_e32 v23, 8, v32
	v_and_b32_e32 v23, 0x80000000, v23
	v_lshl_add_u32 v1, v1, 23, v23
	v_lshl_or_b32 v1, v22, 21, v1
	v_add_u32_e32 v1, 0x38000000, v1
                                        ; implicit-def: $vgpr23
                                        ; implicit-def: $vgpr22
.LBB6_5127:                             ;   in Loop: Header=BB6_4475 Depth=2
	s_andn2_saveexec_b64 s[78:79], s[78:79]
; %bb.5128:                             ;   in Loop: Header=BB6_4475 Depth=2
	v_mov_b32_e32 v1, -1
	v_cmp_gt_i16_sdwa vcc, sext(v22), v1 src0_sel:BYTE_0 src1_sel:DWORD
	v_mov_b32_e32 v1, 0xff800000
	v_mov_b32_e32 v22, 0x7f800000
	v_cndmask_b32_e32 v1, v1, v22, vcc
	v_cmp_eq_u32_e32 vcc, 0, v23
	v_mov_b32_e32 v22, 0x7f800001
	v_cndmask_b32_e32 v1, v22, v1, vcc
; %bb.5129:                             ;   in Loop: Header=BB6_4475 Depth=2
	s_or_b64 exec, exec, s[78:79]
.LBB6_5130:                             ;   in Loop: Header=BB6_4475 Depth=2
	s_or_b64 exec, exec, s[76:77]
.LBB6_5131:                             ;   in Loop: Header=BB6_4475 Depth=2
	s_or_b64 exec, exec, s[18:19]
	v_lshrrev_b32_e32 v22, 16, v6
	v_cmp_ne_u16_sdwa s[76:77], v22, v28 src0_sel:BYTE_0 src1_sel:DWORD
	s_and_saveexec_b64 s[18:19], s[76:77]
	s_cbranch_execz .LBB6_5139
; %bb.5132:                             ;   in Loop: Header=BB6_4475 Depth=2
	v_cmp_ne_u16_sdwa s[78:79], v22, s52 src0_sel:BYTE_0 src1_sel:DWORD
	v_bfrev_b32_e32 v0, 1
	s_and_saveexec_b64 s[76:77], s[78:79]
	s_cbranch_execz .LBB6_5138
; %bb.5133:                             ;   in Loop: Header=BB6_4475 Depth=2
	v_and_b32_e32 v0, 0x7c0000, v6
	v_bfe_u32 v23, v6, 16, 2
	v_cmp_ne_u32_e32 vcc, s55, v0
                                        ; implicit-def: $vgpr0
	s_and_saveexec_b64 s[78:79], vcc
	s_xor_b64 s[78:79], exec, s[78:79]
	s_cbranch_execz .LBB6_5135
; %bb.5134:                             ;   in Loop: Header=BB6_4475 Depth=2
	v_ffbh_u32_e32 v24, v23
	v_min_u32_e32 v24, 32, v24
	v_subrev_u32_e32 v26, 29, v24
	v_lshlrev_b64 v[26:27], v26, v[22:23]
	v_bfe_u32 v0, v6, 18, 5
	v_sub_u32_e32 v22, 30, v24
	v_and_b32_e32 v24, 3, v26
	v_cmp_eq_u32_e32 vcc, 0, v0
	v_cndmask_b32_e32 v0, v0, v22, vcc
	v_cndmask_b32_e32 v22, v23, v24, vcc
	v_lshlrev_b32_e32 v23, 8, v6
	v_and_b32_e32 v23, 0x80000000, v23
	v_lshl_add_u32 v0, v0, 23, v23
	v_lshl_or_b32 v0, v22, 21, v0
	v_add_u32_e32 v0, 0x38000000, v0
                                        ; implicit-def: $vgpr23
                                        ; implicit-def: $vgpr22
.LBB6_5135:                             ;   in Loop: Header=BB6_4475 Depth=2
	s_andn2_saveexec_b64 s[78:79], s[78:79]
; %bb.5136:                             ;   in Loop: Header=BB6_4475 Depth=2
	v_mov_b32_e32 v0, -1
	v_cmp_gt_i16_sdwa vcc, sext(v22), v0 src0_sel:BYTE_0 src1_sel:DWORD
	v_mov_b32_e32 v0, 0xff800000
	v_mov_b32_e32 v22, 0x7f800000
	v_cndmask_b32_e32 v0, v0, v22, vcc
	v_cmp_eq_u32_e32 vcc, 0, v23
	v_mov_b32_e32 v22, 0x7f800001
	v_cndmask_b32_e32 v0, v22, v0, vcc
; %bb.5137:                             ;   in Loop: Header=BB6_4475 Depth=2
	s_or_b64 exec, exec, s[78:79]
.LBB6_5138:                             ;   in Loop: Header=BB6_4475 Depth=2
	s_or_b64 exec, exec, s[76:77]
.LBB6_5139:                             ;   in Loop: Header=BB6_4475 Depth=2
	s_or_b64 exec, exec, s[18:19]
	v_mul_f32_e32 v1, v1, v0
	v_and_b32_e32 v22, 0x7f800000, v1
	v_mov_b32_e32 v23, v28
	v_cmp_ne_u64_e32 vcc, s[58:59], v[22:23]
	v_and_b32_e32 v27, 0x7fffff, v1
                                        ; implicit-def: $vgpr0
                                        ; kill: killed $vgpr0
	s_and_saveexec_b64 s[18:19], vcc
	s_xor_b64 s[76:77], exec, s[18:19]
	s_cbranch_execz .LBB6_5153
; %bb.5140:                             ;   in Loop: Header=BB6_4475 Depth=2
	v_and_b32_e32 v22, 0x7fffffff, v1
	v_mov_b32_e32 v23, v28
	v_cmp_gt_u64_e32 vcc, s[60:61], v[22:23]
	v_and_b32_sdwa v0, v1, s52 dst_sel:DWORD dst_unused:UNUSED_PAD src0_sel:BYTE_3 src1_sel:DWORD
                                        ; implicit-def: $vgpr22
                                        ; kill: killed $vgpr22
	s_and_saveexec_b64 s[18:19], vcc
	s_xor_b64 s[78:79], exec, s[18:19]
	s_cbranch_execz .LBB6_5150
; %bb.5141:                             ;   in Loop: Header=BB6_4475 Depth=2
	v_mov_b32_e32 v22, 0
	v_cmp_ne_u32_e32 vcc, 0, v1
	buffer_store_dword v22, off, s[0:3], s33 offset:220 ; 4-byte Folded Spill
	s_and_saveexec_b64 s[88:89], vcc
	s_cbranch_execz .LBB6_5149
; %bb.5142:                             ;   in Loop: Header=BB6_4475 Depth=2
	v_bfe_u32 v1, v1, 23, 8
	v_cmp_gt_u32_e64 s[18:19], s53, v1
	v_sub_u32_e32 v22, 0x71, v1
	v_cmp_eq_u32_e32 vcc, 0, v1
	v_cndmask_b32_e64 v22, 0, v22, s[18:19]
	v_mov_b32_e32 v24, 0x70
	v_cndmask_b32_e32 v26, v22, v24, vcc
	v_add_u32_e32 v24, 21, v26
	v_or_b32_e32 v23, 0x800000, v27
	v_lshlrev_b64 v[29:30], v24, -1
	v_cndmask_b32_e32 v22, v23, v27, vcc
	v_mov_b32_e32 v23, v28
	v_add_u32_e32 v24, 20, v26
	v_bfi_b32 v29, v29, 0, v22
	v_lshlrev_b64 v[36:37], v24, 1
	v_lshrrev_b64 v[22:23], v26, v[22:23]
	v_bfi_b32 v30, v30, 0, 0
	v_cmp_eq_u64_e64 s[18:19], v[29:30], v[36:37]
	v_mov_b32_e32 v24, v23
	v_mov_b32_e32 v23, v22
	s_and_saveexec_b64 s[90:91], s[18:19]
; %bb.5143:                             ;   in Loop: Header=BB6_4475 Depth=2
	v_bfe_u32 v23, v22, 21, 1
	v_add_co_u32_e64 v23, s[18:19], v22, v23
	v_add_co_u32_e64 v23, s[18:19], -1, v23
; %bb.5144:                             ;   in Loop: Header=BB6_4475 Depth=2
	s_or_b64 exec, exec, s[90:91]
	v_add_u32_e32 v1, 0xffffff81, v1
	v_mov_b32_e32 v24, 0xffffff82
	v_cndmask_b32_e32 v1, v1, v24, vcc
	v_lshrrev_b32_e32 v24, 23, v22
	v_add3_u32 v26, v26, v1, v24
	v_add_u32_e32 v24, 14, v26
	v_and_b32_e32 v1, 0x1fffff, v23
	v_add_u32_e32 v27, v1, v22
	v_cmp_ne_u32_e32 vcc, 0, v24
                                        ; implicit-def: $vgpr22_vgpr23
                                        ; implicit-def: $vgpr1
	s_and_saveexec_b64 s[18:19], vcc
	s_xor_b64 s[18:19], exec, s[18:19]
; %bb.5145:                             ;   in Loop: Header=BB6_4475 Depth=2
	v_cmp_lt_u64_e32 vcc, s[62:63], v[27:28]
	v_add_u32_e32 v1, 15, v26
	v_cndmask_b32_e64 v22, 0, 1, vcc
	v_lshrrev_b64 v[22:23], v22, v[27:28]
	v_cndmask_b32_e32 v1, v24, v1, vcc
; %bb.5146:                             ;   in Loop: Header=BB6_4475 Depth=2
	s_andn2_saveexec_b64 s[18:19], s[18:19]
; %bb.5147:                             ;   in Loop: Header=BB6_4475 Depth=2
	v_mov_b32_e32 v22, v27
	v_mov_b32_e32 v23, v28
	v_bfe_u32 v1, v27, 23, 1
; %bb.5148:                             ;   in Loop: Header=BB6_4475 Depth=2
	s_or_b64 exec, exec, s[18:19]
	v_lshrrev_b64 v[22:23], 21, v[22:23]
	v_cmp_gt_i32_e32 vcc, 32, v1
	v_cndmask_b32_e32 v23, 0, v23, vcc
	v_cndmask_b32_e32 v22, 3, v22, vcc
	v_cmp_eq_u32_e32 vcc, 0, v1
	v_min_i32_e32 v1, 31, v1
	v_cmp_eq_u64_e64 s[18:19], 0, v[22:23]
	v_lshlrev_b32_e32 v1, 2, v1
	v_and_b32_e32 v1, 0xfc, v1
	v_and_or_b32 v1, v22, 3, v1
	s_and_b64 s[18:19], vcc, s[18:19]
	v_cndmask_b32_e64 v1, v1, 0, s[18:19]
	v_or_b32_e32 v0, v1, v0
	buffer_store_dword v0, off, s[0:3], s33 offset:220 ; 4-byte Folded Spill
.LBB6_5149:                             ;   in Loop: Header=BB6_4475 Depth=2
	s_or_b64 exec, exec, s[88:89]
                                        ; implicit-def: $vgpr0
.LBB6_5150:                             ;   in Loop: Header=BB6_4475 Depth=2
	s_andn2_saveexec_b64 s[18:19], s[78:79]
	s_cbranch_execz .LBB6_5152
; %bb.5151:                             ;   in Loop: Header=BB6_4475 Depth=2
	v_or_b32_e32 v0, 0x7b, v0
	buffer_store_dword v0, off, s[0:3], s33 offset:220 ; 4-byte Folded Spill
.LBB6_5152:                             ;   in Loop: Header=BB6_4475 Depth=2
	s_or_b64 exec, exec, s[18:19]
                                        ; implicit-def: $vgpr1
.LBB6_5153:                             ;   in Loop: Header=BB6_4475 Depth=2
	s_andn2_saveexec_b64 s[18:19], s[76:77]
	s_cbranch_execz .LBB6_5159
; %bb.5154:                             ;   in Loop: Header=BB6_4475 Depth=2
	v_cmp_ne_u64_e32 vcc, 0, v[27:28]
                                        ; implicit-def: $vgpr0
                                        ; kill: killed $vgpr0
	s_and_saveexec_b64 s[76:77], vcc
	s_xor_b64 s[76:77], exec, s[76:77]
	s_cbranch_execz .LBB6_5156
; %bb.5155:                             ;   in Loop: Header=BB6_4475 Depth=2
	v_or_b32_sdwa v0, v1, s54 dst_sel:DWORD dst_unused:UNUSED_PAD src0_sel:BYTE_3 src1_sel:DWORD
	buffer_store_dword v0, off, s[0:3], s33 offset:220 ; 4-byte Folded Spill
                                        ; implicit-def: $vgpr1
.LBB6_5156:                             ;   in Loop: Header=BB6_4475 Depth=2
	s_andn2_saveexec_b64 s[76:77], s[76:77]
	s_cbranch_execz .LBB6_5158
; %bb.5157:                             ;   in Loop: Header=BB6_4475 Depth=2
	v_cmp_lt_i32_e32 vcc, -1, v1
	v_bfrev_b32_e32 v0, 0.5
	v_mov_b32_e32 v1, 0x7c
	v_cndmask_b32_e32 v0, v0, v1, vcc
	buffer_store_dword v0, off, s[0:3], s33 offset:220 ; 4-byte Folded Spill
.LBB6_5158:                             ;   in Loop: Header=BB6_4475 Depth=2
	s_or_b64 exec, exec, s[76:77]
.LBB6_5159:                             ;   in Loop: Header=BB6_4475 Depth=2
	s_or_b64 exec, exec, s[18:19]
	v_cmp_lt_u32_e32 vcc, s57, v32
	v_mov_b32_e32 v0, 0
	v_mov_b32_e32 v1, 0
	s_and_saveexec_b64 s[18:19], vcc
	s_cbranch_execz .LBB6_5167
; %bb.5160:                             ;   in Loop: Header=BB6_4475 Depth=2
	v_lshrrev_b32_e32 v22, 24, v32
	v_cmp_ne_u32_e32 vcc, s52, v22
	v_bfrev_b32_e32 v1, 1
	s_and_saveexec_b64 s[76:77], vcc
	s_cbranch_execz .LBB6_5166
; %bb.5161:                             ;   in Loop: Header=BB6_4475 Depth=2
	v_and_b32_e32 v1, 0x7c000000, v32
	v_bfe_u32 v23, v32, 24, 2
	v_cmp_ne_u32_e32 vcc, s64, v1
                                        ; implicit-def: $vgpr1
	s_and_saveexec_b64 s[78:79], vcc
	s_xor_b64 s[78:79], exec, s[78:79]
	s_cbranch_execz .LBB6_5163
; %bb.5162:                             ;   in Loop: Header=BB6_4475 Depth=2
	v_ffbh_u32_e32 v24, v23
	v_min_u32_e32 v24, 32, v24
	v_subrev_u32_e32 v26, 29, v24
	v_lshlrev_b64 v[26:27], v26, v[22:23]
	v_bfe_u32 v1, v32, 26, 5
	v_sub_u32_e32 v22, 30, v24
	v_and_b32_e32 v24, 3, v26
	v_cmp_eq_u32_e32 vcc, 0, v1
	v_cndmask_b32_e32 v1, v1, v22, vcc
	v_cndmask_b32_e32 v22, v23, v24, vcc
	v_and_b32_e32 v23, 0x80000000, v32
	v_lshl_add_u32 v1, v1, 23, v23
	v_lshl_or_b32 v1, v22, 21, v1
	v_add_u32_e32 v1, 0x38000000, v1
                                        ; implicit-def: $vgpr23
.LBB6_5163:                             ;   in Loop: Header=BB6_4475 Depth=2
	s_andn2_saveexec_b64 s[78:79], s[78:79]
; %bb.5164:                             ;   in Loop: Header=BB6_4475 Depth=2
	v_cmp_lt_i32_e32 vcc, -1, v32
	v_mov_b32_e32 v1, 0xff800000
	v_mov_b32_e32 v22, 0x7f800000
	v_cndmask_b32_e32 v1, v1, v22, vcc
	v_cmp_eq_u32_e32 vcc, 0, v23
	v_mov_b32_e32 v22, 0x7f800001
	v_cndmask_b32_e32 v1, v22, v1, vcc
; %bb.5165:                             ;   in Loop: Header=BB6_4475 Depth=2
	s_or_b64 exec, exec, s[78:79]
.LBB6_5166:                             ;   in Loop: Header=BB6_4475 Depth=2
	s_or_b64 exec, exec, s[76:77]
.LBB6_5167:                             ;   in Loop: Header=BB6_4475 Depth=2
	s_or_b64 exec, exec, s[18:19]
	v_cmp_lt_u32_e32 vcc, s57, v6
	s_and_saveexec_b64 s[18:19], vcc
	s_cbranch_execz .LBB6_5175
; %bb.5168:                             ;   in Loop: Header=BB6_4475 Depth=2
	v_lshrrev_b32_e32 v22, 24, v6
	v_cmp_ne_u32_e32 vcc, s52, v22
	v_bfrev_b32_e32 v0, 1
	s_and_saveexec_b64 s[76:77], vcc
	s_cbranch_execz .LBB6_5174
; %bb.5169:                             ;   in Loop: Header=BB6_4475 Depth=2
	v_and_b32_e32 v0, 0x7c000000, v6
	v_bfe_u32 v23, v6, 24, 2
	v_cmp_ne_u32_e32 vcc, s64, v0
                                        ; implicit-def: $vgpr0
	s_and_saveexec_b64 s[78:79], vcc
	s_xor_b64 s[78:79], exec, s[78:79]
	s_cbranch_execz .LBB6_5171
; %bb.5170:                             ;   in Loop: Header=BB6_4475 Depth=2
	v_ffbh_u32_e32 v24, v23
	v_min_u32_e32 v24, 32, v24
	v_subrev_u32_e32 v26, 29, v24
	v_lshlrev_b64 v[26:27], v26, v[22:23]
	v_bfe_u32 v0, v6, 26, 5
	v_sub_u32_e32 v22, 30, v24
	v_and_b32_e32 v24, 3, v26
	v_cmp_eq_u32_e32 vcc, 0, v0
	v_cndmask_b32_e32 v0, v0, v22, vcc
	v_cndmask_b32_e32 v22, v23, v24, vcc
	v_and_b32_e32 v23, 0x80000000, v6
	v_lshl_add_u32 v0, v0, 23, v23
	v_lshl_or_b32 v0, v22, 21, v0
	v_add_u32_e32 v0, 0x38000000, v0
                                        ; implicit-def: $vgpr23
.LBB6_5171:                             ;   in Loop: Header=BB6_4475 Depth=2
	s_andn2_saveexec_b64 s[78:79], s[78:79]
; %bb.5172:                             ;   in Loop: Header=BB6_4475 Depth=2
	v_cmp_lt_i32_e32 vcc, -1, v6
	v_mov_b32_e32 v0, 0xff800000
	v_mov_b32_e32 v22, 0x7f800000
	v_cndmask_b32_e32 v0, v0, v22, vcc
	v_cmp_eq_u32_e32 vcc, 0, v23
	v_mov_b32_e32 v22, 0x7f800001
	v_cndmask_b32_e32 v0, v22, v0, vcc
; %bb.5173:                             ;   in Loop: Header=BB6_4475 Depth=2
	s_or_b64 exec, exec, s[78:79]
.LBB6_5174:                             ;   in Loop: Header=BB6_4475 Depth=2
	s_or_b64 exec, exec, s[76:77]
.LBB6_5175:                             ;   in Loop: Header=BB6_4475 Depth=2
	s_or_b64 exec, exec, s[18:19]
	v_mul_f32_e32 v1, v1, v0
	v_and_b32_e32 v22, 0x7f800000, v1
	v_mov_b32_e32 v23, v28
	v_cmp_ne_u64_e32 vcc, s[58:59], v[22:23]
	v_and_b32_e32 v27, 0x7fffff, v1
                                        ; implicit-def: $vgpr0
                                        ; kill: killed $vgpr0
	s_and_saveexec_b64 s[18:19], vcc
	s_xor_b64 s[76:77], exec, s[18:19]
	s_cbranch_execz .LBB6_5189
; %bb.5176:                             ;   in Loop: Header=BB6_4475 Depth=2
	v_and_b32_e32 v22, 0x7fffffff, v1
	v_mov_b32_e32 v23, v28
	v_cmp_gt_u64_e32 vcc, s[60:61], v[22:23]
	v_and_b32_sdwa v0, v1, s52 dst_sel:DWORD dst_unused:UNUSED_PAD src0_sel:BYTE_3 src1_sel:DWORD
                                        ; implicit-def: $vgpr22
                                        ; kill: killed $vgpr22
	s_and_saveexec_b64 s[18:19], vcc
	s_xor_b64 s[78:79], exec, s[18:19]
	s_cbranch_execz .LBB6_5186
; %bb.5177:                             ;   in Loop: Header=BB6_4475 Depth=2
	v_mov_b32_e32 v22, 0
	v_cmp_ne_u32_e32 vcc, 0, v1
	buffer_store_dword v22, off, s[0:3], s33 offset:228 ; 4-byte Folded Spill
	s_and_saveexec_b64 s[88:89], vcc
	s_cbranch_execz .LBB6_5185
; %bb.5178:                             ;   in Loop: Header=BB6_4475 Depth=2
	v_bfe_u32 v1, v1, 23, 8
	v_cmp_gt_u32_e64 s[18:19], s53, v1
	v_sub_u32_e32 v22, 0x71, v1
	v_cmp_eq_u32_e32 vcc, 0, v1
	v_cndmask_b32_e64 v22, 0, v22, s[18:19]
	v_mov_b32_e32 v24, 0x70
	v_cndmask_b32_e32 v26, v22, v24, vcc
	v_add_u32_e32 v24, 21, v26
	v_or_b32_e32 v23, 0x800000, v27
	v_lshlrev_b64 v[29:30], v24, -1
	v_cndmask_b32_e32 v22, v23, v27, vcc
	v_mov_b32_e32 v23, v28
	v_add_u32_e32 v24, 20, v26
	v_bfi_b32 v29, v29, 0, v22
	v_lshlrev_b64 v[36:37], v24, 1
	v_lshrrev_b64 v[22:23], v26, v[22:23]
	v_bfi_b32 v30, v30, 0, 0
	v_cmp_eq_u64_e64 s[18:19], v[29:30], v[36:37]
	v_mov_b32_e32 v24, v23
	v_mov_b32_e32 v23, v22
	s_and_saveexec_b64 s[90:91], s[18:19]
; %bb.5179:                             ;   in Loop: Header=BB6_4475 Depth=2
	v_bfe_u32 v23, v22, 21, 1
	v_add_co_u32_e64 v23, s[18:19], v22, v23
	v_add_co_u32_e64 v23, s[18:19], -1, v23
; %bb.5180:                             ;   in Loop: Header=BB6_4475 Depth=2
	s_or_b64 exec, exec, s[90:91]
	v_add_u32_e32 v1, 0xffffff81, v1
	v_mov_b32_e32 v24, 0xffffff82
	v_cndmask_b32_e32 v1, v1, v24, vcc
	v_lshrrev_b32_e32 v24, 23, v22
	v_add3_u32 v26, v26, v1, v24
	v_add_u32_e32 v24, 14, v26
	v_and_b32_e32 v1, 0x1fffff, v23
	v_add_u32_e32 v27, v1, v22
	v_cmp_ne_u32_e32 vcc, 0, v24
                                        ; implicit-def: $vgpr22_vgpr23
                                        ; implicit-def: $vgpr1
	s_and_saveexec_b64 s[18:19], vcc
	s_xor_b64 s[18:19], exec, s[18:19]
; %bb.5181:                             ;   in Loop: Header=BB6_4475 Depth=2
	v_cmp_lt_u64_e32 vcc, s[62:63], v[27:28]
	v_add_u32_e32 v1, 15, v26
	v_cndmask_b32_e64 v22, 0, 1, vcc
	v_lshrrev_b64 v[22:23], v22, v[27:28]
	v_cndmask_b32_e32 v1, v24, v1, vcc
; %bb.5182:                             ;   in Loop: Header=BB6_4475 Depth=2
	s_andn2_saveexec_b64 s[18:19], s[18:19]
; %bb.5183:                             ;   in Loop: Header=BB6_4475 Depth=2
	v_mov_b32_e32 v22, v27
	v_mov_b32_e32 v23, v28
	v_bfe_u32 v1, v27, 23, 1
; %bb.5184:                             ;   in Loop: Header=BB6_4475 Depth=2
	s_or_b64 exec, exec, s[18:19]
	v_lshrrev_b64 v[22:23], 21, v[22:23]
	v_cmp_gt_i32_e32 vcc, 32, v1
	v_cndmask_b32_e32 v23, 0, v23, vcc
	v_cndmask_b32_e32 v22, 3, v22, vcc
	v_cmp_eq_u32_e32 vcc, 0, v1
	v_min_i32_e32 v1, 31, v1
	v_cmp_eq_u64_e64 s[18:19], 0, v[22:23]
	v_lshlrev_b32_e32 v1, 2, v1
	v_and_b32_e32 v1, 0xfc, v1
	v_and_or_b32 v1, v22, 3, v1
	s_and_b64 s[18:19], vcc, s[18:19]
	v_cndmask_b32_e64 v1, v1, 0, s[18:19]
	v_or_b32_e32 v0, v1, v0
	buffer_store_dword v0, off, s[0:3], s33 offset:228 ; 4-byte Folded Spill
.LBB6_5185:                             ;   in Loop: Header=BB6_4475 Depth=2
	s_or_b64 exec, exec, s[88:89]
                                        ; implicit-def: $vgpr0
.LBB6_5186:                             ;   in Loop: Header=BB6_4475 Depth=2
	s_andn2_saveexec_b64 s[18:19], s[78:79]
	s_cbranch_execz .LBB6_5188
; %bb.5187:                             ;   in Loop: Header=BB6_4475 Depth=2
	v_or_b32_e32 v0, 0x7b, v0
	buffer_store_dword v0, off, s[0:3], s33 offset:228 ; 4-byte Folded Spill
.LBB6_5188:                             ;   in Loop: Header=BB6_4475 Depth=2
	s_or_b64 exec, exec, s[18:19]
                                        ; implicit-def: $vgpr1
.LBB6_5189:                             ;   in Loop: Header=BB6_4475 Depth=2
	s_andn2_saveexec_b64 s[18:19], s[76:77]
	s_cbranch_execz .LBB6_5195
; %bb.5190:                             ;   in Loop: Header=BB6_4475 Depth=2
	v_cmp_ne_u64_e32 vcc, 0, v[27:28]
                                        ; implicit-def: $vgpr0
                                        ; kill: killed $vgpr0
	s_and_saveexec_b64 s[76:77], vcc
	s_xor_b64 s[76:77], exec, s[76:77]
	s_cbranch_execz .LBB6_5192
; %bb.5191:                             ;   in Loop: Header=BB6_4475 Depth=2
	v_or_b32_sdwa v0, v1, s54 dst_sel:DWORD dst_unused:UNUSED_PAD src0_sel:BYTE_3 src1_sel:DWORD
	buffer_store_dword v0, off, s[0:3], s33 offset:228 ; 4-byte Folded Spill
                                        ; implicit-def: $vgpr1
.LBB6_5192:                             ;   in Loop: Header=BB6_4475 Depth=2
	s_andn2_saveexec_b64 s[76:77], s[76:77]
	s_cbranch_execz .LBB6_5194
; %bb.5193:                             ;   in Loop: Header=BB6_4475 Depth=2
	v_cmp_lt_i32_e32 vcc, -1, v1
	v_bfrev_b32_e32 v0, 0.5
	v_mov_b32_e32 v1, 0x7c
	v_cndmask_b32_e32 v0, v0, v1, vcc
	buffer_store_dword v0, off, s[0:3], s33 offset:228 ; 4-byte Folded Spill
.LBB6_5194:                             ;   in Loop: Header=BB6_4475 Depth=2
	s_or_b64 exec, exec, s[76:77]
.LBB6_5195:                             ;   in Loop: Header=BB6_4475 Depth=2
	s_or_b64 exec, exec, s[18:19]
	v_mov_b32_e32 v27, v33
	v_cmp_ne_u16_sdwa s[76:77], v33, v28 src0_sel:BYTE_0 src1_sel:DWORD
	v_mov_b32_e32 v1, 0
	v_mov_b32_e32 v0, 0
	s_and_saveexec_b64 s[18:19], s[76:77]
	s_cbranch_execz .LBB6_5203
; %bb.5196:                             ;   in Loop: Header=BB6_4475 Depth=2
	v_cmp_ne_u16_sdwa s[78:79], v33, s52 src0_sel:BYTE_0 src1_sel:DWORD
	v_bfrev_b32_e32 v0, 1
	s_and_saveexec_b64 s[76:77], s[78:79]
	s_cbranch_execz .LBB6_5202
; %bb.5197:                             ;   in Loop: Header=BB6_4475 Depth=2
	v_and_b32_e32 v0, 0x7c, v33
	v_and_b32_e32 v22, 3, v33
	v_cmp_ne_u32_e32 vcc, s50, v0
                                        ; implicit-def: $vgpr0
	s_and_saveexec_b64 s[78:79], vcc
	s_xor_b64 s[78:79], exec, s[78:79]
	s_cbranch_execz .LBB6_5199
; %bb.5198:                             ;   in Loop: Header=BB6_4475 Depth=2
	v_ffbh_u32_e32 v23, v22
	v_min_u32_e32 v26, 32, v23
	v_subrev_u32_e32 v23, 29, v26
	v_lshlrev_b64 v[23:24], v23, v[27:28]
	v_bfe_u32 v0, v33, 2, 5
	v_and_b32_e32 v23, 3, v23
	v_cmp_eq_u32_e32 vcc, 0, v0
	v_sub_u32_e32 v24, 30, v26
	v_cndmask_b32_e32 v22, v22, v23, vcc
	v_lshlrev_b32_e32 v23, 24, v33
	v_cndmask_b32_e32 v0, v0, v24, vcc
	v_and_b32_e32 v23, 0x80000000, v23
	v_lshl_add_u32 v0, v0, 23, v23
	v_lshl_or_b32 v0, v22, 21, v0
	v_add_u32_e32 v0, 0x38000000, v0
                                        ; implicit-def: $vgpr22
.LBB6_5199:                             ;   in Loop: Header=BB6_4475 Depth=2
	s_andn2_saveexec_b64 s[78:79], s[78:79]
; %bb.5200:                             ;   in Loop: Header=BB6_4475 Depth=2
	v_mov_b32_e32 v0, -1
	v_cmp_gt_i16_sdwa vcc, sext(v33), v0 src0_sel:BYTE_0 src1_sel:DWORD
	v_mov_b32_e32 v0, 0xff800000
	v_mov_b32_e32 v23, 0x7f800000
	v_cndmask_b32_e32 v0, v0, v23, vcc
	v_cmp_eq_u32_e32 vcc, 0, v22
	v_mov_b32_e32 v22, 0x7f800001
	v_cndmask_b32_e32 v0, v22, v0, vcc
; %bb.5201:                             ;   in Loop: Header=BB6_4475 Depth=2
	s_or_b64 exec, exec, s[78:79]
.LBB6_5202:                             ;   in Loop: Header=BB6_4475 Depth=2
	s_or_b64 exec, exec, s[76:77]
.LBB6_5203:                             ;   in Loop: Header=BB6_4475 Depth=2
	s_or_b64 exec, exec, s[18:19]
	v_cmp_ne_u16_sdwa s[76:77], v7, v28 src0_sel:BYTE_0 src1_sel:DWORD
	s_and_saveexec_b64 s[18:19], s[76:77]
	s_cbranch_execz .LBB6_5211
; %bb.5204:                             ;   in Loop: Header=BB6_4475 Depth=2
	v_cmp_ne_u16_sdwa s[78:79], v7, s52 src0_sel:BYTE_0 src1_sel:DWORD
	v_bfrev_b32_e32 v1, 1
	s_and_saveexec_b64 s[76:77], s[78:79]
	s_cbranch_execz .LBB6_5210
; %bb.5205:                             ;   in Loop: Header=BB6_4475 Depth=2
	v_and_b32_e32 v1, 0x7c, v7
	v_and_b32_e32 v22, 3, v7
	v_cmp_ne_u32_e32 vcc, s50, v1
                                        ; implicit-def: $vgpr1
	s_and_saveexec_b64 s[78:79], vcc
	s_xor_b64 s[78:79], exec, s[78:79]
	s_cbranch_execz .LBB6_5207
; %bb.5206:                             ;   in Loop: Header=BB6_4475 Depth=2
	v_ffbh_u32_e32 v26, v22
	v_min_u32_e32 v26, 32, v26
	v_mov_b32_e32 v23, v7
	v_mov_b32_e32 v24, v28
	v_subrev_u32_e32 v29, 29, v26
	v_lshlrev_b64 v[23:24], v29, v[23:24]
	v_bfe_u32 v1, v7, 2, 5
	v_and_b32_e32 v23, 3, v23
	v_cmp_eq_u32_e32 vcc, 0, v1
	v_sub_u32_e32 v24, 30, v26
	v_cndmask_b32_e32 v22, v22, v23, vcc
	v_lshlrev_b32_e32 v23, 24, v7
	v_cndmask_b32_e32 v1, v1, v24, vcc
	v_and_b32_e32 v23, 0x80000000, v23
	v_lshl_add_u32 v1, v1, 23, v23
	v_lshl_or_b32 v1, v22, 21, v1
	v_add_u32_e32 v1, 0x38000000, v1
                                        ; implicit-def: $vgpr22
.LBB6_5207:                             ;   in Loop: Header=BB6_4475 Depth=2
	s_andn2_saveexec_b64 s[78:79], s[78:79]
; %bb.5208:                             ;   in Loop: Header=BB6_4475 Depth=2
	v_mov_b32_e32 v1, -1
	v_cmp_gt_i16_sdwa vcc, sext(v7), v1 src0_sel:BYTE_0 src1_sel:DWORD
	v_mov_b32_e32 v1, 0xff800000
	v_mov_b32_e32 v23, 0x7f800000
	v_cndmask_b32_e32 v1, v1, v23, vcc
	v_cmp_eq_u32_e32 vcc, 0, v22
	v_mov_b32_e32 v22, 0x7f800001
	v_cndmask_b32_e32 v1, v22, v1, vcc
; %bb.5209:                             ;   in Loop: Header=BB6_4475 Depth=2
	s_or_b64 exec, exec, s[78:79]
.LBB6_5210:                             ;   in Loop: Header=BB6_4475 Depth=2
	s_or_b64 exec, exec, s[76:77]
.LBB6_5211:                             ;   in Loop: Header=BB6_4475 Depth=2
	s_or_b64 exec, exec, s[18:19]
	v_mul_f32_e32 v1, v0, v1
	v_and_b32_e32 v23, 0x7f800000, v1
	v_mov_b32_e32 v24, v28
	v_cmp_ne_u64_e32 vcc, s[58:59], v[23:24]
	v_and_b32_e32 v22, 0x7fffff, v1
	v_mov_b32_e32 v23, v28
                                        ; implicit-def: $vgpr0
                                        ; kill: killed $vgpr0
	s_and_saveexec_b64 s[18:19], vcc
	s_xor_b64 s[76:77], exec, s[18:19]
	s_cbranch_execz .LBB6_5225
; %bb.5212:                             ;   in Loop: Header=BB6_4475 Depth=2
	v_and_b32_e32 v29, 0x7fffffff, v1
	v_mov_b32_e32 v30, v28
	v_cmp_gt_u64_e32 vcc, s[60:61], v[29:30]
	v_and_b32_sdwa v0, v1, s52 dst_sel:DWORD dst_unused:UNUSED_PAD src0_sel:BYTE_3 src1_sel:DWORD
                                        ; implicit-def: $vgpr24
                                        ; kill: killed $vgpr24
	s_and_saveexec_b64 s[18:19], vcc
	s_xor_b64 s[78:79], exec, s[18:19]
	s_cbranch_execz .LBB6_5222
; %bb.5213:                             ;   in Loop: Header=BB6_4475 Depth=2
	v_mov_b32_e32 v24, 0
	v_cmp_ne_u32_e32 vcc, 0, v1
	buffer_store_dword v24, off, s[0:3], s33 offset:236 ; 4-byte Folded Spill
	s_and_saveexec_b64 s[88:89], vcc
	s_cbranch_execz .LBB6_5221
; %bb.5214:                             ;   in Loop: Header=BB6_4475 Depth=2
	v_bfe_u32 v1, v1, 23, 8
	v_cmp_gt_u32_e64 s[18:19], s53, v1
	v_sub_u32_e32 v24, 0x71, v1
	v_cmp_eq_u32_e32 vcc, 0, v1
	v_cndmask_b32_e64 v24, 0, v24, s[18:19]
	v_mov_b32_e32 v26, 0x70
	v_cndmask_b32_e32 v26, v24, v26, vcc
	v_or_b32_e32 v29, 0x800000, v22
	v_add_u32_e32 v24, 21, v26
	v_cndmask_b32_e32 v22, v29, v22, vcc
	v_lshlrev_b64 v[29:30], v24, -1
	v_add_u32_e32 v24, 20, v26
	v_bfi_b32 v29, v29, 0, v22
	v_lshlrev_b64 v[36:37], v24, 1
	v_lshrrev_b64 v[22:23], v26, v[22:23]
	v_bfi_b32 v30, v30, 0, 0
	v_cmp_eq_u64_e64 s[18:19], v[29:30], v[36:37]
	v_mov_b32_e32 v24, v23
	v_mov_b32_e32 v23, v22
	s_and_saveexec_b64 s[90:91], s[18:19]
; %bb.5215:                             ;   in Loop: Header=BB6_4475 Depth=2
	v_bfe_u32 v23, v22, 21, 1
	v_add_co_u32_e64 v23, s[18:19], v22, v23
	v_add_co_u32_e64 v23, s[18:19], -1, v23
; %bb.5216:                             ;   in Loop: Header=BB6_4475 Depth=2
	s_or_b64 exec, exec, s[90:91]
	v_add_u32_e32 v1, 0xffffff81, v1
	v_mov_b32_e32 v24, 0xffffff82
	v_cndmask_b32_e32 v1, v1, v24, vcc
	v_lshrrev_b32_e32 v24, 23, v22
	v_add3_u32 v26, v26, v1, v24
	v_add_u32_e32 v24, 14, v26
	v_and_b32_e32 v1, 0x1fffff, v23
	v_add_u32_e32 v22, v1, v22
	v_mov_b32_e32 v23, v28
	v_cmp_ne_u32_e32 vcc, 0, v24
                                        ; implicit-def: $vgpr1
	s_and_saveexec_b64 s[18:19], vcc
	s_xor_b64 s[18:19], exec, s[18:19]
; %bb.5217:                             ;   in Loop: Header=BB6_4475 Depth=2
	v_cmp_lt_u64_e32 vcc, s[62:63], v[22:23]
	v_add_u32_e32 v1, 15, v26
	v_cndmask_b32_e32 v1, v24, v1, vcc
	v_cndmask_b32_e64 v24, 0, 1, vcc
	v_lshrrev_b64 v[22:23], v24, v[22:23]
; %bb.5218:                             ;   in Loop: Header=BB6_4475 Depth=2
	s_andn2_saveexec_b64 s[18:19], s[18:19]
; %bb.5219:                             ;   in Loop: Header=BB6_4475 Depth=2
	v_bfe_u32 v1, v22, 23, 1
; %bb.5220:                             ;   in Loop: Header=BB6_4475 Depth=2
	s_or_b64 exec, exec, s[18:19]
	v_lshrrev_b64 v[22:23], 21, v[22:23]
	v_cmp_gt_i32_e32 vcc, 32, v1
	v_cndmask_b32_e32 v23, 0, v23, vcc
	v_cndmask_b32_e32 v22, 3, v22, vcc
	v_cmp_eq_u32_e32 vcc, 0, v1
	v_min_i32_e32 v1, 31, v1
	v_cmp_eq_u64_e64 s[18:19], 0, v[22:23]
	v_lshlrev_b32_e32 v1, 2, v1
	v_and_b32_e32 v1, 0xfc, v1
	v_and_or_b32 v1, v22, 3, v1
	s_and_b64 s[18:19], vcc, s[18:19]
	v_cndmask_b32_e64 v1, v1, 0, s[18:19]
	v_or_b32_e32 v0, v1, v0
	buffer_store_dword v0, off, s[0:3], s33 offset:236 ; 4-byte Folded Spill
.LBB6_5221:                             ;   in Loop: Header=BB6_4475 Depth=2
	s_or_b64 exec, exec, s[88:89]
                                        ; implicit-def: $vgpr0
.LBB6_5222:                             ;   in Loop: Header=BB6_4475 Depth=2
	s_andn2_saveexec_b64 s[18:19], s[78:79]
	s_cbranch_execz .LBB6_5224
; %bb.5223:                             ;   in Loop: Header=BB6_4475 Depth=2
	v_or_b32_e32 v0, 0x7b, v0
	buffer_store_dword v0, off, s[0:3], s33 offset:236 ; 4-byte Folded Spill
.LBB6_5224:                             ;   in Loop: Header=BB6_4475 Depth=2
	s_or_b64 exec, exec, s[18:19]
                                        ; implicit-def: $vgpr1
                                        ; implicit-def: $vgpr22_vgpr23
.LBB6_5225:                             ;   in Loop: Header=BB6_4475 Depth=2
	s_andn2_saveexec_b64 s[18:19], s[76:77]
	s_cbranch_execz .LBB6_5231
; %bb.5226:                             ;   in Loop: Header=BB6_4475 Depth=2
	v_cmp_ne_u64_e32 vcc, 0, v[22:23]
                                        ; implicit-def: $vgpr0
                                        ; kill: killed $vgpr0
	s_and_saveexec_b64 s[76:77], vcc
	s_xor_b64 s[76:77], exec, s[76:77]
	s_cbranch_execz .LBB6_5228
; %bb.5227:                             ;   in Loop: Header=BB6_4475 Depth=2
	v_or_b32_sdwa v0, v1, s54 dst_sel:DWORD dst_unused:UNUSED_PAD src0_sel:BYTE_3 src1_sel:DWORD
	buffer_store_dword v0, off, s[0:3], s33 offset:236 ; 4-byte Folded Spill
                                        ; implicit-def: $vgpr1
.LBB6_5228:                             ;   in Loop: Header=BB6_4475 Depth=2
	s_andn2_saveexec_b64 s[76:77], s[76:77]
	s_cbranch_execz .LBB6_5230
; %bb.5229:                             ;   in Loop: Header=BB6_4475 Depth=2
	v_cmp_lt_i32_e32 vcc, -1, v1
	v_bfrev_b32_e32 v0, 0.5
	v_mov_b32_e32 v1, 0x7c
	v_cndmask_b32_e32 v0, v0, v1, vcc
	buffer_store_dword v0, off, s[0:3], s33 offset:236 ; 4-byte Folded Spill
.LBB6_5230:                             ;   in Loop: Header=BB6_4475 Depth=2
	s_or_b64 exec, exec, s[76:77]
.LBB6_5231:                             ;   in Loop: Header=BB6_4475 Depth=2
	s_or_b64 exec, exec, s[18:19]
	v_lshrrev_b16_e32 v22, 8, v27
	v_cmp_ne_u16_e32 vcc, 0, v22
	v_mov_b32_e32 v0, 0
	v_mov_b32_e32 v1, 0
	s_and_saveexec_b64 s[18:19], vcc
	s_cbranch_execz .LBB6_5239
; %bb.5232:                             ;   in Loop: Header=BB6_4475 Depth=2
	v_cmp_ne_u16_e32 vcc, s52, v22
	v_bfrev_b32_e32 v1, 1
	s_and_saveexec_b64 s[76:77], vcc
	s_cbranch_execz .LBB6_5238
; %bb.5233:                             ;   in Loop: Header=BB6_4475 Depth=2
	v_and_b32_e32 v1, 0x7c, v22
	v_and_b32_e32 v24, 3, v22
	v_cmp_ne_u32_e32 vcc, s50, v1
                                        ; implicit-def: $vgpr1
	s_and_saveexec_b64 s[78:79], vcc
	s_xor_b64 s[78:79], exec, s[78:79]
	s_cbranch_execz .LBB6_5235
; %bb.5234:                             ;   in Loop: Header=BB6_4475 Depth=2
	v_ffbh_u32_e32 v26, v24
	v_min_u32_e32 v26, 32, v26
	v_mov_b32_e32 v23, v28
	v_subrev_u32_e32 v29, 29, v26
	v_bfe_u32 v1, v22, 2, 5
	v_lshlrev_b64 v[22:23], v29, v[22:23]
	v_sub_u32_e32 v23, 30, v26
	v_cmp_eq_u32_e32 vcc, 0, v1
	v_cndmask_b32_e32 v1, v1, v23, vcc
	v_lshlrev_b32_e32 v23, 16, v27
	v_and_b32_e32 v22, 3, v22
	v_and_b32_e32 v23, 0x80000000, v23
	v_cndmask_b32_e32 v22, v24, v22, vcc
	v_lshl_add_u32 v1, v1, 23, v23
	v_lshl_or_b32 v1, v22, 21, v1
	v_add_u32_e32 v1, 0x38000000, v1
                                        ; implicit-def: $vgpr24
.LBB6_5235:                             ;   in Loop: Header=BB6_4475 Depth=2
	s_andn2_saveexec_b64 s[78:79], s[78:79]
; %bb.5236:                             ;   in Loop: Header=BB6_4475 Depth=2
	v_cmp_lt_i16_e32 vcc, -1, v27
	v_mov_b32_e32 v1, 0xff800000
	v_mov_b32_e32 v22, 0x7f800000
	v_cndmask_b32_e32 v1, v1, v22, vcc
	v_cmp_eq_u32_e32 vcc, 0, v24
	v_mov_b32_e32 v22, 0x7f800001
	v_cndmask_b32_e32 v1, v22, v1, vcc
; %bb.5237:                             ;   in Loop: Header=BB6_4475 Depth=2
	s_or_b64 exec, exec, s[78:79]
.LBB6_5238:                             ;   in Loop: Header=BB6_4475 Depth=2
	s_or_b64 exec, exec, s[76:77]
.LBB6_5239:                             ;   in Loop: Header=BB6_4475 Depth=2
	s_or_b64 exec, exec, s[18:19]
	v_lshrrev_b16_e32 v22, 8, v7
	v_cmp_ne_u16_e32 vcc, 0, v22
	s_and_saveexec_b64 s[18:19], vcc
	s_cbranch_execz .LBB6_5247
; %bb.5240:                             ;   in Loop: Header=BB6_4475 Depth=2
	v_cmp_ne_u16_e32 vcc, s52, v22
	v_bfrev_b32_e32 v0, 1
	s_and_saveexec_b64 s[76:77], vcc
	s_cbranch_execz .LBB6_5246
; %bb.5241:                             ;   in Loop: Header=BB6_4475 Depth=2
	v_and_b32_e32 v0, 0x7c, v22
	v_and_b32_e32 v24, 3, v22
	v_cmp_ne_u32_e32 vcc, s50, v0
                                        ; implicit-def: $vgpr0
	s_and_saveexec_b64 s[78:79], vcc
	s_xor_b64 s[78:79], exec, s[78:79]
	s_cbranch_execz .LBB6_5243
; %bb.5242:                             ;   in Loop: Header=BB6_4475 Depth=2
	v_ffbh_u32_e32 v26, v24
	v_min_u32_e32 v26, 32, v26
	v_mov_b32_e32 v23, v28
	v_subrev_u32_e32 v27, 29, v26
	v_bfe_u32 v0, v22, 2, 5
	v_lshlrev_b64 v[22:23], v27, v[22:23]
	v_sub_u32_e32 v23, 30, v26
	v_cmp_eq_u32_e32 vcc, 0, v0
	v_cndmask_b32_e32 v0, v0, v23, vcc
	v_lshlrev_b32_e32 v23, 16, v7
	v_and_b32_e32 v22, 3, v22
	v_and_b32_e32 v23, 0x80000000, v23
	v_cndmask_b32_e32 v22, v24, v22, vcc
	v_lshl_add_u32 v0, v0, 23, v23
	v_lshl_or_b32 v0, v22, 21, v0
	v_add_u32_e32 v0, 0x38000000, v0
                                        ; implicit-def: $vgpr24
.LBB6_5243:                             ;   in Loop: Header=BB6_4475 Depth=2
	s_andn2_saveexec_b64 s[78:79], s[78:79]
; %bb.5244:                             ;   in Loop: Header=BB6_4475 Depth=2
	v_cmp_lt_i16_e32 vcc, -1, v7
	v_mov_b32_e32 v0, 0xff800000
	v_mov_b32_e32 v22, 0x7f800000
	v_cndmask_b32_e32 v0, v0, v22, vcc
	v_cmp_eq_u32_e32 vcc, 0, v24
	v_mov_b32_e32 v22, 0x7f800001
	v_cndmask_b32_e32 v0, v22, v0, vcc
; %bb.5245:                             ;   in Loop: Header=BB6_4475 Depth=2
	s_or_b64 exec, exec, s[78:79]
.LBB6_5246:                             ;   in Loop: Header=BB6_4475 Depth=2
	s_or_b64 exec, exec, s[76:77]
.LBB6_5247:                             ;   in Loop: Header=BB6_4475 Depth=2
	s_or_b64 exec, exec, s[18:19]
	v_mul_f32_e32 v1, v1, v0
	v_and_b32_e32 v22, 0x7f800000, v1
	v_mov_b32_e32 v23, v28
	v_cmp_ne_u64_e32 vcc, s[58:59], v[22:23]
	v_and_b32_e32 v27, 0x7fffff, v1
                                        ; implicit-def: $vgpr0
                                        ; kill: killed $vgpr0
	s_and_saveexec_b64 s[18:19], vcc
	s_xor_b64 s[76:77], exec, s[18:19]
	s_cbranch_execz .LBB6_5261
; %bb.5248:                             ;   in Loop: Header=BB6_4475 Depth=2
	v_and_b32_e32 v22, 0x7fffffff, v1
	v_mov_b32_e32 v23, v28
	v_cmp_gt_u64_e32 vcc, s[60:61], v[22:23]
	v_and_b32_sdwa v0, v1, s52 dst_sel:DWORD dst_unused:UNUSED_PAD src0_sel:BYTE_3 src1_sel:DWORD
                                        ; implicit-def: $vgpr22
                                        ; kill: killed $vgpr22
	s_and_saveexec_b64 s[18:19], vcc
	s_xor_b64 s[78:79], exec, s[18:19]
	s_cbranch_execz .LBB6_5258
; %bb.5249:                             ;   in Loop: Header=BB6_4475 Depth=2
	v_mov_b32_e32 v22, 0
	v_cmp_ne_u32_e32 vcc, 0, v1
	buffer_store_dword v22, off, s[0:3], s33 offset:240 ; 4-byte Folded Spill
	s_and_saveexec_b64 s[88:89], vcc
	s_cbranch_execz .LBB6_5257
; %bb.5250:                             ;   in Loop: Header=BB6_4475 Depth=2
	v_bfe_u32 v1, v1, 23, 8
	v_cmp_gt_u32_e64 s[18:19], s53, v1
	v_sub_u32_e32 v22, 0x71, v1
	v_cmp_eq_u32_e32 vcc, 0, v1
	v_cndmask_b32_e64 v22, 0, v22, s[18:19]
	v_mov_b32_e32 v24, 0x70
	v_cndmask_b32_e32 v26, v22, v24, vcc
	v_add_u32_e32 v24, 21, v26
	v_or_b32_e32 v23, 0x800000, v27
	v_lshlrev_b64 v[29:30], v24, -1
	v_cndmask_b32_e32 v22, v23, v27, vcc
	v_mov_b32_e32 v23, v28
	v_add_u32_e32 v24, 20, v26
	v_bfi_b32 v29, v29, 0, v22
	v_lshlrev_b64 v[36:37], v24, 1
	v_lshrrev_b64 v[22:23], v26, v[22:23]
	v_bfi_b32 v30, v30, 0, 0
	v_cmp_eq_u64_e64 s[18:19], v[29:30], v[36:37]
	v_mov_b32_e32 v24, v23
	v_mov_b32_e32 v23, v22
	s_and_saveexec_b64 s[90:91], s[18:19]
; %bb.5251:                             ;   in Loop: Header=BB6_4475 Depth=2
	v_bfe_u32 v23, v22, 21, 1
	v_add_co_u32_e64 v23, s[18:19], v22, v23
	v_add_co_u32_e64 v23, s[18:19], -1, v23
; %bb.5252:                             ;   in Loop: Header=BB6_4475 Depth=2
	s_or_b64 exec, exec, s[90:91]
	v_add_u32_e32 v1, 0xffffff81, v1
	v_mov_b32_e32 v24, 0xffffff82
	v_cndmask_b32_e32 v1, v1, v24, vcc
	v_lshrrev_b32_e32 v24, 23, v22
	v_add3_u32 v26, v26, v1, v24
	v_add_u32_e32 v24, 14, v26
	v_and_b32_e32 v1, 0x1fffff, v23
	v_add_u32_e32 v27, v1, v22
	v_cmp_ne_u32_e32 vcc, 0, v24
                                        ; implicit-def: $vgpr22_vgpr23
                                        ; implicit-def: $vgpr1
	s_and_saveexec_b64 s[18:19], vcc
	s_xor_b64 s[18:19], exec, s[18:19]
; %bb.5253:                             ;   in Loop: Header=BB6_4475 Depth=2
	v_cmp_lt_u64_e32 vcc, s[62:63], v[27:28]
	v_add_u32_e32 v1, 15, v26
	v_cndmask_b32_e64 v22, 0, 1, vcc
	v_lshrrev_b64 v[22:23], v22, v[27:28]
	v_cndmask_b32_e32 v1, v24, v1, vcc
; %bb.5254:                             ;   in Loop: Header=BB6_4475 Depth=2
	s_andn2_saveexec_b64 s[18:19], s[18:19]
; %bb.5255:                             ;   in Loop: Header=BB6_4475 Depth=2
	v_mov_b32_e32 v22, v27
	v_mov_b32_e32 v23, v28
	v_bfe_u32 v1, v27, 23, 1
; %bb.5256:                             ;   in Loop: Header=BB6_4475 Depth=2
	s_or_b64 exec, exec, s[18:19]
	v_lshrrev_b64 v[22:23], 21, v[22:23]
	v_cmp_gt_i32_e32 vcc, 32, v1
	v_cndmask_b32_e32 v23, 0, v23, vcc
	v_cndmask_b32_e32 v22, 3, v22, vcc
	v_cmp_eq_u32_e32 vcc, 0, v1
	v_min_i32_e32 v1, 31, v1
	v_cmp_eq_u64_e64 s[18:19], 0, v[22:23]
	v_lshlrev_b32_e32 v1, 2, v1
	v_and_b32_e32 v1, 0xfc, v1
	v_and_or_b32 v1, v22, 3, v1
	s_and_b64 s[18:19], vcc, s[18:19]
	v_cndmask_b32_e64 v1, v1, 0, s[18:19]
	v_or_b32_e32 v0, v1, v0
	buffer_store_dword v0, off, s[0:3], s33 offset:240 ; 4-byte Folded Spill
.LBB6_5257:                             ;   in Loop: Header=BB6_4475 Depth=2
	s_or_b64 exec, exec, s[88:89]
                                        ; implicit-def: $vgpr0
.LBB6_5258:                             ;   in Loop: Header=BB6_4475 Depth=2
	s_andn2_saveexec_b64 s[18:19], s[78:79]
	s_cbranch_execz .LBB6_5260
; %bb.5259:                             ;   in Loop: Header=BB6_4475 Depth=2
	v_or_b32_e32 v0, 0x7b, v0
	buffer_store_dword v0, off, s[0:3], s33 offset:240 ; 4-byte Folded Spill
.LBB6_5260:                             ;   in Loop: Header=BB6_4475 Depth=2
	s_or_b64 exec, exec, s[18:19]
                                        ; implicit-def: $vgpr1
.LBB6_5261:                             ;   in Loop: Header=BB6_4475 Depth=2
	s_andn2_saveexec_b64 s[18:19], s[76:77]
	s_cbranch_execz .LBB6_5267
; %bb.5262:                             ;   in Loop: Header=BB6_4475 Depth=2
	v_cmp_ne_u64_e32 vcc, 0, v[27:28]
                                        ; implicit-def: $vgpr0
                                        ; kill: killed $vgpr0
	s_and_saveexec_b64 s[76:77], vcc
	s_xor_b64 s[76:77], exec, s[76:77]
	s_cbranch_execz .LBB6_5264
; %bb.5263:                             ;   in Loop: Header=BB6_4475 Depth=2
	v_or_b32_sdwa v0, v1, s54 dst_sel:DWORD dst_unused:UNUSED_PAD src0_sel:BYTE_3 src1_sel:DWORD
	buffer_store_dword v0, off, s[0:3], s33 offset:240 ; 4-byte Folded Spill
                                        ; implicit-def: $vgpr1
.LBB6_5264:                             ;   in Loop: Header=BB6_4475 Depth=2
	s_andn2_saveexec_b64 s[76:77], s[76:77]
	s_cbranch_execz .LBB6_5266
; %bb.5265:                             ;   in Loop: Header=BB6_4475 Depth=2
	v_cmp_lt_i32_e32 vcc, -1, v1
	v_bfrev_b32_e32 v0, 0.5
	v_mov_b32_e32 v1, 0x7c
	v_cndmask_b32_e32 v0, v0, v1, vcc
	buffer_store_dword v0, off, s[0:3], s33 offset:240 ; 4-byte Folded Spill
.LBB6_5266:                             ;   in Loop: Header=BB6_4475 Depth=2
	s_or_b64 exec, exec, s[76:77]
.LBB6_5267:                             ;   in Loop: Header=BB6_4475 Depth=2
	s_or_b64 exec, exec, s[18:19]
	v_lshrrev_b32_e32 v22, 16, v33
	v_cmp_ne_u16_sdwa s[76:77], v22, v28 src0_sel:BYTE_0 src1_sel:DWORD
	v_mov_b32_e32 v0, 0
	v_mov_b32_e32 v1, 0
	s_and_saveexec_b64 s[18:19], s[76:77]
	s_cbranch_execz .LBB6_5275
; %bb.5268:                             ;   in Loop: Header=BB6_4475 Depth=2
	v_cmp_ne_u16_sdwa s[78:79], v22, s52 src0_sel:BYTE_0 src1_sel:DWORD
	v_bfrev_b32_e32 v1, 1
	s_and_saveexec_b64 s[76:77], s[78:79]
	s_cbranch_execz .LBB6_5274
; %bb.5269:                             ;   in Loop: Header=BB6_4475 Depth=2
	v_and_b32_e32 v1, 0x7c0000, v33
	v_bfe_u32 v23, v33, 16, 2
	v_cmp_ne_u32_e32 vcc, s55, v1
                                        ; implicit-def: $vgpr1
	s_and_saveexec_b64 s[78:79], vcc
	s_xor_b64 s[78:79], exec, s[78:79]
	s_cbranch_execz .LBB6_5271
; %bb.5270:                             ;   in Loop: Header=BB6_4475 Depth=2
	v_ffbh_u32_e32 v24, v23
	v_min_u32_e32 v24, 32, v24
	v_subrev_u32_e32 v26, 29, v24
	v_lshlrev_b64 v[26:27], v26, v[22:23]
	v_bfe_u32 v1, v33, 18, 5
	v_sub_u32_e32 v22, 30, v24
	v_and_b32_e32 v24, 3, v26
	v_cmp_eq_u32_e32 vcc, 0, v1
	v_cndmask_b32_e32 v1, v1, v22, vcc
	v_cndmask_b32_e32 v22, v23, v24, vcc
	v_lshlrev_b32_e32 v23, 8, v33
	v_and_b32_e32 v23, 0x80000000, v23
	v_lshl_add_u32 v1, v1, 23, v23
	v_lshl_or_b32 v1, v22, 21, v1
	v_add_u32_e32 v1, 0x38000000, v1
                                        ; implicit-def: $vgpr23
                                        ; implicit-def: $vgpr22
.LBB6_5271:                             ;   in Loop: Header=BB6_4475 Depth=2
	s_andn2_saveexec_b64 s[78:79], s[78:79]
; %bb.5272:                             ;   in Loop: Header=BB6_4475 Depth=2
	v_mov_b32_e32 v1, -1
	v_cmp_gt_i16_sdwa vcc, sext(v22), v1 src0_sel:BYTE_0 src1_sel:DWORD
	v_mov_b32_e32 v1, 0xff800000
	v_mov_b32_e32 v22, 0x7f800000
	v_cndmask_b32_e32 v1, v1, v22, vcc
	v_cmp_eq_u32_e32 vcc, 0, v23
	v_mov_b32_e32 v22, 0x7f800001
	v_cndmask_b32_e32 v1, v22, v1, vcc
; %bb.5273:                             ;   in Loop: Header=BB6_4475 Depth=2
	s_or_b64 exec, exec, s[78:79]
.LBB6_5274:                             ;   in Loop: Header=BB6_4475 Depth=2
	s_or_b64 exec, exec, s[76:77]
.LBB6_5275:                             ;   in Loop: Header=BB6_4475 Depth=2
	s_or_b64 exec, exec, s[18:19]
	v_lshrrev_b32_e32 v22, 16, v7
	v_cmp_ne_u16_sdwa s[76:77], v22, v28 src0_sel:BYTE_0 src1_sel:DWORD
	s_and_saveexec_b64 s[18:19], s[76:77]
	s_cbranch_execz .LBB6_5283
; %bb.5276:                             ;   in Loop: Header=BB6_4475 Depth=2
	v_cmp_ne_u16_sdwa s[78:79], v22, s52 src0_sel:BYTE_0 src1_sel:DWORD
	v_bfrev_b32_e32 v0, 1
	s_and_saveexec_b64 s[76:77], s[78:79]
	s_cbranch_execz .LBB6_5282
; %bb.5277:                             ;   in Loop: Header=BB6_4475 Depth=2
	v_and_b32_e32 v0, 0x7c0000, v7
	v_bfe_u32 v23, v7, 16, 2
	v_cmp_ne_u32_e32 vcc, s55, v0
                                        ; implicit-def: $vgpr0
	s_and_saveexec_b64 s[78:79], vcc
	s_xor_b64 s[78:79], exec, s[78:79]
	s_cbranch_execz .LBB6_5279
; %bb.5278:                             ;   in Loop: Header=BB6_4475 Depth=2
	v_ffbh_u32_e32 v24, v23
	v_min_u32_e32 v24, 32, v24
	v_subrev_u32_e32 v26, 29, v24
	v_lshlrev_b64 v[26:27], v26, v[22:23]
	v_bfe_u32 v0, v7, 18, 5
	v_sub_u32_e32 v22, 30, v24
	v_and_b32_e32 v24, 3, v26
	v_cmp_eq_u32_e32 vcc, 0, v0
	v_cndmask_b32_e32 v0, v0, v22, vcc
	v_cndmask_b32_e32 v22, v23, v24, vcc
	v_lshlrev_b32_e32 v23, 8, v7
	v_and_b32_e32 v23, 0x80000000, v23
	v_lshl_add_u32 v0, v0, 23, v23
	v_lshl_or_b32 v0, v22, 21, v0
	v_add_u32_e32 v0, 0x38000000, v0
                                        ; implicit-def: $vgpr23
                                        ; implicit-def: $vgpr22
.LBB6_5279:                             ;   in Loop: Header=BB6_4475 Depth=2
	s_andn2_saveexec_b64 s[78:79], s[78:79]
; %bb.5280:                             ;   in Loop: Header=BB6_4475 Depth=2
	v_mov_b32_e32 v0, -1
	v_cmp_gt_i16_sdwa vcc, sext(v22), v0 src0_sel:BYTE_0 src1_sel:DWORD
	v_mov_b32_e32 v0, 0xff800000
	v_mov_b32_e32 v22, 0x7f800000
	v_cndmask_b32_e32 v0, v0, v22, vcc
	v_cmp_eq_u32_e32 vcc, 0, v23
	v_mov_b32_e32 v22, 0x7f800001
	v_cndmask_b32_e32 v0, v22, v0, vcc
; %bb.5281:                             ;   in Loop: Header=BB6_4475 Depth=2
	s_or_b64 exec, exec, s[78:79]
.LBB6_5282:                             ;   in Loop: Header=BB6_4475 Depth=2
	s_or_b64 exec, exec, s[76:77]
.LBB6_5283:                             ;   in Loop: Header=BB6_4475 Depth=2
	s_or_b64 exec, exec, s[18:19]
	v_mul_f32_e32 v1, v1, v0
	v_and_b32_e32 v22, 0x7f800000, v1
	v_mov_b32_e32 v23, v28
	v_cmp_ne_u64_e32 vcc, s[58:59], v[22:23]
	v_and_b32_e32 v27, 0x7fffff, v1
                                        ; implicit-def: $vgpr0
                                        ; kill: killed $vgpr0
	s_and_saveexec_b64 s[18:19], vcc
	s_xor_b64 s[76:77], exec, s[18:19]
	s_cbranch_execz .LBB6_5297
; %bb.5284:                             ;   in Loop: Header=BB6_4475 Depth=2
	v_and_b32_e32 v22, 0x7fffffff, v1
	v_mov_b32_e32 v23, v28
	v_cmp_gt_u64_e32 vcc, s[60:61], v[22:23]
	v_and_b32_sdwa v0, v1, s52 dst_sel:DWORD dst_unused:UNUSED_PAD src0_sel:BYTE_3 src1_sel:DWORD
                                        ; implicit-def: $vgpr22
                                        ; kill: killed $vgpr22
	s_and_saveexec_b64 s[18:19], vcc
	s_xor_b64 s[78:79], exec, s[18:19]
	s_cbranch_execz .LBB6_5294
; %bb.5285:                             ;   in Loop: Header=BB6_4475 Depth=2
	v_mov_b32_e32 v22, 0
	v_cmp_ne_u32_e32 vcc, 0, v1
	buffer_store_dword v22, off, s[0:3], s33 offset:256 ; 4-byte Folded Spill
	s_and_saveexec_b64 s[88:89], vcc
	s_cbranch_execz .LBB6_5293
; %bb.5286:                             ;   in Loop: Header=BB6_4475 Depth=2
	v_bfe_u32 v1, v1, 23, 8
	v_cmp_gt_u32_e64 s[18:19], s53, v1
	v_sub_u32_e32 v22, 0x71, v1
	v_cmp_eq_u32_e32 vcc, 0, v1
	v_cndmask_b32_e64 v22, 0, v22, s[18:19]
	v_mov_b32_e32 v24, 0x70
	v_cndmask_b32_e32 v26, v22, v24, vcc
	v_add_u32_e32 v24, 21, v26
	v_or_b32_e32 v23, 0x800000, v27
	v_lshlrev_b64 v[29:30], v24, -1
	v_cndmask_b32_e32 v22, v23, v27, vcc
	v_mov_b32_e32 v23, v28
	v_add_u32_e32 v24, 20, v26
	v_bfi_b32 v29, v29, 0, v22
	v_lshlrev_b64 v[36:37], v24, 1
	v_lshrrev_b64 v[22:23], v26, v[22:23]
	v_bfi_b32 v30, v30, 0, 0
	v_cmp_eq_u64_e64 s[18:19], v[29:30], v[36:37]
	v_mov_b32_e32 v24, v23
	v_mov_b32_e32 v23, v22
	s_and_saveexec_b64 s[90:91], s[18:19]
; %bb.5287:                             ;   in Loop: Header=BB6_4475 Depth=2
	v_bfe_u32 v23, v22, 21, 1
	v_add_co_u32_e64 v23, s[18:19], v22, v23
	v_add_co_u32_e64 v23, s[18:19], -1, v23
; %bb.5288:                             ;   in Loop: Header=BB6_4475 Depth=2
	s_or_b64 exec, exec, s[90:91]
	v_add_u32_e32 v1, 0xffffff81, v1
	v_mov_b32_e32 v24, 0xffffff82
	v_cndmask_b32_e32 v1, v1, v24, vcc
	v_lshrrev_b32_e32 v24, 23, v22
	v_add3_u32 v26, v26, v1, v24
	v_add_u32_e32 v24, 14, v26
	v_and_b32_e32 v1, 0x1fffff, v23
	v_add_u32_e32 v27, v1, v22
	v_cmp_ne_u32_e32 vcc, 0, v24
                                        ; implicit-def: $vgpr22_vgpr23
                                        ; implicit-def: $vgpr1
	s_and_saveexec_b64 s[18:19], vcc
	s_xor_b64 s[18:19], exec, s[18:19]
; %bb.5289:                             ;   in Loop: Header=BB6_4475 Depth=2
	v_cmp_lt_u64_e32 vcc, s[62:63], v[27:28]
	v_add_u32_e32 v1, 15, v26
	v_cndmask_b32_e64 v22, 0, 1, vcc
	v_lshrrev_b64 v[22:23], v22, v[27:28]
	v_cndmask_b32_e32 v1, v24, v1, vcc
; %bb.5290:                             ;   in Loop: Header=BB6_4475 Depth=2
	s_andn2_saveexec_b64 s[18:19], s[18:19]
; %bb.5291:                             ;   in Loop: Header=BB6_4475 Depth=2
	v_mov_b32_e32 v22, v27
	v_mov_b32_e32 v23, v28
	v_bfe_u32 v1, v27, 23, 1
; %bb.5292:                             ;   in Loop: Header=BB6_4475 Depth=2
	s_or_b64 exec, exec, s[18:19]
	v_lshrrev_b64 v[22:23], 21, v[22:23]
	v_cmp_gt_i32_e32 vcc, 32, v1
	v_cndmask_b32_e32 v23, 0, v23, vcc
	v_cndmask_b32_e32 v22, 3, v22, vcc
	v_cmp_eq_u32_e32 vcc, 0, v1
	v_min_i32_e32 v1, 31, v1
	v_cmp_eq_u64_e64 s[18:19], 0, v[22:23]
	v_lshlrev_b32_e32 v1, 2, v1
	v_and_b32_e32 v1, 0xfc, v1
	v_and_or_b32 v1, v22, 3, v1
	s_and_b64 s[18:19], vcc, s[18:19]
	v_cndmask_b32_e64 v1, v1, 0, s[18:19]
	v_or_b32_e32 v0, v1, v0
	buffer_store_dword v0, off, s[0:3], s33 offset:256 ; 4-byte Folded Spill
.LBB6_5293:                             ;   in Loop: Header=BB6_4475 Depth=2
	s_or_b64 exec, exec, s[88:89]
                                        ; implicit-def: $vgpr0
.LBB6_5294:                             ;   in Loop: Header=BB6_4475 Depth=2
	s_andn2_saveexec_b64 s[18:19], s[78:79]
	s_cbranch_execz .LBB6_5296
; %bb.5295:                             ;   in Loop: Header=BB6_4475 Depth=2
	v_or_b32_e32 v0, 0x7b, v0
	buffer_store_dword v0, off, s[0:3], s33 offset:256 ; 4-byte Folded Spill
.LBB6_5296:                             ;   in Loop: Header=BB6_4475 Depth=2
	s_or_b64 exec, exec, s[18:19]
                                        ; implicit-def: $vgpr1
.LBB6_5297:                             ;   in Loop: Header=BB6_4475 Depth=2
	s_andn2_saveexec_b64 s[18:19], s[76:77]
	s_cbranch_execz .LBB6_5303
; %bb.5298:                             ;   in Loop: Header=BB6_4475 Depth=2
	v_cmp_ne_u64_e32 vcc, 0, v[27:28]
                                        ; implicit-def: $vgpr0
                                        ; kill: killed $vgpr0
	s_and_saveexec_b64 s[76:77], vcc
	s_xor_b64 s[76:77], exec, s[76:77]
	s_cbranch_execz .LBB6_5300
; %bb.5299:                             ;   in Loop: Header=BB6_4475 Depth=2
	v_or_b32_sdwa v0, v1, s54 dst_sel:DWORD dst_unused:UNUSED_PAD src0_sel:BYTE_3 src1_sel:DWORD
	buffer_store_dword v0, off, s[0:3], s33 offset:256 ; 4-byte Folded Spill
                                        ; implicit-def: $vgpr1
.LBB6_5300:                             ;   in Loop: Header=BB6_4475 Depth=2
	s_andn2_saveexec_b64 s[76:77], s[76:77]
	s_cbranch_execz .LBB6_5302
; %bb.5301:                             ;   in Loop: Header=BB6_4475 Depth=2
	v_cmp_lt_i32_e32 vcc, -1, v1
	v_bfrev_b32_e32 v0, 0.5
	v_mov_b32_e32 v1, 0x7c
	v_cndmask_b32_e32 v0, v0, v1, vcc
	buffer_store_dword v0, off, s[0:3], s33 offset:256 ; 4-byte Folded Spill
.LBB6_5302:                             ;   in Loop: Header=BB6_4475 Depth=2
	s_or_b64 exec, exec, s[76:77]
.LBB6_5303:                             ;   in Loop: Header=BB6_4475 Depth=2
	s_or_b64 exec, exec, s[18:19]
	v_cmp_lt_u64_e32 vcc, s[56:57], v[32:33]
	v_mov_b32_e32 v0, 0
	v_mov_b32_e32 v1, 0
	s_and_saveexec_b64 s[18:19], vcc
	s_cbranch_execz .LBB6_5311
; %bb.5304:                             ;   in Loop: Header=BB6_4475 Depth=2
	v_lshrrev_b32_e32 v22, 24, v33
	v_cmp_ne_u32_e32 vcc, s52, v22
	v_bfrev_b32_e32 v1, 1
	s_and_saveexec_b64 s[76:77], vcc
	s_cbranch_execz .LBB6_5310
; %bb.5305:                             ;   in Loop: Header=BB6_4475 Depth=2
	v_and_b32_e32 v1, 0x7c000000, v33
	v_bfe_u32 v23, v33, 24, 2
	v_cmp_ne_u32_e32 vcc, s64, v1
                                        ; implicit-def: $vgpr1
	s_and_saveexec_b64 s[78:79], vcc
	s_xor_b64 s[78:79], exec, s[78:79]
	s_cbranch_execz .LBB6_5307
; %bb.5306:                             ;   in Loop: Header=BB6_4475 Depth=2
	v_ffbh_u32_e32 v24, v23
	v_min_u32_e32 v24, 32, v24
	v_subrev_u32_e32 v26, 29, v24
	v_lshlrev_b64 v[26:27], v26, v[22:23]
	v_bfe_u32 v1, v33, 26, 5
	v_sub_u32_e32 v22, 30, v24
	v_and_b32_e32 v24, 3, v26
	v_cmp_eq_u32_e32 vcc, 0, v1
	v_cndmask_b32_e32 v1, v1, v22, vcc
	v_cndmask_b32_e32 v22, v23, v24, vcc
	v_and_b32_e32 v23, 0x80000000, v33
	v_lshl_add_u32 v1, v1, 23, v23
	v_lshl_or_b32 v1, v22, 21, v1
	v_add_u32_e32 v1, 0x38000000, v1
                                        ; implicit-def: $vgpr23
.LBB6_5307:                             ;   in Loop: Header=BB6_4475 Depth=2
	s_andn2_saveexec_b64 s[78:79], s[78:79]
; %bb.5308:                             ;   in Loop: Header=BB6_4475 Depth=2
	v_cmp_lt_i64_e32 vcc, -1, v[32:33]
	v_mov_b32_e32 v1, 0xff800000
	v_mov_b32_e32 v22, 0x7f800000
	v_cndmask_b32_e32 v1, v1, v22, vcc
	v_cmp_eq_u32_e32 vcc, 0, v23
	v_mov_b32_e32 v22, 0x7f800001
	v_cndmask_b32_e32 v1, v22, v1, vcc
; %bb.5309:                             ;   in Loop: Header=BB6_4475 Depth=2
	s_or_b64 exec, exec, s[78:79]
.LBB6_5310:                             ;   in Loop: Header=BB6_4475 Depth=2
	s_or_b64 exec, exec, s[76:77]
.LBB6_5311:                             ;   in Loop: Header=BB6_4475 Depth=2
	s_or_b64 exec, exec, s[18:19]
	v_cmp_lt_u64_e32 vcc, s[56:57], v[6:7]
	s_and_saveexec_b64 s[18:19], vcc
	s_cbranch_execz .LBB6_5319
; %bb.5312:                             ;   in Loop: Header=BB6_4475 Depth=2
	v_lshrrev_b32_e32 v22, 24, v7
	v_cmp_ne_u32_e32 vcc, s52, v22
	v_bfrev_b32_e32 v0, 1
	s_and_saveexec_b64 s[76:77], vcc
	s_cbranch_execz .LBB6_5318
; %bb.5313:                             ;   in Loop: Header=BB6_4475 Depth=2
	v_and_b32_e32 v0, 0x7c000000, v7
	v_bfe_u32 v23, v7, 24, 2
	v_cmp_ne_u32_e32 vcc, s64, v0
                                        ; implicit-def: $vgpr0
	s_and_saveexec_b64 s[78:79], vcc
	s_xor_b64 s[78:79], exec, s[78:79]
	s_cbranch_execz .LBB6_5315
; %bb.5314:                             ;   in Loop: Header=BB6_4475 Depth=2
	v_ffbh_u32_e32 v24, v23
	v_min_u32_e32 v24, 32, v24
	v_subrev_u32_e32 v26, 29, v24
	v_lshlrev_b64 v[26:27], v26, v[22:23]
	v_bfe_u32 v0, v7, 26, 5
	v_sub_u32_e32 v22, 30, v24
	v_and_b32_e32 v24, 3, v26
	v_cmp_eq_u32_e32 vcc, 0, v0
	v_cndmask_b32_e32 v0, v0, v22, vcc
	v_cndmask_b32_e32 v22, v23, v24, vcc
	v_and_b32_e32 v23, 0x80000000, v7
	v_lshl_add_u32 v0, v0, 23, v23
	v_lshl_or_b32 v0, v22, 21, v0
	v_add_u32_e32 v0, 0x38000000, v0
                                        ; implicit-def: $vgpr23
.LBB6_5315:                             ;   in Loop: Header=BB6_4475 Depth=2
	s_andn2_saveexec_b64 s[78:79], s[78:79]
; %bb.5316:                             ;   in Loop: Header=BB6_4475 Depth=2
	v_cmp_lt_i64_e32 vcc, -1, v[6:7]
	v_mov_b32_e32 v0, 0xff800000
	v_mov_b32_e32 v6, 0x7f800000
	v_cndmask_b32_e32 v0, v0, v6, vcc
	v_cmp_eq_u32_e32 vcc, 0, v23
	v_mov_b32_e32 v6, 0x7f800001
	v_cndmask_b32_e32 v0, v6, v0, vcc
; %bb.5317:                             ;   in Loop: Header=BB6_4475 Depth=2
	s_or_b64 exec, exec, s[78:79]
.LBB6_5318:                             ;   in Loop: Header=BB6_4475 Depth=2
	s_or_b64 exec, exec, s[76:77]
.LBB6_5319:                             ;   in Loop: Header=BB6_4475 Depth=2
	s_or_b64 exec, exec, s[18:19]
	v_mul_f32_e32 v1, v1, v0
	v_and_b32_e32 v6, 0x7f800000, v1
	v_mov_b32_e32 v7, v28
	v_cmp_ne_u64_e32 vcc, s[58:59], v[6:7]
	v_and_b32_e32 v27, 0x7fffff, v1
                                        ; implicit-def: $vgpr59
	s_and_saveexec_b64 s[18:19], vcc
	s_xor_b64 s[76:77], exec, s[18:19]
	s_cbranch_execz .LBB6_5333
; %bb.5320:                             ;   in Loop: Header=BB6_4475 Depth=2
	v_and_b32_e32 v6, 0x7fffffff, v1
	v_mov_b32_e32 v7, v28
	v_cmp_gt_u64_e32 vcc, s[60:61], v[6:7]
	v_and_b32_sdwa v0, v1, s52 dst_sel:DWORD dst_unused:UNUSED_PAD src0_sel:BYTE_3 src1_sel:DWORD
                                        ; implicit-def: $vgpr59
	s_and_saveexec_b64 s[18:19], vcc
	s_xor_b64 s[78:79], exec, s[18:19]
	s_cbranch_execz .LBB6_5330
; %bb.5321:                             ;   in Loop: Header=BB6_4475 Depth=2
	v_mov_b32_e32 v59, 0
	v_cmp_ne_u32_e32 vcc, 0, v1
	s_and_saveexec_b64 s[88:89], vcc
	s_cbranch_execz .LBB6_5329
; %bb.5322:                             ;   in Loop: Header=BB6_4475 Depth=2
	v_bfe_u32 v1, v1, 23, 8
	v_cmp_gt_u32_e64 s[18:19], s53, v1
	v_sub_u32_e32 v6, 0x71, v1
	v_cmp_eq_u32_e32 vcc, 0, v1
	v_cndmask_b32_e64 v6, 0, v6, s[18:19]
	v_mov_b32_e32 v22, 0x70
	v_cndmask_b32_e32 v26, v6, v22, vcc
	v_add_u32_e32 v22, 21, v26
	v_or_b32_e32 v7, 0x800000, v27
	v_lshlrev_b64 v[22:23], v22, -1
	v_cndmask_b32_e32 v6, v7, v27, vcc
	v_mov_b32_e32 v7, v28
	v_add_u32_e32 v24, 20, v26
	v_bfi_b32 v22, v22, 0, v6
	v_lshlrev_b64 v[29:30], v24, 1
	v_lshrrev_b64 v[6:7], v26, v[6:7]
	v_bfi_b32 v23, v23, 0, 0
	v_cmp_eq_u64_e64 s[18:19], v[22:23], v[29:30]
	v_mov_b32_e32 v23, v7
	v_mov_b32_e32 v22, v6
	s_and_saveexec_b64 s[90:91], s[18:19]
; %bb.5323:                             ;   in Loop: Header=BB6_4475 Depth=2
	v_bfe_u32 v7, v6, 21, 1
	v_add_co_u32_e64 v7, s[18:19], v6, v7
	v_add_co_u32_e64 v22, s[18:19], -1, v7
; %bb.5324:                             ;   in Loop: Header=BB6_4475 Depth=2
	s_or_b64 exec, exec, s[90:91]
	v_add_u32_e32 v1, 0xffffff81, v1
	v_mov_b32_e32 v7, 0xffffff82
	v_cndmask_b32_e32 v1, v1, v7, vcc
	v_lshrrev_b32_e32 v7, 23, v6
	v_add3_u32 v26, v26, v1, v7
	v_add_u32_e32 v23, 14, v26
	v_and_b32_e32 v1, 0x1fffff, v22
	v_add_u32_e32 v27, v1, v6
	v_cmp_ne_u32_e32 vcc, 0, v23
                                        ; implicit-def: $vgpr6_vgpr7
                                        ; implicit-def: $vgpr1
	s_and_saveexec_b64 s[18:19], vcc
	s_xor_b64 s[18:19], exec, s[18:19]
; %bb.5325:                             ;   in Loop: Header=BB6_4475 Depth=2
	v_cmp_lt_u64_e32 vcc, s[62:63], v[27:28]
	v_add_u32_e32 v1, 15, v26
	v_cndmask_b32_e64 v6, 0, 1, vcc
	v_lshrrev_b64 v[6:7], v6, v[27:28]
	v_cndmask_b32_e32 v1, v23, v1, vcc
; %bb.5326:                             ;   in Loop: Header=BB6_4475 Depth=2
	s_andn2_saveexec_b64 s[18:19], s[18:19]
; %bb.5327:                             ;   in Loop: Header=BB6_4475 Depth=2
	v_mov_b32_e32 v6, v27
	v_mov_b32_e32 v7, v28
	v_bfe_u32 v1, v27, 23, 1
; %bb.5328:                             ;   in Loop: Header=BB6_4475 Depth=2
	s_or_b64 exec, exec, s[18:19]
	v_lshrrev_b64 v[6:7], 21, v[6:7]
	v_cmp_gt_i32_e32 vcc, 32, v1
	v_cndmask_b32_e32 v7, 0, v7, vcc
	v_cndmask_b32_e32 v6, 3, v6, vcc
	v_cmp_eq_u32_e32 vcc, 0, v1
	v_min_i32_e32 v1, 31, v1
	v_cmp_eq_u64_e64 s[18:19], 0, v[6:7]
	v_lshlrev_b32_e32 v1, 2, v1
	v_and_b32_e32 v1, 0xfc, v1
	v_and_or_b32 v1, v6, 3, v1
	s_and_b64 s[18:19], vcc, s[18:19]
	v_cndmask_b32_e64 v1, v1, 0, s[18:19]
	v_or_b32_e32 v59, v1, v0
.LBB6_5329:                             ;   in Loop: Header=BB6_4475 Depth=2
	s_or_b64 exec, exec, s[88:89]
                                        ; implicit-def: $vgpr0
.LBB6_5330:                             ;   in Loop: Header=BB6_4475 Depth=2
	s_andn2_saveexec_b64 s[18:19], s[78:79]
; %bb.5331:                             ;   in Loop: Header=BB6_4475 Depth=2
	v_or_b32_e32 v59, 0x7b, v0
; %bb.5332:                             ;   in Loop: Header=BB6_4475 Depth=2
	s_or_b64 exec, exec, s[18:19]
                                        ; implicit-def: $vgpr1
.LBB6_5333:                             ;   in Loop: Header=BB6_4475 Depth=2
	s_andn2_saveexec_b64 s[18:19], s[76:77]
	s_cbranch_execz .LBB6_5339
; %bb.5334:                             ;   in Loop: Header=BB6_4475 Depth=2
	v_cmp_ne_u64_e32 vcc, 0, v[27:28]
                                        ; implicit-def: $vgpr59
	s_and_saveexec_b64 s[76:77], vcc
	s_xor_b64 s[76:77], exec, s[76:77]
; %bb.5335:                             ;   in Loop: Header=BB6_4475 Depth=2
	v_or_b32_sdwa v59, v1, s54 dst_sel:DWORD dst_unused:UNUSED_PAD src0_sel:BYTE_3 src1_sel:DWORD
                                        ; implicit-def: $vgpr1
; %bb.5336:                             ;   in Loop: Header=BB6_4475 Depth=2
	s_andn2_saveexec_b64 s[76:77], s[76:77]
; %bb.5337:                             ;   in Loop: Header=BB6_4475 Depth=2
	v_cmp_lt_i32_e32 vcc, -1, v1
	v_bfrev_b32_e32 v0, 0.5
	v_mov_b32_e32 v1, 0x7c
	v_cndmask_b32_e32 v59, v0, v1, vcc
; %bb.5338:                             ;   in Loop: Header=BB6_4475 Depth=2
	s_or_b64 exec, exec, s[76:77]
.LBB6_5339:                             ;   in Loop: Header=BB6_4475 Depth=2
	s_or_b64 exec, exec, s[18:19]
	v_cmp_ne_u16_sdwa s[76:77], v34, v28 src0_sel:BYTE_0 src1_sel:DWORD
	v_mov_b32_e32 v0, 0
	v_mov_b32_e32 v1, 0
	s_and_saveexec_b64 s[18:19], s[76:77]
	s_cbranch_execz .LBB6_5347
; %bb.5340:                             ;   in Loop: Header=BB6_4475 Depth=2
	v_cmp_ne_u16_sdwa s[78:79], sext(v34), s49 src0_sel:BYTE_0 src1_sel:DWORD
	v_bfrev_b32_e32 v1, 1
	s_and_saveexec_b64 s[76:77], s[78:79]
	s_cbranch_execz .LBB6_5346
; %bb.5341:                             ;   in Loop: Header=BB6_4475 Depth=2
	v_and_b32_e32 v1, 0x7c, v34
	v_and_b32_e32 v6, 3, v34
	v_cmp_ne_u32_e32 vcc, s50, v1
                                        ; implicit-def: $vgpr1
	s_and_saveexec_b64 s[78:79], vcc
	s_xor_b64 s[78:79], exec, s[78:79]
	s_cbranch_execz .LBB6_5343
; %bb.5342:                             ;   in Loop: Header=BB6_4475 Depth=2
	v_ffbh_u32_e32 v7, v6
	v_min_u32_e32 v7, 32, v7
	v_bfe_u32 v1, v34, 2, 5
	v_subrev_u32_e32 v22, 29, v7
	v_lshlrev_b64 v[22:23], v22, v[34:35]
	v_sub_u32_e32 v7, 30, v7
	v_cmp_eq_u32_e32 vcc, 0, v1
	v_cndmask_b32_e32 v1, v1, v7, vcc
	v_lshlrev_b32_e32 v7, 24, v34
	v_and_b32_e32 v22, 3, v22
	v_and_b32_e32 v7, 0x80000000, v7
	v_cndmask_b32_e32 v6, v6, v22, vcc
	v_lshl_add_u32 v1, v1, 23, v7
	v_lshl_or_b32 v1, v6, 21, v1
	v_add_u32_e32 v1, 0x38000000, v1
                                        ; implicit-def: $vgpr6
.LBB6_5343:                             ;   in Loop: Header=BB6_4475 Depth=2
	s_andn2_saveexec_b64 s[78:79], s[78:79]
; %bb.5344:                             ;   in Loop: Header=BB6_4475 Depth=2
	v_mov_b32_e32 v1, -1
	v_cmp_gt_i16_sdwa vcc, sext(v34), v1 src0_sel:BYTE_0 src1_sel:DWORD
	v_mov_b32_e32 v1, 0xff800000
	v_mov_b32_e32 v7, 0x7f800000
	v_cndmask_b32_e32 v1, v1, v7, vcc
	v_cmp_eq_u32_e32 vcc, 0, v6
	v_mov_b32_e32 v6, 0x7f800001
	v_cndmask_b32_e32 v1, v6, v1, vcc
; %bb.5345:                             ;   in Loop: Header=BB6_4475 Depth=2
	s_or_b64 exec, exec, s[78:79]
.LBB6_5346:                             ;   in Loop: Header=BB6_4475 Depth=2
	s_or_b64 exec, exec, s[76:77]
.LBB6_5347:                             ;   in Loop: Header=BB6_4475 Depth=2
	s_or_b64 exec, exec, s[18:19]
	v_cmp_ne_u16_sdwa s[76:77], v8, v28 src0_sel:BYTE_0 src1_sel:DWORD
	s_and_saveexec_b64 s[18:19], s[76:77]
	s_cbranch_execz .LBB6_5355
; %bb.5348:                             ;   in Loop: Header=BB6_4475 Depth=2
	v_cmp_ne_u16_sdwa s[78:79], sext(v8), s49 src0_sel:BYTE_0 src1_sel:DWORD
	v_bfrev_b32_e32 v0, 1
	s_and_saveexec_b64 s[76:77], s[78:79]
	s_cbranch_execz .LBB6_5354
; %bb.5349:                             ;   in Loop: Header=BB6_4475 Depth=2
	v_and_b32_e32 v0, 0x7c, v8
	v_and_b32_e32 v6, 3, v8
	v_cmp_ne_u32_e32 vcc, s50, v0
                                        ; implicit-def: $vgpr0
	s_and_saveexec_b64 s[78:79], vcc
	s_xor_b64 s[78:79], exec, s[78:79]
	s_cbranch_execz .LBB6_5351
; %bb.5350:                             ;   in Loop: Header=BB6_4475 Depth=2
	v_ffbh_u32_e32 v7, v6
	v_min_u32_e32 v7, 32, v7
	v_bfe_u32 v0, v8, 2, 5
	v_subrev_u32_e32 v22, 29, v7
	v_lshlrev_b64 v[22:23], v22, v[8:9]
	v_sub_u32_e32 v7, 30, v7
	v_cmp_eq_u32_e32 vcc, 0, v0
	v_cndmask_b32_e32 v0, v0, v7, vcc
	v_lshlrev_b32_e32 v7, 24, v8
	v_and_b32_e32 v22, 3, v22
	v_and_b32_e32 v7, 0x80000000, v7
	v_cndmask_b32_e32 v6, v6, v22, vcc
	v_lshl_add_u32 v0, v0, 23, v7
	v_lshl_or_b32 v0, v6, 21, v0
	v_add_u32_e32 v0, 0x38000000, v0
                                        ; implicit-def: $vgpr6
.LBB6_5351:                             ;   in Loop: Header=BB6_4475 Depth=2
	s_andn2_saveexec_b64 s[78:79], s[78:79]
; %bb.5352:                             ;   in Loop: Header=BB6_4475 Depth=2
	v_mov_b32_e32 v0, -1
	v_cmp_gt_i16_sdwa vcc, sext(v8), v0 src0_sel:BYTE_0 src1_sel:DWORD
	v_mov_b32_e32 v0, 0xff800000
	v_mov_b32_e32 v7, 0x7f800000
	v_cndmask_b32_e32 v0, v0, v7, vcc
	v_cmp_eq_u32_e32 vcc, 0, v6
	v_mov_b32_e32 v6, 0x7f800001
	v_cndmask_b32_e32 v0, v6, v0, vcc
; %bb.5353:                             ;   in Loop: Header=BB6_4475 Depth=2
	s_or_b64 exec, exec, s[78:79]
.LBB6_5354:                             ;   in Loop: Header=BB6_4475 Depth=2
	s_or_b64 exec, exec, s[76:77]
.LBB6_5355:                             ;   in Loop: Header=BB6_4475 Depth=2
	s_or_b64 exec, exec, s[18:19]
	v_mul_f32_e32 v1, v1, v0
	v_and_b32_e32 v6, 0x7f800000, v1
	v_mov_b32_e32 v7, v28
	v_cmp_ne_u64_e32 vcc, s[58:59], v[6:7]
	v_and_b32_e32 v27, 0x7fffff, v1
                                        ; implicit-def: $vgpr24
	s_and_saveexec_b64 s[18:19], vcc
	s_xor_b64 s[76:77], exec, s[18:19]
	s_cbranch_execz .LBB6_5369
; %bb.5356:                             ;   in Loop: Header=BB6_4475 Depth=2
	v_and_b32_e32 v6, 0x7fffffff, v1
	v_mov_b32_e32 v7, v28
	v_cmp_gt_u64_e32 vcc, s[60:61], v[6:7]
	v_and_b32_sdwa v0, v1, s52 dst_sel:DWORD dst_unused:UNUSED_PAD src0_sel:BYTE_3 src1_sel:DWORD
                                        ; implicit-def: $vgpr24
	s_and_saveexec_b64 s[18:19], vcc
	s_xor_b64 s[78:79], exec, s[18:19]
	s_cbranch_execz .LBB6_5366
; %bb.5357:                             ;   in Loop: Header=BB6_4475 Depth=2
	v_mov_b32_e32 v24, 0
	v_cmp_ne_u32_e32 vcc, 0, v1
	s_and_saveexec_b64 s[88:89], vcc
	s_cbranch_execz .LBB6_5365
; %bb.5358:                             ;   in Loop: Header=BB6_4475 Depth=2
	v_bfe_u32 v1, v1, 23, 8
	v_cmp_gt_u32_e64 s[18:19], s53, v1
	v_sub_u32_e32 v6, 0x71, v1
	v_cmp_eq_u32_e32 vcc, 0, v1
	v_cndmask_b32_e64 v6, 0, v6, s[18:19]
	v_mov_b32_e32 v22, 0x70
	v_cndmask_b32_e32 v26, v6, v22, vcc
	v_add_u32_e32 v22, 21, v26
	v_or_b32_e32 v7, 0x800000, v27
	v_lshlrev_b64 v[22:23], v22, -1
	v_cndmask_b32_e32 v6, v7, v27, vcc
	v_mov_b32_e32 v7, v28
	v_add_u32_e32 v24, 20, v26
	v_bfi_b32 v22, v22, 0, v6
	v_lshlrev_b64 v[29:30], v24, 1
	v_lshrrev_b64 v[6:7], v26, v[6:7]
	v_bfi_b32 v23, v23, 0, 0
	v_cmp_eq_u64_e64 s[18:19], v[22:23], v[29:30]
	v_mov_b32_e32 v23, v7
	v_mov_b32_e32 v22, v6
	s_and_saveexec_b64 s[90:91], s[18:19]
; %bb.5359:                             ;   in Loop: Header=BB6_4475 Depth=2
	v_bfe_u32 v7, v6, 21, 1
	v_add_co_u32_e64 v7, s[18:19], v6, v7
	v_add_co_u32_e64 v22, s[18:19], -1, v7
; %bb.5360:                             ;   in Loop: Header=BB6_4475 Depth=2
	s_or_b64 exec, exec, s[90:91]
	v_add_u32_e32 v1, 0xffffff81, v1
	v_mov_b32_e32 v7, 0xffffff82
	v_cndmask_b32_e32 v1, v1, v7, vcc
	v_lshrrev_b32_e32 v7, 23, v6
	v_add3_u32 v26, v26, v1, v7
	v_add_u32_e32 v23, 14, v26
	v_and_b32_e32 v1, 0x1fffff, v22
	v_add_u32_e32 v27, v1, v6
	v_cmp_ne_u32_e32 vcc, 0, v23
                                        ; implicit-def: $vgpr6_vgpr7
                                        ; implicit-def: $vgpr1
	s_and_saveexec_b64 s[18:19], vcc
	s_xor_b64 s[18:19], exec, s[18:19]
; %bb.5361:                             ;   in Loop: Header=BB6_4475 Depth=2
	v_cmp_lt_u64_e32 vcc, s[62:63], v[27:28]
	v_add_u32_e32 v1, 15, v26
	v_cndmask_b32_e64 v6, 0, 1, vcc
	v_lshrrev_b64 v[6:7], v6, v[27:28]
	v_cndmask_b32_e32 v1, v23, v1, vcc
; %bb.5362:                             ;   in Loop: Header=BB6_4475 Depth=2
	s_andn2_saveexec_b64 s[18:19], s[18:19]
; %bb.5363:                             ;   in Loop: Header=BB6_4475 Depth=2
	v_mov_b32_e32 v6, v27
	v_mov_b32_e32 v7, v28
	v_bfe_u32 v1, v27, 23, 1
; %bb.5364:                             ;   in Loop: Header=BB6_4475 Depth=2
	s_or_b64 exec, exec, s[18:19]
	v_lshrrev_b64 v[6:7], 21, v[6:7]
	v_cmp_gt_i32_e32 vcc, 32, v1
	v_cndmask_b32_e32 v7, 0, v7, vcc
	v_cndmask_b32_e32 v6, 3, v6, vcc
	v_cmp_eq_u32_e32 vcc, 0, v1
	v_min_i32_e32 v1, 31, v1
	v_cmp_eq_u64_e64 s[18:19], 0, v[6:7]
	v_lshlrev_b32_e32 v1, 2, v1
	v_and_b32_e32 v1, 0xfc, v1
	v_and_or_b32 v1, v6, 3, v1
	s_and_b64 s[18:19], vcc, s[18:19]
	v_cndmask_b32_e64 v1, v1, 0, s[18:19]
	v_or_b32_e32 v24, v1, v0
.LBB6_5365:                             ;   in Loop: Header=BB6_4475 Depth=2
	s_or_b64 exec, exec, s[88:89]
                                        ; implicit-def: $vgpr0
.LBB6_5366:                             ;   in Loop: Header=BB6_4475 Depth=2
	s_andn2_saveexec_b64 s[18:19], s[78:79]
; %bb.5367:                             ;   in Loop: Header=BB6_4475 Depth=2
	v_or_b32_e32 v24, 0x7b, v0
; %bb.5368:                             ;   in Loop: Header=BB6_4475 Depth=2
	s_or_b64 exec, exec, s[18:19]
                                        ; implicit-def: $vgpr1
.LBB6_5369:                             ;   in Loop: Header=BB6_4475 Depth=2
	s_andn2_saveexec_b64 s[18:19], s[76:77]
	s_cbranch_execz .LBB6_5375
; %bb.5370:                             ;   in Loop: Header=BB6_4475 Depth=2
	v_cmp_ne_u64_e32 vcc, 0, v[27:28]
                                        ; implicit-def: $vgpr24
	s_and_saveexec_b64 s[76:77], vcc
	s_xor_b64 s[76:77], exec, s[76:77]
; %bb.5371:                             ;   in Loop: Header=BB6_4475 Depth=2
	v_or_b32_sdwa v24, v1, s54 dst_sel:DWORD dst_unused:UNUSED_PAD src0_sel:BYTE_3 src1_sel:DWORD
                                        ; implicit-def: $vgpr1
; %bb.5372:                             ;   in Loop: Header=BB6_4475 Depth=2
	s_andn2_saveexec_b64 s[76:77], s[76:77]
; %bb.5373:                             ;   in Loop: Header=BB6_4475 Depth=2
	v_cmp_lt_i32_e32 vcc, -1, v1
	v_bfrev_b32_e32 v0, 0.5
	v_mov_b32_e32 v1, 0x7c
	v_cndmask_b32_e32 v24, v0, v1, vcc
; %bb.5374:                             ;   in Loop: Header=BB6_4475 Depth=2
	s_or_b64 exec, exec, s[76:77]
.LBB6_5375:                             ;   in Loop: Header=BB6_4475 Depth=2
	s_or_b64 exec, exec, s[18:19]
	v_lshrrev_b16_e32 v6, 8, v34
	v_cmp_ne_u16_e32 vcc, 0, v6
	v_mov_b32_e32 v0, 0
	v_mov_b32_e32 v1, 0
	s_and_saveexec_b64 s[18:19], vcc
	s_cbranch_execz .LBB6_5383
; %bb.5376:                             ;   in Loop: Header=BB6_4475 Depth=2
	v_cmp_ne_u16_e32 vcc, s52, v6
	v_bfrev_b32_e32 v1, 1
	s_and_saveexec_b64 s[76:77], vcc
	s_cbranch_execz .LBB6_5382
; %bb.5377:                             ;   in Loop: Header=BB6_4475 Depth=2
	v_and_b32_e32 v1, 0x7c, v6
	v_and_b32_e32 v22, 3, v6
	v_cmp_ne_u32_e32 vcc, s50, v1
                                        ; implicit-def: $vgpr1
	s_and_saveexec_b64 s[78:79], vcc
	s_xor_b64 s[78:79], exec, s[78:79]
	s_cbranch_execz .LBB6_5379
; %bb.5378:                             ;   in Loop: Header=BB6_4475 Depth=2
	v_ffbh_u32_e32 v23, v22
	v_min_u32_e32 v23, 32, v23
	v_mov_b32_e32 v7, v28
	v_subrev_u32_e32 v26, 29, v23
	v_bfe_u32 v1, v6, 2, 5
	v_lshlrev_b64 v[6:7], v26, v[6:7]
	v_sub_u32_e32 v7, 30, v23
	v_cmp_eq_u32_e32 vcc, 0, v1
	v_cndmask_b32_e32 v1, v1, v7, vcc
	v_lshlrev_b32_e32 v7, 16, v34
	v_and_b32_e32 v6, 3, v6
	v_and_b32_e32 v7, 0x80000000, v7
	v_cndmask_b32_e32 v6, v22, v6, vcc
	v_lshl_add_u32 v1, v1, 23, v7
	v_lshl_or_b32 v1, v6, 21, v1
	v_add_u32_e32 v1, 0x38000000, v1
                                        ; implicit-def: $vgpr22
.LBB6_5379:                             ;   in Loop: Header=BB6_4475 Depth=2
	s_andn2_saveexec_b64 s[78:79], s[78:79]
; %bb.5380:                             ;   in Loop: Header=BB6_4475 Depth=2
	v_cmp_lt_i16_e32 vcc, -1, v34
	v_mov_b32_e32 v1, 0xff800000
	v_mov_b32_e32 v6, 0x7f800000
	v_cndmask_b32_e32 v1, v1, v6, vcc
	v_cmp_eq_u32_e32 vcc, 0, v22
	v_mov_b32_e32 v6, 0x7f800001
	v_cndmask_b32_e32 v1, v6, v1, vcc
; %bb.5381:                             ;   in Loop: Header=BB6_4475 Depth=2
	s_or_b64 exec, exec, s[78:79]
.LBB6_5382:                             ;   in Loop: Header=BB6_4475 Depth=2
	s_or_b64 exec, exec, s[76:77]
.LBB6_5383:                             ;   in Loop: Header=BB6_4475 Depth=2
	s_or_b64 exec, exec, s[18:19]
	v_lshrrev_b16_e32 v6, 8, v8
	v_cmp_ne_u16_e32 vcc, 0, v6
	s_and_saveexec_b64 s[18:19], vcc
	s_cbranch_execz .LBB6_5391
; %bb.5384:                             ;   in Loop: Header=BB6_4475 Depth=2
	v_cmp_ne_u16_e32 vcc, s52, v6
	v_bfrev_b32_e32 v0, 1
	s_and_saveexec_b64 s[76:77], vcc
	s_cbranch_execz .LBB6_5390
; %bb.5385:                             ;   in Loop: Header=BB6_4475 Depth=2
	v_and_b32_e32 v0, 0x7c, v6
	v_and_b32_e32 v22, 3, v6
	v_cmp_ne_u32_e32 vcc, s50, v0
                                        ; implicit-def: $vgpr0
	s_and_saveexec_b64 s[78:79], vcc
	s_xor_b64 s[78:79], exec, s[78:79]
	s_cbranch_execz .LBB6_5387
; %bb.5386:                             ;   in Loop: Header=BB6_4475 Depth=2
	v_ffbh_u32_e32 v23, v22
	v_min_u32_e32 v23, 32, v23
	v_mov_b32_e32 v7, v28
	v_subrev_u32_e32 v26, 29, v23
	v_bfe_u32 v0, v6, 2, 5
	v_lshlrev_b64 v[6:7], v26, v[6:7]
	v_sub_u32_e32 v7, 30, v23
	v_cmp_eq_u32_e32 vcc, 0, v0
	v_cndmask_b32_e32 v0, v0, v7, vcc
	v_lshlrev_b32_e32 v7, 16, v8
	v_and_b32_e32 v6, 3, v6
	v_and_b32_e32 v7, 0x80000000, v7
	v_cndmask_b32_e32 v6, v22, v6, vcc
	v_lshl_add_u32 v0, v0, 23, v7
	v_lshl_or_b32 v0, v6, 21, v0
	v_add_u32_e32 v0, 0x38000000, v0
                                        ; implicit-def: $vgpr22
.LBB6_5387:                             ;   in Loop: Header=BB6_4475 Depth=2
	s_andn2_saveexec_b64 s[78:79], s[78:79]
; %bb.5388:                             ;   in Loop: Header=BB6_4475 Depth=2
	v_cmp_lt_i16_e32 vcc, -1, v8
	v_mov_b32_e32 v0, 0xff800000
	v_mov_b32_e32 v6, 0x7f800000
	v_cndmask_b32_e32 v0, v0, v6, vcc
	v_cmp_eq_u32_e32 vcc, 0, v22
	v_mov_b32_e32 v6, 0x7f800001
	v_cndmask_b32_e32 v0, v6, v0, vcc
; %bb.5389:                             ;   in Loop: Header=BB6_4475 Depth=2
	s_or_b64 exec, exec, s[78:79]
.LBB6_5390:                             ;   in Loop: Header=BB6_4475 Depth=2
	s_or_b64 exec, exec, s[76:77]
.LBB6_5391:                             ;   in Loop: Header=BB6_4475 Depth=2
	s_or_b64 exec, exec, s[18:19]
	v_mul_f32_e32 v1, v1, v0
	v_and_b32_e32 v6, 0x7f800000, v1
	v_mov_b32_e32 v7, v28
	v_cmp_ne_u64_e32 vcc, s[58:59], v[6:7]
	v_and_b32_e32 v27, 0x7fffff, v1
                                        ; implicit-def: $vgpr60
	s_and_saveexec_b64 s[18:19], vcc
	s_xor_b64 s[76:77], exec, s[18:19]
	s_cbranch_execz .LBB6_5405
; %bb.5392:                             ;   in Loop: Header=BB6_4475 Depth=2
	v_and_b32_e32 v6, 0x7fffffff, v1
	v_mov_b32_e32 v7, v28
	v_cmp_gt_u64_e32 vcc, s[60:61], v[6:7]
	v_and_b32_sdwa v0, v1, s52 dst_sel:DWORD dst_unused:UNUSED_PAD src0_sel:BYTE_3 src1_sel:DWORD
                                        ; implicit-def: $vgpr60
	s_and_saveexec_b64 s[18:19], vcc
	s_xor_b64 s[78:79], exec, s[18:19]
	s_cbranch_execz .LBB6_5402
; %bb.5393:                             ;   in Loop: Header=BB6_4475 Depth=2
	v_mov_b32_e32 v60, 0
	v_cmp_ne_u32_e32 vcc, 0, v1
	s_and_saveexec_b64 s[88:89], vcc
	s_cbranch_execz .LBB6_5401
; %bb.5394:                             ;   in Loop: Header=BB6_4475 Depth=2
	v_bfe_u32 v1, v1, 23, 8
	v_cmp_gt_u32_e64 s[18:19], s53, v1
	v_sub_u32_e32 v6, 0x71, v1
	v_cmp_eq_u32_e32 vcc, 0, v1
	v_cndmask_b32_e64 v6, 0, v6, s[18:19]
	v_mov_b32_e32 v22, 0x70
	v_cndmask_b32_e32 v26, v6, v22, vcc
	v_add_u32_e32 v22, 21, v26
	v_or_b32_e32 v7, 0x800000, v27
	v_lshlrev_b64 v[22:23], v22, -1
	v_cndmask_b32_e32 v6, v7, v27, vcc
	v_mov_b32_e32 v7, v28
	v_add_u32_e32 v27, 20, v26
	v_bfi_b32 v22, v22, 0, v6
	v_lshlrev_b64 v[29:30], v27, 1
	v_lshrrev_b64 v[6:7], v26, v[6:7]
	v_bfi_b32 v23, v23, 0, 0
	v_cmp_eq_u64_e64 s[18:19], v[22:23], v[29:30]
	v_mov_b32_e32 v23, v7
	v_mov_b32_e32 v22, v6
	s_and_saveexec_b64 s[90:91], s[18:19]
; %bb.5395:                             ;   in Loop: Header=BB6_4475 Depth=2
	v_bfe_u32 v7, v6, 21, 1
	v_add_co_u32_e64 v7, s[18:19], v6, v7
	v_add_co_u32_e64 v22, s[18:19], -1, v7
; %bb.5396:                             ;   in Loop: Header=BB6_4475 Depth=2
	s_or_b64 exec, exec, s[90:91]
	v_add_u32_e32 v1, 0xffffff81, v1
	v_mov_b32_e32 v7, 0xffffff82
	v_cndmask_b32_e32 v1, v1, v7, vcc
	v_lshrrev_b32_e32 v7, 23, v6
	v_add3_u32 v26, v26, v1, v7
	v_add_u32_e32 v23, 14, v26
	v_and_b32_e32 v1, 0x1fffff, v22
	v_add_u32_e32 v27, v1, v6
	v_cmp_ne_u32_e32 vcc, 0, v23
                                        ; implicit-def: $vgpr6_vgpr7
                                        ; implicit-def: $vgpr1
	s_and_saveexec_b64 s[18:19], vcc
	s_xor_b64 s[18:19], exec, s[18:19]
; %bb.5397:                             ;   in Loop: Header=BB6_4475 Depth=2
	v_cmp_lt_u64_e32 vcc, s[62:63], v[27:28]
	v_add_u32_e32 v1, 15, v26
	v_cndmask_b32_e64 v6, 0, 1, vcc
	v_lshrrev_b64 v[6:7], v6, v[27:28]
	v_cndmask_b32_e32 v1, v23, v1, vcc
; %bb.5398:                             ;   in Loop: Header=BB6_4475 Depth=2
	s_andn2_saveexec_b64 s[18:19], s[18:19]
; %bb.5399:                             ;   in Loop: Header=BB6_4475 Depth=2
	v_mov_b32_e32 v6, v27
	v_mov_b32_e32 v7, v28
	v_bfe_u32 v1, v27, 23, 1
; %bb.5400:                             ;   in Loop: Header=BB6_4475 Depth=2
	s_or_b64 exec, exec, s[18:19]
	v_lshrrev_b64 v[6:7], 21, v[6:7]
	v_cmp_gt_i32_e32 vcc, 32, v1
	v_cndmask_b32_e32 v7, 0, v7, vcc
	v_cndmask_b32_e32 v6, 3, v6, vcc
	v_cmp_eq_u32_e32 vcc, 0, v1
	v_min_i32_e32 v1, 31, v1
	v_cmp_eq_u64_e64 s[18:19], 0, v[6:7]
	v_lshlrev_b32_e32 v1, 2, v1
	v_and_b32_e32 v1, 0xfc, v1
	v_and_or_b32 v1, v6, 3, v1
	s_and_b64 s[18:19], vcc, s[18:19]
	v_cndmask_b32_e64 v1, v1, 0, s[18:19]
	v_or_b32_e32 v60, v1, v0
.LBB6_5401:                             ;   in Loop: Header=BB6_4475 Depth=2
	s_or_b64 exec, exec, s[88:89]
                                        ; implicit-def: $vgpr0
.LBB6_5402:                             ;   in Loop: Header=BB6_4475 Depth=2
	s_andn2_saveexec_b64 s[18:19], s[78:79]
; %bb.5403:                             ;   in Loop: Header=BB6_4475 Depth=2
	v_or_b32_e32 v60, 0x7b, v0
; %bb.5404:                             ;   in Loop: Header=BB6_4475 Depth=2
	s_or_b64 exec, exec, s[18:19]
                                        ; implicit-def: $vgpr1
.LBB6_5405:                             ;   in Loop: Header=BB6_4475 Depth=2
	s_andn2_saveexec_b64 s[18:19], s[76:77]
	s_cbranch_execz .LBB6_5411
; %bb.5406:                             ;   in Loop: Header=BB6_4475 Depth=2
	v_cmp_ne_u64_e32 vcc, 0, v[27:28]
                                        ; implicit-def: $vgpr60
	s_and_saveexec_b64 s[76:77], vcc
	s_xor_b64 s[76:77], exec, s[76:77]
; %bb.5407:                             ;   in Loop: Header=BB6_4475 Depth=2
	v_or_b32_sdwa v60, v1, s54 dst_sel:DWORD dst_unused:UNUSED_PAD src0_sel:BYTE_3 src1_sel:DWORD
                                        ; implicit-def: $vgpr1
; %bb.5408:                             ;   in Loop: Header=BB6_4475 Depth=2
	s_andn2_saveexec_b64 s[76:77], s[76:77]
; %bb.5409:                             ;   in Loop: Header=BB6_4475 Depth=2
	v_cmp_lt_i32_e32 vcc, -1, v1
	v_bfrev_b32_e32 v0, 0.5
	v_mov_b32_e32 v1, 0x7c
	v_cndmask_b32_e32 v60, v0, v1, vcc
; %bb.5410:                             ;   in Loop: Header=BB6_4475 Depth=2
	s_or_b64 exec, exec, s[76:77]
.LBB6_5411:                             ;   in Loop: Header=BB6_4475 Depth=2
	s_or_b64 exec, exec, s[18:19]
	v_lshrrev_b32_e32 v6, 16, v34
	v_cmp_ne_u16_sdwa s[76:77], v6, v28 src0_sel:BYTE_0 src1_sel:DWORD
	v_mov_b32_e32 v0, 0
	v_mov_b32_e32 v1, 0
	s_and_saveexec_b64 s[18:19], s[76:77]
	s_cbranch_execz .LBB6_5419
; %bb.5412:                             ;   in Loop: Header=BB6_4475 Depth=2
	v_cmp_ne_u16_sdwa s[78:79], v6, s52 src0_sel:BYTE_0 src1_sel:DWORD
	v_bfrev_b32_e32 v1, 1
	s_and_saveexec_b64 s[76:77], s[78:79]
	s_cbranch_execz .LBB6_5418
; %bb.5413:                             ;   in Loop: Header=BB6_4475 Depth=2
	v_and_b32_e32 v1, 0x7c0000, v34
	v_bfe_u32 v7, v34, 16, 2
	v_cmp_ne_u32_e32 vcc, s55, v1
                                        ; implicit-def: $vgpr1
	s_and_saveexec_b64 s[78:79], vcc
	s_xor_b64 s[78:79], exec, s[78:79]
	s_cbranch_execz .LBB6_5415
; %bb.5414:                             ;   in Loop: Header=BB6_4475 Depth=2
	v_ffbh_u32_e32 v22, v7
	v_min_u32_e32 v26, 32, v22
	v_subrev_u32_e32 v22, 29, v26
	v_lshlrev_b64 v[22:23], v22, v[6:7]
	v_bfe_u32 v1, v34, 18, 5
	v_sub_u32_e32 v6, 30, v26
	v_and_b32_e32 v22, 3, v22
	v_cmp_eq_u32_e32 vcc, 0, v1
	v_cndmask_b32_e32 v1, v1, v6, vcc
	v_cndmask_b32_e32 v6, v7, v22, vcc
	v_lshlrev_b32_e32 v7, 8, v34
	v_and_b32_e32 v7, 0x80000000, v7
	v_lshl_add_u32 v1, v1, 23, v7
	v_lshl_or_b32 v1, v6, 21, v1
	v_add_u32_e32 v1, 0x38000000, v1
                                        ; implicit-def: $vgpr7
                                        ; implicit-def: $vgpr6
.LBB6_5415:                             ;   in Loop: Header=BB6_4475 Depth=2
	s_andn2_saveexec_b64 s[78:79], s[78:79]
; %bb.5416:                             ;   in Loop: Header=BB6_4475 Depth=2
	v_mov_b32_e32 v1, -1
	v_cmp_gt_i16_sdwa vcc, sext(v6), v1 src0_sel:BYTE_0 src1_sel:DWORD
	v_mov_b32_e32 v1, 0xff800000
	v_mov_b32_e32 v6, 0x7f800000
	v_cndmask_b32_e32 v1, v1, v6, vcc
	v_cmp_eq_u32_e32 vcc, 0, v7
	v_mov_b32_e32 v6, 0x7f800001
	v_cndmask_b32_e32 v1, v6, v1, vcc
; %bb.5417:                             ;   in Loop: Header=BB6_4475 Depth=2
	s_or_b64 exec, exec, s[78:79]
.LBB6_5418:                             ;   in Loop: Header=BB6_4475 Depth=2
	s_or_b64 exec, exec, s[76:77]
.LBB6_5419:                             ;   in Loop: Header=BB6_4475 Depth=2
	s_or_b64 exec, exec, s[18:19]
	v_lshrrev_b32_e32 v6, 16, v8
	v_cmp_ne_u16_sdwa s[76:77], v6, v28 src0_sel:BYTE_0 src1_sel:DWORD
	s_and_saveexec_b64 s[18:19], s[76:77]
	s_cbranch_execz .LBB6_5427
; %bb.5420:                             ;   in Loop: Header=BB6_4475 Depth=2
	v_cmp_ne_u16_sdwa s[78:79], v6, s52 src0_sel:BYTE_0 src1_sel:DWORD
	v_bfrev_b32_e32 v0, 1
	s_and_saveexec_b64 s[76:77], s[78:79]
	s_cbranch_execz .LBB6_5426
; %bb.5421:                             ;   in Loop: Header=BB6_4475 Depth=2
	v_and_b32_e32 v0, 0x7c0000, v8
	v_bfe_u32 v7, v8, 16, 2
	v_cmp_ne_u32_e32 vcc, s55, v0
                                        ; implicit-def: $vgpr0
	s_and_saveexec_b64 s[78:79], vcc
	s_xor_b64 s[78:79], exec, s[78:79]
	s_cbranch_execz .LBB6_5423
; %bb.5422:                             ;   in Loop: Header=BB6_4475 Depth=2
	v_ffbh_u32_e32 v22, v7
	v_min_u32_e32 v26, 32, v22
	v_subrev_u32_e32 v22, 29, v26
	v_lshlrev_b64 v[22:23], v22, v[6:7]
	v_bfe_u32 v0, v8, 18, 5
	v_sub_u32_e32 v6, 30, v26
	v_and_b32_e32 v22, 3, v22
	v_cmp_eq_u32_e32 vcc, 0, v0
	v_cndmask_b32_e32 v0, v0, v6, vcc
	v_cndmask_b32_e32 v6, v7, v22, vcc
	v_lshlrev_b32_e32 v7, 8, v8
	v_and_b32_e32 v7, 0x80000000, v7
	v_lshl_add_u32 v0, v0, 23, v7
	v_lshl_or_b32 v0, v6, 21, v0
	v_add_u32_e32 v0, 0x38000000, v0
                                        ; implicit-def: $vgpr7
                                        ; implicit-def: $vgpr6
.LBB6_5423:                             ;   in Loop: Header=BB6_4475 Depth=2
	s_andn2_saveexec_b64 s[78:79], s[78:79]
; %bb.5424:                             ;   in Loop: Header=BB6_4475 Depth=2
	v_mov_b32_e32 v0, -1
	v_cmp_gt_i16_sdwa vcc, sext(v6), v0 src0_sel:BYTE_0 src1_sel:DWORD
	v_mov_b32_e32 v0, 0xff800000
	v_mov_b32_e32 v6, 0x7f800000
	v_cndmask_b32_e32 v0, v0, v6, vcc
	v_cmp_eq_u32_e32 vcc, 0, v7
	v_mov_b32_e32 v6, 0x7f800001
	v_cndmask_b32_e32 v0, v6, v0, vcc
; %bb.5425:                             ;   in Loop: Header=BB6_4475 Depth=2
	s_or_b64 exec, exec, s[78:79]
.LBB6_5426:                             ;   in Loop: Header=BB6_4475 Depth=2
	s_or_b64 exec, exec, s[76:77]
.LBB6_5427:                             ;   in Loop: Header=BB6_4475 Depth=2
	s_or_b64 exec, exec, s[18:19]
	v_mul_f32_e32 v6, v1, v0
	v_and_b32_e32 v0, 0x7f800000, v6
	v_mov_b32_e32 v1, v28
	v_cmp_ne_u64_e32 vcc, s[58:59], v[0:1]
	v_and_b32_e32 v27, 0x7fffff, v6
                                        ; implicit-def: $vgpr0
	s_and_saveexec_b64 s[18:19], vcc
	s_xor_b64 s[76:77], exec, s[18:19]
	s_cbranch_execz .LBB6_5441
; %bb.5428:                             ;   in Loop: Header=BB6_4475 Depth=2
	v_and_b32_e32 v0, 0x7fffffff, v6
	v_mov_b32_e32 v1, v28
	v_cmp_gt_u64_e32 vcc, s[60:61], v[0:1]
	v_and_b32_sdwa v1, v6, s52 dst_sel:DWORD dst_unused:UNUSED_PAD src0_sel:BYTE_3 src1_sel:DWORD
                                        ; implicit-def: $vgpr0
	s_and_saveexec_b64 s[18:19], vcc
	s_xor_b64 s[78:79], exec, s[18:19]
	s_cbranch_execz .LBB6_5438
; %bb.5429:                             ;   in Loop: Header=BB6_4475 Depth=2
	v_mov_b32_e32 v0, 0
	v_cmp_ne_u32_e32 vcc, 0, v6
	s_and_saveexec_b64 s[88:89], vcc
	s_cbranch_execz .LBB6_5437
; %bb.5430:                             ;   in Loop: Header=BB6_4475 Depth=2
	v_bfe_u32 v0, v6, 23, 8
	v_cmp_gt_u32_e64 s[18:19], s53, v0
	v_sub_u32_e32 v6, 0x71, v0
	v_cmp_eq_u32_e32 vcc, 0, v0
	v_cndmask_b32_e64 v6, 0, v6, s[18:19]
	v_mov_b32_e32 v22, 0x70
	v_cndmask_b32_e32 v26, v6, v22, vcc
	v_add_u32_e32 v22, 21, v26
	v_or_b32_e32 v7, 0x800000, v27
	v_lshlrev_b64 v[22:23], v22, -1
	v_cndmask_b32_e32 v6, v7, v27, vcc
	v_mov_b32_e32 v7, v28
	v_add_u32_e32 v27, 20, v26
	v_bfi_b32 v22, v22, 0, v6
	v_lshlrev_b64 v[29:30], v27, 1
	v_lshrrev_b64 v[6:7], v26, v[6:7]
	v_bfi_b32 v23, v23, 0, 0
	v_cmp_eq_u64_e64 s[18:19], v[22:23], v[29:30]
	v_mov_b32_e32 v23, v7
	v_mov_b32_e32 v22, v6
	s_and_saveexec_b64 s[90:91], s[18:19]
; %bb.5431:                             ;   in Loop: Header=BB6_4475 Depth=2
	v_bfe_u32 v7, v6, 21, 1
	v_add_co_u32_e64 v7, s[18:19], v6, v7
	v_add_co_u32_e64 v22, s[18:19], -1, v7
; %bb.5432:                             ;   in Loop: Header=BB6_4475 Depth=2
	s_or_b64 exec, exec, s[90:91]
	v_add_u32_e32 v0, 0xffffff81, v0
	v_mov_b32_e32 v7, 0xffffff82
	v_cndmask_b32_e32 v0, v0, v7, vcc
	v_lshrrev_b32_e32 v7, 23, v6
	v_add3_u32 v26, v26, v0, v7
	v_add_u32_e32 v23, 14, v26
	v_and_b32_e32 v0, 0x1fffff, v22
	v_add_u32_e32 v27, v0, v6
	v_cmp_ne_u32_e32 vcc, 0, v23
                                        ; implicit-def: $vgpr6_vgpr7
                                        ; implicit-def: $vgpr0
	s_and_saveexec_b64 s[18:19], vcc
	s_xor_b64 s[18:19], exec, s[18:19]
; %bb.5433:                             ;   in Loop: Header=BB6_4475 Depth=2
	v_cmp_lt_u64_e32 vcc, s[62:63], v[27:28]
	v_add_u32_e32 v0, 15, v26
	v_cndmask_b32_e64 v6, 0, 1, vcc
	v_lshrrev_b64 v[6:7], v6, v[27:28]
	v_cndmask_b32_e32 v0, v23, v0, vcc
; %bb.5434:                             ;   in Loop: Header=BB6_4475 Depth=2
	s_andn2_saveexec_b64 s[18:19], s[18:19]
; %bb.5435:                             ;   in Loop: Header=BB6_4475 Depth=2
	v_mov_b32_e32 v6, v27
	v_mov_b32_e32 v7, v28
	v_bfe_u32 v0, v27, 23, 1
; %bb.5436:                             ;   in Loop: Header=BB6_4475 Depth=2
	s_or_b64 exec, exec, s[18:19]
	v_lshrrev_b64 v[6:7], 21, v[6:7]
	v_cmp_gt_i32_e32 vcc, 32, v0
	v_cndmask_b32_e32 v7, 0, v7, vcc
	v_cndmask_b32_e32 v6, 3, v6, vcc
	v_cmp_eq_u32_e32 vcc, 0, v0
	v_min_i32_e32 v0, 31, v0
	v_cmp_eq_u64_e64 s[18:19], 0, v[6:7]
	v_lshlrev_b32_e32 v0, 2, v0
	v_and_b32_e32 v0, 0xfc, v0
	v_and_or_b32 v0, v6, 3, v0
	s_and_b64 s[18:19], vcc, s[18:19]
	v_cndmask_b32_e64 v0, v0, 0, s[18:19]
	v_or_b32_e32 v0, v0, v1
.LBB6_5437:                             ;   in Loop: Header=BB6_4475 Depth=2
	s_or_b64 exec, exec, s[88:89]
                                        ; implicit-def: $vgpr1
.LBB6_5438:                             ;   in Loop: Header=BB6_4475 Depth=2
	s_andn2_saveexec_b64 s[18:19], s[78:79]
; %bb.5439:                             ;   in Loop: Header=BB6_4475 Depth=2
	v_or_b32_e32 v0, 0x7b, v1
; %bb.5440:                             ;   in Loop: Header=BB6_4475 Depth=2
	s_or_b64 exec, exec, s[18:19]
                                        ; implicit-def: $vgpr6
.LBB6_5441:                             ;   in Loop: Header=BB6_4475 Depth=2
	s_andn2_saveexec_b64 s[18:19], s[76:77]
	s_cbranch_execz .LBB6_5447
; %bb.5442:                             ;   in Loop: Header=BB6_4475 Depth=2
	v_cmp_ne_u64_e32 vcc, 0, v[27:28]
                                        ; implicit-def: $vgpr0
	s_and_saveexec_b64 s[76:77], vcc
	s_xor_b64 s[76:77], exec, s[76:77]
; %bb.5443:                             ;   in Loop: Header=BB6_4475 Depth=2
	v_or_b32_sdwa v0, v6, s54 dst_sel:DWORD dst_unused:UNUSED_PAD src0_sel:BYTE_3 src1_sel:DWORD
                                        ; implicit-def: $vgpr6
; %bb.5444:                             ;   in Loop: Header=BB6_4475 Depth=2
	s_andn2_saveexec_b64 s[76:77], s[76:77]
; %bb.5445:                             ;   in Loop: Header=BB6_4475 Depth=2
	v_cmp_lt_i32_e32 vcc, -1, v6
	v_bfrev_b32_e32 v0, 0.5
	v_mov_b32_e32 v1, 0x7c
	v_cndmask_b32_e32 v0, v0, v1, vcc
; %bb.5446:                             ;   in Loop: Header=BB6_4475 Depth=2
	s_or_b64 exec, exec, s[76:77]
.LBB6_5447:                             ;   in Loop: Header=BB6_4475 Depth=2
	s_or_b64 exec, exec, s[18:19]
	v_cmp_lt_u32_e32 vcc, s57, v34
	v_mov_b32_e32 v1, 0
	v_mov_b32_e32 v7, 0
	s_and_saveexec_b64 s[18:19], vcc
	s_cbranch_execz .LBB6_5455
; %bb.5448:                             ;   in Loop: Header=BB6_4475 Depth=2
	v_lshrrev_b32_e32 v6, 24, v34
	v_cmp_ne_u32_e32 vcc, s52, v6
	v_bfrev_b32_e32 v7, 1
	s_and_saveexec_b64 s[76:77], vcc
	s_cbranch_execz .LBB6_5454
; %bb.5449:                             ;   in Loop: Header=BB6_4475 Depth=2
	v_and_b32_e32 v7, 0x7c000000, v34
	v_bfe_u32 v22, v34, 24, 2
	v_cmp_ne_u32_e32 vcc, s64, v7
                                        ; implicit-def: $vgpr7
	s_and_saveexec_b64 s[78:79], vcc
	s_xor_b64 s[78:79], exec, s[78:79]
	s_cbranch_execz .LBB6_5451
; %bb.5450:                             ;   in Loop: Header=BB6_4475 Depth=2
	v_ffbh_u32_e32 v7, v22
	v_min_u32_e32 v26, 32, v7
	v_subrev_u32_e32 v7, 29, v26
	v_lshlrev_b64 v[6:7], v7, v[6:7]
	v_bfe_u32 v23, v34, 26, 5
	v_sub_u32_e32 v7, 30, v26
	v_and_b32_e32 v6, 3, v6
	v_cmp_eq_u32_e32 vcc, 0, v23
	v_cndmask_b32_e32 v7, v23, v7, vcc
	v_cndmask_b32_e32 v6, v22, v6, vcc
	v_and_b32_e32 v22, 0x80000000, v34
	v_lshl_add_u32 v7, v7, 23, v22
	v_lshl_or_b32 v6, v6, 21, v7
	v_add_u32_e32 v7, 0x38000000, v6
                                        ; implicit-def: $vgpr22
.LBB6_5451:                             ;   in Loop: Header=BB6_4475 Depth=2
	s_andn2_saveexec_b64 s[78:79], s[78:79]
; %bb.5452:                             ;   in Loop: Header=BB6_4475 Depth=2
	v_cmp_lt_i32_e32 vcc, -1, v34
	v_mov_b32_e32 v6, 0xff800000
	v_mov_b32_e32 v7, 0x7f800000
	v_cndmask_b32_e32 v6, v6, v7, vcc
	v_cmp_eq_u32_e32 vcc, 0, v22
	v_mov_b32_e32 v7, 0x7f800001
	v_cndmask_b32_e32 v7, v7, v6, vcc
; %bb.5453:                             ;   in Loop: Header=BB6_4475 Depth=2
	s_or_b64 exec, exec, s[78:79]
.LBB6_5454:                             ;   in Loop: Header=BB6_4475 Depth=2
	s_or_b64 exec, exec, s[76:77]
.LBB6_5455:                             ;   in Loop: Header=BB6_4475 Depth=2
	s_or_b64 exec, exec, s[18:19]
	v_cmp_lt_u32_e32 vcc, s57, v8
	s_and_saveexec_b64 s[18:19], vcc
	s_cbranch_execz .LBB6_5463
; %bb.5456:                             ;   in Loop: Header=BB6_4475 Depth=2
	v_lshrrev_b32_e32 v6, 24, v8
	v_cmp_ne_u32_e32 vcc, s52, v6
	v_bfrev_b32_e32 v1, 1
	s_and_saveexec_b64 s[76:77], vcc
	s_cbranch_execz .LBB6_5462
; %bb.5457:                             ;   in Loop: Header=BB6_4475 Depth=2
	v_and_b32_e32 v1, 0x7c000000, v8
	v_bfe_u32 v22, v8, 24, 2
	v_cmp_ne_u32_e32 vcc, s64, v1
                                        ; implicit-def: $vgpr1
	s_and_saveexec_b64 s[78:79], vcc
	s_xor_b64 s[78:79], exec, s[78:79]
	s_cbranch_execz .LBB6_5459
; %bb.5458:                             ;   in Loop: Header=BB6_4475 Depth=2
	v_ffbh_u32_e32 v23, v22
	v_min_u32_e32 v23, 32, v23
	v_subrev_u32_e32 v26, 29, v23
	v_lshlrev_b64 v[26:27], v26, v[6:7]
	v_bfe_u32 v1, v8, 26, 5
	v_sub_u32_e32 v6, 30, v23
	v_and_b32_e32 v23, 3, v26
	v_cmp_eq_u32_e32 vcc, 0, v1
	v_cndmask_b32_e32 v1, v1, v6, vcc
	v_cndmask_b32_e32 v6, v22, v23, vcc
	v_and_b32_e32 v22, 0x80000000, v8
	v_lshl_add_u32 v1, v1, 23, v22
	v_lshl_or_b32 v1, v6, 21, v1
	v_add_u32_e32 v1, 0x38000000, v1
                                        ; implicit-def: $vgpr22
.LBB6_5459:                             ;   in Loop: Header=BB6_4475 Depth=2
	s_andn2_saveexec_b64 s[78:79], s[78:79]
; %bb.5460:                             ;   in Loop: Header=BB6_4475 Depth=2
	v_cmp_lt_i32_e32 vcc, -1, v8
	v_mov_b32_e32 v1, 0xff800000
	v_mov_b32_e32 v6, 0x7f800000
	v_cndmask_b32_e32 v1, v1, v6, vcc
	v_cmp_eq_u32_e32 vcc, 0, v22
	v_mov_b32_e32 v6, 0x7f800001
	v_cndmask_b32_e32 v1, v6, v1, vcc
; %bb.5461:                             ;   in Loop: Header=BB6_4475 Depth=2
	s_or_b64 exec, exec, s[78:79]
.LBB6_5462:                             ;   in Loop: Header=BB6_4475 Depth=2
	s_or_b64 exec, exec, s[76:77]
.LBB6_5463:                             ;   in Loop: Header=BB6_4475 Depth=2
	s_or_b64 exec, exec, s[18:19]
	v_mul_f32_e32 v6, v7, v1
	v_and_b32_e32 v22, 0x7f800000, v6
	v_mov_b32_e32 v23, v28
	v_cmp_ne_u64_e32 vcc, s[58:59], v[22:23]
	v_and_b32_e32 v27, 0x7fffff, v6
                                        ; implicit-def: $vgpr1
	s_and_saveexec_b64 s[18:19], vcc
	s_xor_b64 s[76:77], exec, s[18:19]
	s_cbranch_execz .LBB6_5477
; %bb.5464:                             ;   in Loop: Header=BB6_4475 Depth=2
	v_and_b32_e32 v22, 0x7fffffff, v6
	v_mov_b32_e32 v23, v28
	v_cmp_gt_u64_e32 vcc, s[60:61], v[22:23]
	v_and_b32_sdwa v26, v6, s52 dst_sel:DWORD dst_unused:UNUSED_PAD src0_sel:BYTE_3 src1_sel:DWORD
                                        ; implicit-def: $vgpr1
	s_and_saveexec_b64 s[18:19], vcc
	s_xor_b64 s[78:79], exec, s[18:19]
	s_cbranch_execz .LBB6_5474
; %bb.5465:                             ;   in Loop: Header=BB6_4475 Depth=2
	v_mov_b32_e32 v1, 0
	v_cmp_ne_u32_e32 vcc, 0, v6
	s_and_saveexec_b64 s[88:89], vcc
	s_cbranch_execz .LBB6_5473
; %bb.5466:                             ;   in Loop: Header=BB6_4475 Depth=2
	v_bfe_u32 v1, v6, 23, 8
	v_cmp_gt_u32_e64 s[18:19], s53, v1
	v_sub_u32_e32 v6, 0x71, v1
	v_cmp_eq_u32_e32 vcc, 0, v1
	v_cndmask_b32_e64 v6, 0, v6, s[18:19]
	v_mov_b32_e32 v22, 0x70
	v_cndmask_b32_e32 v29, v6, v22, vcc
	v_add_u32_e32 v22, 21, v29
	v_or_b32_e32 v7, 0x800000, v27
	v_lshlrev_b64 v[22:23], v22, -1
	v_cndmask_b32_e32 v6, v7, v27, vcc
	v_mov_b32_e32 v7, v28
	v_add_u32_e32 v27, 20, v29
	v_bfi_b32 v22, v22, 0, v6
	v_lshlrev_b64 v[30:31], v27, 1
	v_lshrrev_b64 v[6:7], v29, v[6:7]
	v_bfi_b32 v23, v23, 0, 0
	v_cmp_eq_u64_e64 s[18:19], v[22:23], v[30:31]
	v_mov_b32_e32 v23, v7
	v_mov_b32_e32 v22, v6
	s_and_saveexec_b64 s[90:91], s[18:19]
; %bb.5467:                             ;   in Loop: Header=BB6_4475 Depth=2
	v_bfe_u32 v7, v6, 21, 1
	v_add_co_u32_e64 v7, s[18:19], v6, v7
	v_add_co_u32_e64 v22, s[18:19], -1, v7
; %bb.5468:                             ;   in Loop: Header=BB6_4475 Depth=2
	s_or_b64 exec, exec, s[90:91]
	v_add_u32_e32 v1, 0xffffff81, v1
	v_mov_b32_e32 v7, 0xffffff82
	v_cndmask_b32_e32 v1, v1, v7, vcc
	v_lshrrev_b32_e32 v7, 23, v6
	v_add3_u32 v29, v29, v1, v7
	v_add_u32_e32 v23, 14, v29
	v_and_b32_e32 v1, 0x1fffff, v22
	v_add_u32_e32 v27, v1, v6
	v_cmp_ne_u32_e32 vcc, 0, v23
                                        ; implicit-def: $vgpr6_vgpr7
                                        ; implicit-def: $vgpr1
	s_and_saveexec_b64 s[18:19], vcc
	s_xor_b64 s[18:19], exec, s[18:19]
; %bb.5469:                             ;   in Loop: Header=BB6_4475 Depth=2
	v_cmp_lt_u64_e32 vcc, s[62:63], v[27:28]
	v_add_u32_e32 v1, 15, v29
	v_cndmask_b32_e64 v6, 0, 1, vcc
	v_lshrrev_b64 v[6:7], v6, v[27:28]
	v_cndmask_b32_e32 v1, v23, v1, vcc
; %bb.5470:                             ;   in Loop: Header=BB6_4475 Depth=2
	s_andn2_saveexec_b64 s[18:19], s[18:19]
; %bb.5471:                             ;   in Loop: Header=BB6_4475 Depth=2
	v_mov_b32_e32 v6, v27
	v_mov_b32_e32 v7, v28
	v_bfe_u32 v1, v27, 23, 1
; %bb.5472:                             ;   in Loop: Header=BB6_4475 Depth=2
	s_or_b64 exec, exec, s[18:19]
	v_lshrrev_b64 v[6:7], 21, v[6:7]
	v_cmp_gt_i32_e32 vcc, 32, v1
	v_cndmask_b32_e32 v7, 0, v7, vcc
	v_cndmask_b32_e32 v6, 3, v6, vcc
	v_cmp_eq_u32_e32 vcc, 0, v1
	v_min_i32_e32 v1, 31, v1
	v_cmp_eq_u64_e64 s[18:19], 0, v[6:7]
	v_lshlrev_b32_e32 v1, 2, v1
	v_and_b32_e32 v1, 0xfc, v1
	v_and_or_b32 v1, v6, 3, v1
	s_and_b64 s[18:19], vcc, s[18:19]
	v_cndmask_b32_e64 v1, v1, 0, s[18:19]
	v_or_b32_e32 v1, v1, v26
.LBB6_5473:                             ;   in Loop: Header=BB6_4475 Depth=2
	s_or_b64 exec, exec, s[88:89]
                                        ; implicit-def: $vgpr26
.LBB6_5474:                             ;   in Loop: Header=BB6_4475 Depth=2
	s_andn2_saveexec_b64 s[18:19], s[78:79]
; %bb.5475:                             ;   in Loop: Header=BB6_4475 Depth=2
	v_or_b32_e32 v1, 0x7b, v26
; %bb.5476:                             ;   in Loop: Header=BB6_4475 Depth=2
	s_or_b64 exec, exec, s[18:19]
                                        ; implicit-def: $vgpr6
.LBB6_5477:                             ;   in Loop: Header=BB6_4475 Depth=2
	s_andn2_saveexec_b64 s[18:19], s[76:77]
	s_cbranch_execz .LBB6_5483
; %bb.5478:                             ;   in Loop: Header=BB6_4475 Depth=2
	v_cmp_ne_u64_e32 vcc, 0, v[27:28]
                                        ; implicit-def: $vgpr1
	s_and_saveexec_b64 s[76:77], vcc
	s_xor_b64 s[76:77], exec, s[76:77]
; %bb.5479:                             ;   in Loop: Header=BB6_4475 Depth=2
	v_or_b32_sdwa v1, v6, s54 dst_sel:DWORD dst_unused:UNUSED_PAD src0_sel:BYTE_3 src1_sel:DWORD
                                        ; implicit-def: $vgpr6
; %bb.5480:                             ;   in Loop: Header=BB6_4475 Depth=2
	s_andn2_saveexec_b64 s[76:77], s[76:77]
; %bb.5481:                             ;   in Loop: Header=BB6_4475 Depth=2
	v_cmp_lt_i32_e32 vcc, -1, v6
	v_bfrev_b32_e32 v1, 0.5
	v_mov_b32_e32 v6, 0x7c
	v_cndmask_b32_e32 v1, v1, v6, vcc
; %bb.5482:                             ;   in Loop: Header=BB6_4475 Depth=2
	s_or_b64 exec, exec, s[76:77]
.LBB6_5483:                             ;   in Loop: Header=BB6_4475 Depth=2
	s_or_b64 exec, exec, s[18:19]
	v_mov_b32_e32 v27, v35
	v_cmp_ne_u16_sdwa s[76:77], v35, v28 src0_sel:BYTE_0 src1_sel:DWORD
	v_mov_b32_e32 v7, 0
	v_mov_b32_e32 v6, 0
	s_and_saveexec_b64 s[18:19], s[76:77]
	s_cbranch_execz .LBB6_5491
; %bb.5484:                             ;   in Loop: Header=BB6_4475 Depth=2
	v_cmp_ne_u16_sdwa s[78:79], v35, s52 src0_sel:BYTE_0 src1_sel:DWORD
	v_bfrev_b32_e32 v6, 1
	s_and_saveexec_b64 s[76:77], s[78:79]
	s_cbranch_execz .LBB6_5490
; %bb.5485:                             ;   in Loop: Header=BB6_4475 Depth=2
	v_and_b32_e32 v6, 0x7c, v35
	v_and_b32_e32 v22, 3, v35
	v_cmp_ne_u32_e32 vcc, s50, v6
                                        ; implicit-def: $vgpr6
	s_and_saveexec_b64 s[78:79], vcc
	s_xor_b64 s[78:79], exec, s[78:79]
	s_cbranch_execz .LBB6_5487
; %bb.5486:                             ;   in Loop: Header=BB6_4475 Depth=2
	v_ffbh_u32_e32 v23, v22
	v_min_u32_e32 v23, 32, v23
	v_bfe_u32 v6, v35, 2, 5
	v_subrev_u32_e32 v26, 29, v23
	v_lshlrev_b64 v[29:30], v26, v[27:28]
	v_sub_u32_e32 v23, 30, v23
	v_cmp_eq_u32_e32 vcc, 0, v6
	v_cndmask_b32_e32 v6, v6, v23, vcc
	v_lshlrev_b32_e32 v23, 24, v35
	v_and_b32_e32 v26, 3, v29
	v_and_b32_e32 v23, 0x80000000, v23
	v_cndmask_b32_e32 v22, v22, v26, vcc
	v_lshl_add_u32 v6, v6, 23, v23
	v_lshl_or_b32 v6, v22, 21, v6
	v_add_u32_e32 v6, 0x38000000, v6
                                        ; implicit-def: $vgpr22
.LBB6_5487:                             ;   in Loop: Header=BB6_4475 Depth=2
	s_andn2_saveexec_b64 s[78:79], s[78:79]
; %bb.5488:                             ;   in Loop: Header=BB6_4475 Depth=2
	v_mov_b32_e32 v6, -1
	v_cmp_gt_i16_sdwa vcc, sext(v35), v6 src0_sel:BYTE_0 src1_sel:DWORD
	v_mov_b32_e32 v6, 0xff800000
	v_mov_b32_e32 v23, 0x7f800000
	v_cndmask_b32_e32 v6, v6, v23, vcc
	v_cmp_eq_u32_e32 vcc, 0, v22
	v_mov_b32_e32 v22, 0x7f800001
	v_cndmask_b32_e32 v6, v22, v6, vcc
; %bb.5489:                             ;   in Loop: Header=BB6_4475 Depth=2
	s_or_b64 exec, exec, s[78:79]
.LBB6_5490:                             ;   in Loop: Header=BB6_4475 Depth=2
	s_or_b64 exec, exec, s[76:77]
.LBB6_5491:                             ;   in Loop: Header=BB6_4475 Depth=2
	s_or_b64 exec, exec, s[18:19]
	v_cmp_ne_u16_sdwa s[76:77], v9, v28 src0_sel:BYTE_0 src1_sel:DWORD
	s_and_saveexec_b64 s[18:19], s[76:77]
	s_cbranch_execz .LBB6_5499
; %bb.5492:                             ;   in Loop: Header=BB6_4475 Depth=2
	v_cmp_ne_u16_sdwa s[78:79], v9, s52 src0_sel:BYTE_0 src1_sel:DWORD
	v_bfrev_b32_e32 v7, 1
	s_and_saveexec_b64 s[76:77], s[78:79]
	s_cbranch_execz .LBB6_5498
; %bb.5493:                             ;   in Loop: Header=BB6_4475 Depth=2
	v_and_b32_e32 v7, 0x7c, v9
	v_and_b32_e32 v22, 3, v9
	v_cmp_ne_u32_e32 vcc, s50, v7
                                        ; implicit-def: $vgpr7
	s_and_saveexec_b64 s[78:79], vcc
	s_xor_b64 s[78:79], exec, s[78:79]
	s_cbranch_execz .LBB6_5495
; %bb.5494:                             ;   in Loop: Header=BB6_4475 Depth=2
	v_ffbh_u32_e32 v23, v22
	v_min_u32_e32 v23, 32, v23
	v_mov_b32_e32 v29, v9
	v_mov_b32_e32 v30, v28
	v_bfe_u32 v7, v9, 2, 5
	v_subrev_u32_e32 v26, 29, v23
	v_lshlrev_b64 v[29:30], v26, v[29:30]
	v_sub_u32_e32 v23, 30, v23
	v_cmp_eq_u32_e32 vcc, 0, v7
	v_cndmask_b32_e32 v7, v7, v23, vcc
	v_lshlrev_b32_e32 v23, 24, v9
	v_and_b32_e32 v26, 3, v29
	v_and_b32_e32 v23, 0x80000000, v23
	v_cndmask_b32_e32 v22, v22, v26, vcc
	v_lshl_add_u32 v7, v7, 23, v23
	v_lshl_or_b32 v7, v22, 21, v7
	v_add_u32_e32 v7, 0x38000000, v7
                                        ; implicit-def: $vgpr22
.LBB6_5495:                             ;   in Loop: Header=BB6_4475 Depth=2
	s_andn2_saveexec_b64 s[78:79], s[78:79]
; %bb.5496:                             ;   in Loop: Header=BB6_4475 Depth=2
	v_mov_b32_e32 v7, -1
	v_cmp_gt_i16_sdwa vcc, sext(v9), v7 src0_sel:BYTE_0 src1_sel:DWORD
	v_mov_b32_e32 v7, 0xff800000
	v_mov_b32_e32 v23, 0x7f800000
	v_cndmask_b32_e32 v7, v7, v23, vcc
	v_cmp_eq_u32_e32 vcc, 0, v22
	v_mov_b32_e32 v22, 0x7f800001
	v_cndmask_b32_e32 v7, v22, v7, vcc
; %bb.5497:                             ;   in Loop: Header=BB6_4475 Depth=2
	s_or_b64 exec, exec, s[78:79]
.LBB6_5498:                             ;   in Loop: Header=BB6_4475 Depth=2
	s_or_b64 exec, exec, s[76:77]
.LBB6_5499:                             ;   in Loop: Header=BB6_4475 Depth=2
	s_or_b64 exec, exec, s[18:19]
	v_mul_f32_e32 v22, v6, v7
	v_and_b32_e32 v29, 0x7f800000, v22
	v_mov_b32_e32 v30, v28
	v_cmp_ne_u64_e32 vcc, s[58:59], v[29:30]
	v_and_b32_e32 v6, 0x7fffff, v22
	v_mov_b32_e32 v7, v28
                                        ; implicit-def: $vgpr30
	s_and_saveexec_b64 s[18:19], vcc
	s_xor_b64 s[76:77], exec, s[18:19]
	s_cbranch_execz .LBB6_5513
; %bb.5500:                             ;   in Loop: Header=BB6_4475 Depth=2
	v_and_b32_e32 v29, 0x7fffffff, v22
	v_mov_b32_e32 v30, v28
	v_cmp_gt_u64_e32 vcc, s[60:61], v[29:30]
	v_and_b32_sdwa v26, v22, s52 dst_sel:DWORD dst_unused:UNUSED_PAD src0_sel:BYTE_3 src1_sel:DWORD
                                        ; implicit-def: $vgpr30
	s_and_saveexec_b64 s[18:19], vcc
	s_xor_b64 s[78:79], exec, s[18:19]
	s_cbranch_execz .LBB6_5510
; %bb.5501:                             ;   in Loop: Header=BB6_4475 Depth=2
	v_mov_b32_e32 v30, 0
	v_cmp_ne_u32_e32 vcc, 0, v22
	s_and_saveexec_b64 s[88:89], vcc
	s_cbranch_execz .LBB6_5509
; %bb.5502:                             ;   in Loop: Header=BB6_4475 Depth=2
	v_bfe_u32 v29, v22, 23, 8
	v_cmp_gt_u32_e64 s[18:19], s53, v29
	v_sub_u32_e32 v22, 0x71, v29
	v_cmp_eq_u32_e32 vcc, 0, v29
	v_cndmask_b32_e64 v22, 0, v22, s[18:19]
	v_mov_b32_e32 v30, 0x70
	v_cndmask_b32_e32 v30, v22, v30, vcc
	v_or_b32_e32 v23, 0x800000, v6
	v_add_u32_e32 v22, 21, v30
	v_cndmask_b32_e32 v6, v23, v6, vcc
	v_lshlrev_b64 v[22:23], v22, -1
	v_add_u32_e32 v31, 20, v30
	v_bfi_b32 v22, v22, 0, v6
	v_lshlrev_b64 v[36:37], v31, 1
	v_lshrrev_b64 v[6:7], v30, v[6:7]
	v_bfi_b32 v23, v23, 0, 0
	v_cmp_eq_u64_e64 s[18:19], v[22:23], v[36:37]
	v_mov_b32_e32 v23, v7
	v_mov_b32_e32 v22, v6
	s_and_saveexec_b64 s[90:91], s[18:19]
; %bb.5503:                             ;   in Loop: Header=BB6_4475 Depth=2
	v_bfe_u32 v7, v6, 21, 1
	v_add_co_u32_e64 v7, s[18:19], v6, v7
	v_add_co_u32_e64 v22, s[18:19], -1, v7
; %bb.5504:                             ;   in Loop: Header=BB6_4475 Depth=2
	s_or_b64 exec, exec, s[90:91]
	v_add_u32_e32 v7, 0xffffff81, v29
	v_mov_b32_e32 v23, 0xffffff82
	v_cndmask_b32_e32 v7, v7, v23, vcc
	v_lshrrev_b32_e32 v23, 23, v6
	v_add3_u32 v29, v30, v7, v23
	v_add_u32_e32 v23, 14, v29
	v_and_b32_e32 v7, 0x1fffff, v22
	v_add_u32_e32 v6, v7, v6
	v_mov_b32_e32 v7, v28
	v_cmp_ne_u32_e32 vcc, 0, v23
                                        ; implicit-def: $vgpr22
	s_and_saveexec_b64 s[18:19], vcc
	s_xor_b64 s[18:19], exec, s[18:19]
; %bb.5505:                             ;   in Loop: Header=BB6_4475 Depth=2
	v_cmp_lt_u64_e32 vcc, s[62:63], v[6:7]
	v_add_u32_e32 v22, 15, v29
	v_cndmask_b32_e32 v22, v23, v22, vcc
	v_cndmask_b32_e64 v23, 0, 1, vcc
	v_lshrrev_b64 v[6:7], v23, v[6:7]
; %bb.5506:                             ;   in Loop: Header=BB6_4475 Depth=2
	s_andn2_saveexec_b64 s[18:19], s[18:19]
; %bb.5507:                             ;   in Loop: Header=BB6_4475 Depth=2
	v_bfe_u32 v22, v6, 23, 1
; %bb.5508:                             ;   in Loop: Header=BB6_4475 Depth=2
	s_or_b64 exec, exec, s[18:19]
	v_lshrrev_b64 v[6:7], 21, v[6:7]
	v_cmp_gt_i32_e32 vcc, 32, v22
	v_cndmask_b32_e32 v7, 0, v7, vcc
	v_cndmask_b32_e32 v6, 3, v6, vcc
	v_cmp_eq_u64_e64 s[18:19], 0, v[6:7]
	v_min_i32_e32 v7, 31, v22
	v_lshlrev_b32_e32 v7, 2, v7
	v_cmp_eq_u32_e32 vcc, 0, v22
	v_and_b32_e32 v7, 0xfc, v7
	v_and_or_b32 v6, v6, 3, v7
	s_and_b64 s[18:19], vcc, s[18:19]
	v_cndmask_b32_e64 v6, v6, 0, s[18:19]
	v_or_b32_e32 v30, v6, v26
.LBB6_5509:                             ;   in Loop: Header=BB6_4475 Depth=2
	s_or_b64 exec, exec, s[88:89]
                                        ; implicit-def: $vgpr26
.LBB6_5510:                             ;   in Loop: Header=BB6_4475 Depth=2
	s_andn2_saveexec_b64 s[18:19], s[78:79]
; %bb.5511:                             ;   in Loop: Header=BB6_4475 Depth=2
	v_or_b32_e32 v30, 0x7b, v26
; %bb.5512:                             ;   in Loop: Header=BB6_4475 Depth=2
	s_or_b64 exec, exec, s[18:19]
                                        ; implicit-def: $vgpr22
                                        ; implicit-def: $vgpr6_vgpr7
.LBB6_5513:                             ;   in Loop: Header=BB6_4475 Depth=2
	s_andn2_saveexec_b64 s[18:19], s[76:77]
	s_cbranch_execz .LBB6_5519
; %bb.5514:                             ;   in Loop: Header=BB6_4475 Depth=2
	v_cmp_ne_u64_e32 vcc, 0, v[6:7]
                                        ; implicit-def: $vgpr30
	s_and_saveexec_b64 s[76:77], vcc
	s_xor_b64 s[76:77], exec, s[76:77]
; %bb.5515:                             ;   in Loop: Header=BB6_4475 Depth=2
	v_or_b32_sdwa v30, v22, s54 dst_sel:DWORD dst_unused:UNUSED_PAD src0_sel:BYTE_3 src1_sel:DWORD
                                        ; implicit-def: $vgpr22
; %bb.5516:                             ;   in Loop: Header=BB6_4475 Depth=2
	s_andn2_saveexec_b64 s[76:77], s[76:77]
; %bb.5517:                             ;   in Loop: Header=BB6_4475 Depth=2
	v_cmp_lt_i32_e32 vcc, -1, v22
	v_bfrev_b32_e32 v6, 0.5
	v_mov_b32_e32 v7, 0x7c
	v_cndmask_b32_e32 v30, v6, v7, vcc
; %bb.5518:                             ;   in Loop: Header=BB6_4475 Depth=2
	s_or_b64 exec, exec, s[76:77]
.LBB6_5519:                             ;   in Loop: Header=BB6_4475 Depth=2
	s_or_b64 exec, exec, s[18:19]
	v_lshrrev_b16_e32 v6, 8, v27
	v_cmp_ne_u16_e32 vcc, 0, v6
	v_mov_b32_e32 v22, 0
	v_mov_b32_e32 v23, 0
	s_and_saveexec_b64 s[18:19], vcc
	s_cbranch_execz .LBB6_5527
; %bb.5520:                             ;   in Loop: Header=BB6_4475 Depth=2
	v_cmp_ne_u16_e32 vcc, s52, v6
	v_bfrev_b32_e32 v23, 1
	s_and_saveexec_b64 s[76:77], vcc
	s_cbranch_execz .LBB6_5526
; %bb.5521:                             ;   in Loop: Header=BB6_4475 Depth=2
	v_and_b32_e32 v7, 0x7c, v6
	v_and_b32_e32 v26, 3, v6
	v_cmp_ne_u32_e32 vcc, s50, v7
                                        ; implicit-def: $vgpr23
	s_and_saveexec_b64 s[78:79], vcc
	s_xor_b64 s[78:79], exec, s[78:79]
	s_cbranch_execz .LBB6_5523
; %bb.5522:                             ;   in Loop: Header=BB6_4475 Depth=2
	v_ffbh_u32_e32 v29, v26
	v_min_u32_e32 v29, 32, v29
	v_mov_b32_e32 v7, v28
	v_subrev_u32_e32 v31, 29, v29
	v_bfe_u32 v23, v6, 2, 5
	v_lshlrev_b64 v[6:7], v31, v[6:7]
	v_sub_u32_e32 v7, 30, v29
	v_cmp_eq_u32_e32 vcc, 0, v23
	v_cndmask_b32_e32 v7, v23, v7, vcc
	v_lshlrev_b32_e32 v23, 16, v27
	v_and_b32_e32 v6, 3, v6
	v_and_b32_e32 v23, 0x80000000, v23
	v_cndmask_b32_e32 v6, v26, v6, vcc
	v_lshl_add_u32 v7, v7, 23, v23
	v_lshl_or_b32 v6, v6, 21, v7
	v_add_u32_e32 v23, 0x38000000, v6
                                        ; implicit-def: $vgpr26
.LBB6_5523:                             ;   in Loop: Header=BB6_4475 Depth=2
	s_andn2_saveexec_b64 s[78:79], s[78:79]
; %bb.5524:                             ;   in Loop: Header=BB6_4475 Depth=2
	v_cmp_lt_i16_e32 vcc, -1, v27
	v_mov_b32_e32 v6, 0xff800000
	v_mov_b32_e32 v7, 0x7f800000
	v_cndmask_b32_e32 v6, v6, v7, vcc
	v_cmp_eq_u32_e32 vcc, 0, v26
	v_mov_b32_e32 v7, 0x7f800001
	v_cndmask_b32_e32 v23, v7, v6, vcc
; %bb.5525:                             ;   in Loop: Header=BB6_4475 Depth=2
	s_or_b64 exec, exec, s[78:79]
.LBB6_5526:                             ;   in Loop: Header=BB6_4475 Depth=2
	s_or_b64 exec, exec, s[76:77]
.LBB6_5527:                             ;   in Loop: Header=BB6_4475 Depth=2
	s_or_b64 exec, exec, s[18:19]
	v_lshrrev_b16_e32 v6, 8, v9
	v_cmp_ne_u16_e32 vcc, 0, v6
	s_and_saveexec_b64 s[18:19], vcc
	s_cbranch_execz .LBB6_5535
; %bb.5528:                             ;   in Loop: Header=BB6_4475 Depth=2
	v_cmp_ne_u16_e32 vcc, s52, v6
	v_bfrev_b32_e32 v22, 1
	s_and_saveexec_b64 s[76:77], vcc
	s_cbranch_execz .LBB6_5534
; %bb.5529:                             ;   in Loop: Header=BB6_4475 Depth=2
	v_and_b32_e32 v7, 0x7c, v6
	v_and_b32_e32 v26, 3, v6
	v_cmp_ne_u32_e32 vcc, s50, v7
                                        ; implicit-def: $vgpr22
	s_and_saveexec_b64 s[78:79], vcc
	s_xor_b64 s[78:79], exec, s[78:79]
	s_cbranch_execz .LBB6_5531
; %bb.5530:                             ;   in Loop: Header=BB6_4475 Depth=2
	v_ffbh_u32_e32 v27, v26
	v_min_u32_e32 v27, 32, v27
	v_mov_b32_e32 v7, v28
	v_subrev_u32_e32 v29, 29, v27
	v_bfe_u32 v22, v6, 2, 5
	v_lshlrev_b64 v[6:7], v29, v[6:7]
	v_sub_u32_e32 v7, 30, v27
	v_cmp_eq_u32_e32 vcc, 0, v22
	v_cndmask_b32_e32 v7, v22, v7, vcc
	v_lshlrev_b32_e32 v22, 16, v9
	v_and_b32_e32 v6, 3, v6
	v_and_b32_e32 v22, 0x80000000, v22
	v_cndmask_b32_e32 v6, v26, v6, vcc
	v_lshl_add_u32 v7, v7, 23, v22
	v_lshl_or_b32 v6, v6, 21, v7
	v_add_u32_e32 v22, 0x38000000, v6
                                        ; implicit-def: $vgpr26
.LBB6_5531:                             ;   in Loop: Header=BB6_4475 Depth=2
	s_andn2_saveexec_b64 s[78:79], s[78:79]
; %bb.5532:                             ;   in Loop: Header=BB6_4475 Depth=2
	v_cmp_lt_i16_e32 vcc, -1, v9
	v_mov_b32_e32 v6, 0xff800000
	v_mov_b32_e32 v7, 0x7f800000
	v_cndmask_b32_e32 v6, v6, v7, vcc
	v_cmp_eq_u32_e32 vcc, 0, v26
	v_mov_b32_e32 v7, 0x7f800001
	v_cndmask_b32_e32 v22, v7, v6, vcc
; %bb.5533:                             ;   in Loop: Header=BB6_4475 Depth=2
	s_or_b64 exec, exec, s[78:79]
.LBB6_5534:                             ;   in Loop: Header=BB6_4475 Depth=2
	s_or_b64 exec, exec, s[76:77]
.LBB6_5535:                             ;   in Loop: Header=BB6_4475 Depth=2
	s_or_b64 exec, exec, s[18:19]
	v_mul_f32_e32 v6, v23, v22
	v_and_b32_e32 v22, 0x7f800000, v6
	v_mov_b32_e32 v23, v28
	v_cmp_ne_u64_e32 vcc, s[58:59], v[22:23]
	v_and_b32_e32 v27, 0x7fffff, v6
                                        ; implicit-def: $vgpr31
	s_and_saveexec_b64 s[18:19], vcc
	s_xor_b64 s[76:77], exec, s[18:19]
	s_cbranch_execz .LBB6_5549
; %bb.5536:                             ;   in Loop: Header=BB6_4475 Depth=2
	v_and_b32_e32 v22, 0x7fffffff, v6
	v_mov_b32_e32 v23, v28
	v_cmp_gt_u64_e32 vcc, s[60:61], v[22:23]
	v_and_b32_sdwa v26, v6, s52 dst_sel:DWORD dst_unused:UNUSED_PAD src0_sel:BYTE_3 src1_sel:DWORD
                                        ; implicit-def: $vgpr31
	s_and_saveexec_b64 s[18:19], vcc
	s_xor_b64 s[78:79], exec, s[18:19]
	s_cbranch_execz .LBB6_5546
; %bb.5537:                             ;   in Loop: Header=BB6_4475 Depth=2
	v_mov_b32_e32 v31, 0
	v_cmp_ne_u32_e32 vcc, 0, v6
	s_and_saveexec_b64 s[88:89], vcc
	s_cbranch_execz .LBB6_5545
; %bb.5538:                             ;   in Loop: Header=BB6_4475 Depth=2
	v_bfe_u32 v29, v6, 23, 8
	v_cmp_gt_u32_e64 s[18:19], s53, v29
	v_sub_u32_e32 v6, 0x71, v29
	v_cmp_eq_u32_e32 vcc, 0, v29
	v_cndmask_b32_e64 v6, 0, v6, s[18:19]
	v_mov_b32_e32 v22, 0x70
	v_cndmask_b32_e32 v31, v6, v22, vcc
	v_add_u32_e32 v22, 21, v31
	v_or_b32_e32 v7, 0x800000, v27
	v_lshlrev_b64 v[22:23], v22, -1
	v_cndmask_b32_e32 v6, v7, v27, vcc
	v_mov_b32_e32 v7, v28
	v_add_u32_e32 v27, 20, v31
	v_bfi_b32 v22, v22, 0, v6
	v_lshlrev_b64 v[36:37], v27, 1
	v_lshrrev_b64 v[6:7], v31, v[6:7]
	v_bfi_b32 v23, v23, 0, 0
	v_cmp_eq_u64_e64 s[18:19], v[22:23], v[36:37]
	v_mov_b32_e32 v23, v7
	v_mov_b32_e32 v22, v6
	s_and_saveexec_b64 s[90:91], s[18:19]
; %bb.5539:                             ;   in Loop: Header=BB6_4475 Depth=2
	v_bfe_u32 v7, v6, 21, 1
	v_add_co_u32_e64 v7, s[18:19], v6, v7
	v_add_co_u32_e64 v22, s[18:19], -1, v7
; %bb.5540:                             ;   in Loop: Header=BB6_4475 Depth=2
	s_or_b64 exec, exec, s[90:91]
	v_add_u32_e32 v7, 0xffffff81, v29
	v_mov_b32_e32 v23, 0xffffff82
	v_cndmask_b32_e32 v7, v7, v23, vcc
	v_lshrrev_b32_e32 v23, 23, v6
	v_add3_u32 v29, v31, v7, v23
	v_add_u32_e32 v23, 14, v29
	v_and_b32_e32 v7, 0x1fffff, v22
	v_add_u32_e32 v27, v7, v6
	v_cmp_ne_u32_e32 vcc, 0, v23
                                        ; implicit-def: $vgpr6_vgpr7
                                        ; implicit-def: $vgpr22
	s_and_saveexec_b64 s[18:19], vcc
	s_xor_b64 s[18:19], exec, s[18:19]
; %bb.5541:                             ;   in Loop: Header=BB6_4475 Depth=2
	v_cmp_lt_u64_e32 vcc, s[62:63], v[27:28]
	v_add_u32_e32 v6, 15, v29
	v_cndmask_b32_e32 v22, v23, v6, vcc
	v_cndmask_b32_e64 v6, 0, 1, vcc
	v_lshrrev_b64 v[6:7], v6, v[27:28]
; %bb.5542:                             ;   in Loop: Header=BB6_4475 Depth=2
	s_andn2_saveexec_b64 s[18:19], s[18:19]
; %bb.5543:                             ;   in Loop: Header=BB6_4475 Depth=2
	v_mov_b32_e32 v6, v27
	v_mov_b32_e32 v7, v28
	v_bfe_u32 v22, v27, 23, 1
; %bb.5544:                             ;   in Loop: Header=BB6_4475 Depth=2
	s_or_b64 exec, exec, s[18:19]
	v_lshrrev_b64 v[6:7], 21, v[6:7]
	v_cmp_gt_i32_e32 vcc, 32, v22
	v_cndmask_b32_e32 v7, 0, v7, vcc
	v_cndmask_b32_e32 v6, 3, v6, vcc
	v_cmp_eq_u64_e64 s[18:19], 0, v[6:7]
	v_min_i32_e32 v7, 31, v22
	v_lshlrev_b32_e32 v7, 2, v7
	v_cmp_eq_u32_e32 vcc, 0, v22
	v_and_b32_e32 v7, 0xfc, v7
	v_and_or_b32 v6, v6, 3, v7
	s_and_b64 s[18:19], vcc, s[18:19]
	v_cndmask_b32_e64 v6, v6, 0, s[18:19]
	v_or_b32_e32 v31, v6, v26
.LBB6_5545:                             ;   in Loop: Header=BB6_4475 Depth=2
	s_or_b64 exec, exec, s[88:89]
                                        ; implicit-def: $vgpr26
.LBB6_5546:                             ;   in Loop: Header=BB6_4475 Depth=2
	s_andn2_saveexec_b64 s[18:19], s[78:79]
; %bb.5547:                             ;   in Loop: Header=BB6_4475 Depth=2
	v_or_b32_e32 v31, 0x7b, v26
; %bb.5548:                             ;   in Loop: Header=BB6_4475 Depth=2
	s_or_b64 exec, exec, s[18:19]
                                        ; implicit-def: $vgpr6
.LBB6_5549:                             ;   in Loop: Header=BB6_4475 Depth=2
	s_andn2_saveexec_b64 s[18:19], s[76:77]
	s_cbranch_execz .LBB6_5555
; %bb.5550:                             ;   in Loop: Header=BB6_4475 Depth=2
	v_cmp_ne_u64_e32 vcc, 0, v[27:28]
                                        ; implicit-def: $vgpr31
	s_and_saveexec_b64 s[76:77], vcc
	s_xor_b64 s[76:77], exec, s[76:77]
; %bb.5551:                             ;   in Loop: Header=BB6_4475 Depth=2
	v_or_b32_sdwa v31, v6, s54 dst_sel:DWORD dst_unused:UNUSED_PAD src0_sel:BYTE_3 src1_sel:DWORD
                                        ; implicit-def: $vgpr6
; %bb.5552:                             ;   in Loop: Header=BB6_4475 Depth=2
	s_andn2_saveexec_b64 s[76:77], s[76:77]
; %bb.5553:                             ;   in Loop: Header=BB6_4475 Depth=2
	v_cmp_lt_i32_e32 vcc, -1, v6
	v_bfrev_b32_e32 v6, 0.5
	v_mov_b32_e32 v7, 0x7c
	v_cndmask_b32_e32 v31, v6, v7, vcc
; %bb.5554:                             ;   in Loop: Header=BB6_4475 Depth=2
	s_or_b64 exec, exec, s[76:77]
.LBB6_5555:                             ;   in Loop: Header=BB6_4475 Depth=2
	s_or_b64 exec, exec, s[18:19]
	v_lshrrev_b32_e32 v6, 16, v35
	v_cmp_ne_u16_sdwa s[76:77], v6, v28 src0_sel:BYTE_0 src1_sel:DWORD
	v_mov_b32_e32 v7, 0
	v_mov_b32_e32 v22, 0
	s_and_saveexec_b64 s[18:19], s[76:77]
	s_cbranch_execz .LBB6_5563
; %bb.5556:                             ;   in Loop: Header=BB6_4475 Depth=2
	v_cmp_ne_u16_sdwa s[78:79], v6, s52 src0_sel:BYTE_0 src1_sel:DWORD
	v_bfrev_b32_e32 v22, 1
	s_and_saveexec_b64 s[76:77], s[78:79]
	s_cbranch_execz .LBB6_5562
; %bb.5557:                             ;   in Loop: Header=BB6_4475 Depth=2
	v_and_b32_e32 v22, 0x7c0000, v35
	v_bfe_u32 v23, v35, 16, 2
	v_cmp_ne_u32_e32 vcc, s55, v22
                                        ; implicit-def: $vgpr22
	s_and_saveexec_b64 s[78:79], vcc
	s_xor_b64 s[78:79], exec, s[78:79]
	s_cbranch_execz .LBB6_5559
; %bb.5558:                             ;   in Loop: Header=BB6_4475 Depth=2
	v_ffbh_u32_e32 v26, v23
	v_min_u32_e32 v29, 32, v26
	v_subrev_u32_e32 v26, 29, v29
	v_lshlrev_b64 v[26:27], v26, v[6:7]
	v_bfe_u32 v22, v35, 18, 5
	v_sub_u32_e32 v6, 30, v29
	v_and_b32_e32 v26, 3, v26
	v_cmp_eq_u32_e32 vcc, 0, v22
	v_cndmask_b32_e32 v6, v22, v6, vcc
	v_cndmask_b32_e32 v22, v23, v26, vcc
	v_lshlrev_b32_e32 v23, 8, v35
	v_and_b32_e32 v23, 0x80000000, v23
	v_lshl_add_u32 v6, v6, 23, v23
	v_lshl_or_b32 v6, v22, 21, v6
	v_add_u32_e32 v22, 0x38000000, v6
                                        ; implicit-def: $vgpr23
                                        ; implicit-def: $vgpr6
.LBB6_5559:                             ;   in Loop: Header=BB6_4475 Depth=2
	s_andn2_saveexec_b64 s[78:79], s[78:79]
; %bb.5560:                             ;   in Loop: Header=BB6_4475 Depth=2
	v_mov_b32_e32 v22, -1
	v_cmp_gt_i16_sdwa vcc, sext(v6), v22 src0_sel:BYTE_0 src1_sel:DWORD
	v_mov_b32_e32 v6, 0xff800000
	v_mov_b32_e32 v22, 0x7f800000
	v_cndmask_b32_e32 v6, v6, v22, vcc
	v_cmp_eq_u32_e32 vcc, 0, v23
	v_mov_b32_e32 v22, 0x7f800001
	v_cndmask_b32_e32 v22, v22, v6, vcc
; %bb.5561:                             ;   in Loop: Header=BB6_4475 Depth=2
	s_or_b64 exec, exec, s[78:79]
.LBB6_5562:                             ;   in Loop: Header=BB6_4475 Depth=2
	s_or_b64 exec, exec, s[76:77]
.LBB6_5563:                             ;   in Loop: Header=BB6_4475 Depth=2
	s_or_b64 exec, exec, s[18:19]
	v_lshrrev_b32_e32 v6, 16, v9
	v_cmp_ne_u16_sdwa s[76:77], v6, v28 src0_sel:BYTE_0 src1_sel:DWORD
	s_and_saveexec_b64 s[18:19], s[76:77]
	s_cbranch_execz .LBB6_5571
; %bb.5564:                             ;   in Loop: Header=BB6_4475 Depth=2
	v_cmp_ne_u16_sdwa s[78:79], v6, s52 src0_sel:BYTE_0 src1_sel:DWORD
	v_bfrev_b32_e32 v7, 1
	s_and_saveexec_b64 s[76:77], s[78:79]
	s_cbranch_execz .LBB6_5570
; %bb.5565:                             ;   in Loop: Header=BB6_4475 Depth=2
	v_and_b32_e32 v7, 0x7c0000, v9
	v_bfe_u32 v23, v9, 16, 2
	v_cmp_ne_u32_e32 vcc, s55, v7
                                        ; implicit-def: $vgpr7
	s_and_saveexec_b64 s[78:79], vcc
	s_xor_b64 s[78:79], exec, s[78:79]
	s_cbranch_execz .LBB6_5567
; %bb.5566:                             ;   in Loop: Header=BB6_4475 Depth=2
	v_ffbh_u32_e32 v7, v23
	v_min_u32_e32 v27, 32, v7
	v_subrev_u32_e32 v7, 29, v27
	v_lshlrev_b64 v[6:7], v7, v[6:7]
	v_bfe_u32 v26, v9, 18, 5
	v_and_b32_e32 v6, 3, v6
	v_cmp_eq_u32_e32 vcc, 0, v26
	v_sub_u32_e32 v7, 30, v27
	v_cndmask_b32_e32 v6, v23, v6, vcc
	v_lshlrev_b32_e32 v23, 8, v9
	v_cndmask_b32_e32 v7, v26, v7, vcc
	v_and_b32_e32 v23, 0x80000000, v23
	v_lshl_add_u32 v7, v7, 23, v23
	v_lshl_or_b32 v6, v6, 21, v7
	v_add_u32_e32 v7, 0x38000000, v6
                                        ; implicit-def: $vgpr23
                                        ; implicit-def: $vgpr6
.LBB6_5567:                             ;   in Loop: Header=BB6_4475 Depth=2
	s_andn2_saveexec_b64 s[78:79], s[78:79]
; %bb.5568:                             ;   in Loop: Header=BB6_4475 Depth=2
	v_mov_b32_e32 v7, -1
	v_cmp_gt_i16_sdwa vcc, sext(v6), v7 src0_sel:BYTE_0 src1_sel:DWORD
	v_mov_b32_e32 v6, 0xff800000
	v_mov_b32_e32 v7, 0x7f800000
	v_cndmask_b32_e32 v6, v6, v7, vcc
	v_cmp_eq_u32_e32 vcc, 0, v23
	v_mov_b32_e32 v7, 0x7f800001
	v_cndmask_b32_e32 v7, v7, v6, vcc
; %bb.5569:                             ;   in Loop: Header=BB6_4475 Depth=2
	s_or_b64 exec, exec, s[78:79]
.LBB6_5570:                             ;   in Loop: Header=BB6_4475 Depth=2
	s_or_b64 exec, exec, s[76:77]
.LBB6_5571:                             ;   in Loop: Header=BB6_4475 Depth=2
	s_or_b64 exec, exec, s[18:19]
	v_mul_f32_e32 v6, v22, v7
	v_and_b32_e32 v22, 0x7f800000, v6
	v_mov_b32_e32 v23, v28
	v_cmp_ne_u64_e32 vcc, s[58:59], v[22:23]
	v_and_b32_e32 v27, 0x7fffff, v6
                                        ; implicit-def: $vgpr22
	s_and_saveexec_b64 s[18:19], vcc
	s_xor_b64 s[76:77], exec, s[18:19]
	s_cbranch_execz .LBB6_5585
; %bb.5572:                             ;   in Loop: Header=BB6_4475 Depth=2
	v_and_b32_e32 v22, 0x7fffffff, v6
	v_mov_b32_e32 v23, v28
	v_cmp_gt_u64_e32 vcc, s[60:61], v[22:23]
	v_and_b32_sdwa v26, v6, s52 dst_sel:DWORD dst_unused:UNUSED_PAD src0_sel:BYTE_3 src1_sel:DWORD
                                        ; implicit-def: $vgpr22
	s_and_saveexec_b64 s[18:19], vcc
	s_xor_b64 s[78:79], exec, s[18:19]
	s_cbranch_execz .LBB6_5582
; %bb.5573:                             ;   in Loop: Header=BB6_4475 Depth=2
	v_mov_b32_e32 v22, 0
	v_cmp_ne_u32_e32 vcc, 0, v6
	s_and_saveexec_b64 s[88:89], vcc
	s_cbranch_execz .LBB6_5581
; %bb.5574:                             ;   in Loop: Header=BB6_4475 Depth=2
	v_bfe_u32 v29, v6, 23, 8
	v_cmp_gt_u32_e64 s[18:19], s53, v29
	v_sub_u32_e32 v6, 0x71, v29
	v_cmp_eq_u32_e32 vcc, 0, v29
	v_cndmask_b32_e64 v6, 0, v6, s[18:19]
	v_mov_b32_e32 v22, 0x70
	v_cndmask_b32_e32 v36, v6, v22, vcc
	v_add_u32_e32 v22, 21, v36
	v_or_b32_e32 v7, 0x800000, v27
	v_lshlrev_b64 v[22:23], v22, -1
	v_cndmask_b32_e32 v6, v7, v27, vcc
	v_mov_b32_e32 v7, v28
	v_add_u32_e32 v27, 20, v36
	v_bfi_b32 v22, v22, 0, v6
	v_lshlrev_b64 v[37:38], v27, 1
	v_lshrrev_b64 v[6:7], v36, v[6:7]
	v_bfi_b32 v23, v23, 0, 0
	v_cmp_eq_u64_e64 s[18:19], v[22:23], v[37:38]
	v_mov_b32_e32 v23, v7
	v_mov_b32_e32 v22, v6
	s_and_saveexec_b64 s[90:91], s[18:19]
; %bb.5575:                             ;   in Loop: Header=BB6_4475 Depth=2
	v_bfe_u32 v7, v6, 21, 1
	v_add_co_u32_e64 v7, s[18:19], v6, v7
	v_add_co_u32_e64 v22, s[18:19], -1, v7
; %bb.5576:                             ;   in Loop: Header=BB6_4475 Depth=2
	s_or_b64 exec, exec, s[90:91]
	v_add_u32_e32 v7, 0xffffff81, v29
	v_mov_b32_e32 v23, 0xffffff82
	v_cndmask_b32_e32 v7, v7, v23, vcc
	v_lshrrev_b32_e32 v23, 23, v6
	v_add3_u32 v29, v36, v7, v23
	v_add_u32_e32 v23, 14, v29
	v_and_b32_e32 v7, 0x1fffff, v22
	v_add_u32_e32 v27, v7, v6
	v_cmp_ne_u32_e32 vcc, 0, v23
                                        ; implicit-def: $vgpr6_vgpr7
                                        ; implicit-def: $vgpr22
	s_and_saveexec_b64 s[18:19], vcc
	s_xor_b64 s[18:19], exec, s[18:19]
; %bb.5577:                             ;   in Loop: Header=BB6_4475 Depth=2
	v_cmp_lt_u64_e32 vcc, s[62:63], v[27:28]
	v_add_u32_e32 v6, 15, v29
	v_cndmask_b32_e32 v22, v23, v6, vcc
	v_cndmask_b32_e64 v6, 0, 1, vcc
	v_lshrrev_b64 v[6:7], v6, v[27:28]
; %bb.5578:                             ;   in Loop: Header=BB6_4475 Depth=2
	s_andn2_saveexec_b64 s[18:19], s[18:19]
; %bb.5579:                             ;   in Loop: Header=BB6_4475 Depth=2
	v_mov_b32_e32 v6, v27
	v_mov_b32_e32 v7, v28
	v_bfe_u32 v22, v27, 23, 1
; %bb.5580:                             ;   in Loop: Header=BB6_4475 Depth=2
	s_or_b64 exec, exec, s[18:19]
	v_lshrrev_b64 v[6:7], 21, v[6:7]
	v_cmp_gt_i32_e32 vcc, 32, v22
	v_cndmask_b32_e32 v7, 0, v7, vcc
	v_cndmask_b32_e32 v6, 3, v6, vcc
	v_cmp_eq_u64_e64 s[18:19], 0, v[6:7]
	v_min_i32_e32 v7, 31, v22
	v_lshlrev_b32_e32 v7, 2, v7
	v_cmp_eq_u32_e32 vcc, 0, v22
	v_and_b32_e32 v7, 0xfc, v7
	v_and_or_b32 v6, v6, 3, v7
	s_and_b64 s[18:19], vcc, s[18:19]
	v_cndmask_b32_e64 v6, v6, 0, s[18:19]
	v_or_b32_e32 v22, v6, v26
.LBB6_5581:                             ;   in Loop: Header=BB6_4475 Depth=2
	s_or_b64 exec, exec, s[88:89]
                                        ; implicit-def: $vgpr26
.LBB6_5582:                             ;   in Loop: Header=BB6_4475 Depth=2
	s_andn2_saveexec_b64 s[18:19], s[78:79]
; %bb.5583:                             ;   in Loop: Header=BB6_4475 Depth=2
	v_or_b32_e32 v22, 0x7b, v26
; %bb.5584:                             ;   in Loop: Header=BB6_4475 Depth=2
	s_or_b64 exec, exec, s[18:19]
                                        ; implicit-def: $vgpr6
.LBB6_5585:                             ;   in Loop: Header=BB6_4475 Depth=2
	s_andn2_saveexec_b64 s[18:19], s[76:77]
	s_cbranch_execz .LBB6_5591
; %bb.5586:                             ;   in Loop: Header=BB6_4475 Depth=2
	v_cmp_ne_u64_e32 vcc, 0, v[27:28]
                                        ; implicit-def: $vgpr22
	s_and_saveexec_b64 s[76:77], vcc
	s_xor_b64 s[76:77], exec, s[76:77]
; %bb.5587:                             ;   in Loop: Header=BB6_4475 Depth=2
	v_or_b32_sdwa v22, v6, s54 dst_sel:DWORD dst_unused:UNUSED_PAD src0_sel:BYTE_3 src1_sel:DWORD
                                        ; implicit-def: $vgpr6
; %bb.5588:                             ;   in Loop: Header=BB6_4475 Depth=2
	s_andn2_saveexec_b64 s[76:77], s[76:77]
; %bb.5589:                             ;   in Loop: Header=BB6_4475 Depth=2
	v_cmp_lt_i32_e32 vcc, -1, v6
	v_bfrev_b32_e32 v6, 0.5
	v_mov_b32_e32 v7, 0x7c
	v_cndmask_b32_e32 v22, v6, v7, vcc
; %bb.5590:                             ;   in Loop: Header=BB6_4475 Depth=2
	s_or_b64 exec, exec, s[76:77]
.LBB6_5591:                             ;   in Loop: Header=BB6_4475 Depth=2
	s_or_b64 exec, exec, s[18:19]
	v_cmp_lt_u64_e32 vcc, s[56:57], v[34:35]
	v_mov_b32_e32 v7, 0
	v_mov_b32_e32 v23, 0
	s_and_saveexec_b64 s[18:19], vcc
	s_cbranch_execz .LBB6_5599
; %bb.5592:                             ;   in Loop: Header=BB6_4475 Depth=2
	v_lshrrev_b32_e32 v6, 24, v35
	v_cmp_ne_u32_e32 vcc, s52, v6
	v_bfrev_b32_e32 v23, 1
	s_and_saveexec_b64 s[76:77], vcc
	s_cbranch_execz .LBB6_5598
; %bb.5593:                             ;   in Loop: Header=BB6_4475 Depth=2
	v_and_b32_e32 v23, 0x7c000000, v35
	v_bfe_u32 v26, v35, 24, 2
	v_cmp_ne_u32_e32 vcc, s64, v23
                                        ; implicit-def: $vgpr23
	s_and_saveexec_b64 s[78:79], vcc
	s_xor_b64 s[78:79], exec, s[78:79]
	s_cbranch_execz .LBB6_5595
; %bb.5594:                             ;   in Loop: Header=BB6_4475 Depth=2
	v_ffbh_u32_e32 v27, v26
	v_min_u32_e32 v27, 32, v27
	v_subrev_u32_e32 v29, 29, v27
	v_lshlrev_b64 v[36:37], v29, v[6:7]
	v_bfe_u32 v23, v35, 26, 5
	v_sub_u32_e32 v6, 30, v27
	v_and_b32_e32 v27, 3, v36
	v_cmp_eq_u32_e32 vcc, 0, v23
	v_cndmask_b32_e32 v6, v23, v6, vcc
	v_cndmask_b32_e32 v23, v26, v27, vcc
	v_and_b32_e32 v26, 0x80000000, v35
	v_lshl_add_u32 v6, v6, 23, v26
	v_lshl_or_b32 v6, v23, 21, v6
	v_add_u32_e32 v23, 0x38000000, v6
                                        ; implicit-def: $vgpr26
                                        ; implicit-def: $vgpr34_vgpr35
.LBB6_5595:                             ;   in Loop: Header=BB6_4475 Depth=2
	s_andn2_saveexec_b64 s[78:79], s[78:79]
; %bb.5596:                             ;   in Loop: Header=BB6_4475 Depth=2
	v_cmp_lt_i64_e32 vcc, -1, v[34:35]
	v_mov_b32_e32 v6, 0xff800000
	v_mov_b32_e32 v23, 0x7f800000
	v_cndmask_b32_e32 v6, v6, v23, vcc
	v_cmp_eq_u32_e32 vcc, 0, v26
	v_mov_b32_e32 v23, 0x7f800001
	v_cndmask_b32_e32 v23, v23, v6, vcc
; %bb.5597:                             ;   in Loop: Header=BB6_4475 Depth=2
	s_or_b64 exec, exec, s[78:79]
.LBB6_5598:                             ;   in Loop: Header=BB6_4475 Depth=2
	s_or_b64 exec, exec, s[76:77]
.LBB6_5599:                             ;   in Loop: Header=BB6_4475 Depth=2
	s_or_b64 exec, exec, s[18:19]
	v_cmp_lt_u64_e32 vcc, s[56:57], v[8:9]
	s_and_saveexec_b64 s[18:19], vcc
	s_cbranch_execz .LBB6_5607
; %bb.5600:                             ;   in Loop: Header=BB6_4475 Depth=2
	v_lshrrev_b32_e32 v6, 24, v9
	v_cmp_ne_u32_e32 vcc, s52, v6
	v_bfrev_b32_e32 v7, 1
	s_and_saveexec_b64 s[76:77], vcc
	s_cbranch_execz .LBB6_5606
; %bb.5601:                             ;   in Loop: Header=BB6_4475 Depth=2
	v_and_b32_e32 v7, 0x7c000000, v9
	v_bfe_u32 v26, v9, 24, 2
	v_cmp_ne_u32_e32 vcc, s64, v7
                                        ; implicit-def: $vgpr7
	s_and_saveexec_b64 s[78:79], vcc
	s_xor_b64 s[78:79], exec, s[78:79]
	s_cbranch_execz .LBB6_5603
; %bb.5602:                             ;   in Loop: Header=BB6_4475 Depth=2
	v_ffbh_u32_e32 v7, v26
	v_min_u32_e32 v27, 32, v7
	v_subrev_u32_e32 v7, 29, v27
	v_bfe_u32 v8, v9, 26, 5
	v_lshlrev_b64 v[6:7], v7, v[6:7]
	v_sub_u32_e32 v7, 30, v27
	v_cmp_eq_u32_e32 vcc, 0, v8
	v_and_b32_e32 v6, 3, v6
	v_cndmask_b32_e32 v7, v8, v7, vcc
	v_and_b32_e32 v8, 0x80000000, v9
	v_cndmask_b32_e32 v6, v26, v6, vcc
	v_lshl_add_u32 v7, v7, 23, v8
	v_lshl_or_b32 v6, v6, 21, v7
	v_add_u32_e32 v7, 0x38000000, v6
                                        ; implicit-def: $vgpr26
                                        ; implicit-def: $vgpr8_vgpr9
.LBB6_5603:                             ;   in Loop: Header=BB6_4475 Depth=2
	s_andn2_saveexec_b64 s[78:79], s[78:79]
; %bb.5604:                             ;   in Loop: Header=BB6_4475 Depth=2
	v_cmp_lt_i64_e32 vcc, -1, v[8:9]
	v_mov_b32_e32 v6, 0xff800000
	v_mov_b32_e32 v7, 0x7f800000
	v_cndmask_b32_e32 v6, v6, v7, vcc
	v_cmp_eq_u32_e32 vcc, 0, v26
	v_mov_b32_e32 v7, 0x7f800001
	v_cndmask_b32_e32 v7, v7, v6, vcc
; %bb.5605:                             ;   in Loop: Header=BB6_4475 Depth=2
	s_or_b64 exec, exec, s[78:79]
.LBB6_5606:                             ;   in Loop: Header=BB6_4475 Depth=2
	s_or_b64 exec, exec, s[76:77]
.LBB6_5607:                             ;   in Loop: Header=BB6_4475 Depth=2
	s_or_b64 exec, exec, s[18:19]
	v_mul_f32_e32 v6, v23, v7
	v_and_b32_e32 v7, 0x7f800000, v6
	v_mov_b32_e32 v8, v28
	v_cmp_ne_u64_e32 vcc, s[58:59], v[7:8]
	v_and_b32_e32 v27, 0x7fffff, v6
                                        ; implicit-def: $vgpr9
	s_and_saveexec_b64 s[18:19], vcc
	s_xor_b64 s[76:77], exec, s[18:19]
	s_cbranch_execz .LBB6_5621
; %bb.5608:                             ;   in Loop: Header=BB6_4475 Depth=2
	v_and_b32_e32 v7, 0x7fffffff, v6
	v_mov_b32_e32 v8, v28
	v_cmp_gt_u64_e32 vcc, s[60:61], v[7:8]
	v_and_b32_sdwa v23, v6, s52 dst_sel:DWORD dst_unused:UNUSED_PAD src0_sel:BYTE_3 src1_sel:DWORD
                                        ; implicit-def: $vgpr9
	s_and_saveexec_b64 s[18:19], vcc
	s_xor_b64 s[78:79], exec, s[18:19]
	s_cbranch_execz .LBB6_5618
; %bb.5609:                             ;   in Loop: Header=BB6_4475 Depth=2
	v_mov_b32_e32 v9, 0
	v_cmp_ne_u32_e32 vcc, 0, v6
	s_and_saveexec_b64 s[88:89], vcc
	s_cbranch_execz .LBB6_5617
; %bb.5610:                             ;   in Loop: Header=BB6_4475 Depth=2
	v_bfe_u32 v9, v6, 23, 8
	v_cmp_gt_u32_e64 s[18:19], s53, v9
	v_sub_u32_e32 v6, 0x71, v9
	v_cmp_eq_u32_e32 vcc, 0, v9
	v_cndmask_b32_e64 v6, 0, v6, s[18:19]
	v_mov_b32_e32 v8, 0x70
	v_cndmask_b32_e32 v26, v6, v8, vcc
	v_add_u32_e32 v8, 21, v26
	v_or_b32_e32 v7, 0x800000, v27
	v_lshlrev_b64 v[34:35], v8, -1
	v_cndmask_b32_e32 v6, v7, v27, vcc
	v_mov_b32_e32 v7, v28
	v_add_u32_e32 v8, 20, v26
	v_bfi_b32 v34, v34, 0, v6
	v_lshlrev_b64 v[36:37], v8, 1
	v_lshrrev_b64 v[6:7], v26, v[6:7]
	v_bfi_b32 v35, v35, 0, 0
	v_cmp_eq_u64_e64 s[18:19], v[34:35], v[36:37]
	v_mov_b32_e32 v8, v7
	v_mov_b32_e32 v7, v6
	s_and_saveexec_b64 s[90:91], s[18:19]
; %bb.5611:                             ;   in Loop: Header=BB6_4475 Depth=2
	v_bfe_u32 v7, v6, 21, 1
	v_add_co_u32_e64 v7, s[18:19], v6, v7
	v_add_co_u32_e64 v7, s[18:19], -1, v7
; %bb.5612:                             ;   in Loop: Header=BB6_4475 Depth=2
	s_or_b64 exec, exec, s[90:91]
	v_add_u32_e32 v8, 0xffffff81, v9
	v_mov_b32_e32 v9, 0xffffff82
	v_cndmask_b32_e32 v8, v8, v9, vcc
	v_lshrrev_b32_e32 v9, 23, v6
	v_add3_u32 v26, v26, v8, v9
	v_add_u32_e32 v9, 14, v26
	v_and_b32_e32 v7, 0x1fffff, v7
	v_add_u32_e32 v27, v7, v6
	v_cmp_ne_u32_e32 vcc, 0, v9
                                        ; implicit-def: $vgpr6_vgpr7
                                        ; implicit-def: $vgpr8
	s_and_saveexec_b64 s[18:19], vcc
	s_xor_b64 s[18:19], exec, s[18:19]
; %bb.5613:                             ;   in Loop: Header=BB6_4475 Depth=2
	v_cmp_lt_u64_e32 vcc, s[62:63], v[27:28]
	v_add_u32_e32 v6, 15, v26
	v_cndmask_b32_e32 v8, v9, v6, vcc
	v_cndmask_b32_e64 v6, 0, 1, vcc
	v_lshrrev_b64 v[6:7], v6, v[27:28]
; %bb.5614:                             ;   in Loop: Header=BB6_4475 Depth=2
	s_andn2_saveexec_b64 s[18:19], s[18:19]
; %bb.5615:                             ;   in Loop: Header=BB6_4475 Depth=2
	v_mov_b32_e32 v6, v27
	v_mov_b32_e32 v7, v28
	v_bfe_u32 v8, v27, 23, 1
; %bb.5616:                             ;   in Loop: Header=BB6_4475 Depth=2
	s_or_b64 exec, exec, s[18:19]
	v_lshrrev_b64 v[6:7], 21, v[6:7]
	v_cmp_gt_i32_e32 vcc, 32, v8
	v_cndmask_b32_e32 v7, 0, v7, vcc
	v_cndmask_b32_e32 v6, 3, v6, vcc
	v_cmp_eq_u64_e64 s[18:19], 0, v[6:7]
	v_min_i32_e32 v7, 31, v8
	v_lshlrev_b32_e32 v7, 2, v7
	v_cmp_eq_u32_e32 vcc, 0, v8
	v_and_b32_e32 v7, 0xfc, v7
	v_and_or_b32 v6, v6, 3, v7
	s_and_b64 s[18:19], vcc, s[18:19]
	v_cndmask_b32_e64 v6, v6, 0, s[18:19]
	v_or_b32_e32 v9, v6, v23
.LBB6_5617:                             ;   in Loop: Header=BB6_4475 Depth=2
	s_or_b64 exec, exec, s[88:89]
                                        ; implicit-def: $vgpr23
.LBB6_5618:                             ;   in Loop: Header=BB6_4475 Depth=2
	s_andn2_saveexec_b64 s[18:19], s[78:79]
; %bb.5619:                             ;   in Loop: Header=BB6_4475 Depth=2
	v_or_b32_e32 v9, 0x7b, v23
; %bb.5620:                             ;   in Loop: Header=BB6_4475 Depth=2
	s_or_b64 exec, exec, s[18:19]
                                        ; implicit-def: $vgpr6
.LBB6_5621:                             ;   in Loop: Header=BB6_4475 Depth=2
	s_andn2_saveexec_b64 s[18:19], s[76:77]
	s_cbranch_execz .LBB6_5627
; %bb.5622:                             ;   in Loop: Header=BB6_4475 Depth=2
	v_cmp_ne_u64_e32 vcc, 0, v[27:28]
                                        ; implicit-def: $vgpr9
	s_and_saveexec_b64 s[76:77], vcc
	s_xor_b64 s[76:77], exec, s[76:77]
; %bb.5623:                             ;   in Loop: Header=BB6_4475 Depth=2
	v_or_b32_sdwa v9, v6, s54 dst_sel:DWORD dst_unused:UNUSED_PAD src0_sel:BYTE_3 src1_sel:DWORD
                                        ; implicit-def: $vgpr6
; %bb.5624:                             ;   in Loop: Header=BB6_4475 Depth=2
	s_andn2_saveexec_b64 s[76:77], s[76:77]
; %bb.5625:                             ;   in Loop: Header=BB6_4475 Depth=2
	v_cmp_lt_i32_e32 vcc, -1, v6
	v_bfrev_b32_e32 v6, 0.5
	v_mov_b32_e32 v7, 0x7c
	v_cndmask_b32_e32 v9, v6, v7, vcc
; %bb.5626:                             ;   in Loop: Header=BB6_4475 Depth=2
	s_or_b64 exec, exec, s[76:77]
.LBB6_5627:                             ;   in Loop: Header=BB6_4475 Depth=2
	s_or_b64 exec, exec, s[18:19]
	v_cmp_ne_u16_sdwa s[76:77], v2, v28 src0_sel:BYTE_0 src1_sel:DWORD
	v_mov_b32_e32 v6, 0
	v_mov_b32_e32 v7, 0
	s_and_saveexec_b64 s[18:19], s[76:77]
	s_cbranch_execz .LBB6_5635
; %bb.5628:                             ;   in Loop: Header=BB6_4475 Depth=2
	v_cmp_ne_u16_sdwa s[78:79], sext(v2), s49 src0_sel:BYTE_0 src1_sel:DWORD
	v_bfrev_b32_e32 v7, 1
	s_and_saveexec_b64 s[76:77], s[78:79]
	s_cbranch_execz .LBB6_5634
; %bb.5629:                             ;   in Loop: Header=BB6_4475 Depth=2
	v_and_b32_e32 v7, 0x7c, v2
	v_and_b32_e32 v8, 3, v2
	v_cmp_ne_u32_e32 vcc, s50, v7
                                        ; implicit-def: $vgpr7
	s_and_saveexec_b64 s[78:79], vcc
	s_xor_b64 s[78:79], exec, s[78:79]
	s_cbranch_execz .LBB6_5631
; %bb.5630:                             ;   in Loop: Header=BB6_4475 Depth=2
	v_ffbh_u32_e32 v23, v8
	v_min_u32_e32 v23, 32, v23
	v_bfe_u32 v7, v2, 2, 5
	v_subrev_u32_e32 v26, 29, v23
	v_lshlrev_b64 v[26:27], v26, v[2:3]
	v_sub_u32_e32 v23, 30, v23
	v_cmp_eq_u32_e32 vcc, 0, v7
	v_cndmask_b32_e32 v7, v7, v23, vcc
	v_lshlrev_b32_e32 v23, 24, v2
	v_and_b32_e32 v26, 3, v26
	v_and_b32_e32 v23, 0x80000000, v23
	v_cndmask_b32_e32 v8, v8, v26, vcc
	v_lshl_add_u32 v7, v7, 23, v23
	v_lshl_or_b32 v7, v8, 21, v7
	v_add_u32_e32 v7, 0x38000000, v7
                                        ; implicit-def: $vgpr8
.LBB6_5631:                             ;   in Loop: Header=BB6_4475 Depth=2
	s_andn2_saveexec_b64 s[78:79], s[78:79]
; %bb.5632:                             ;   in Loop: Header=BB6_4475 Depth=2
	v_mov_b32_e32 v7, -1
	v_cmp_gt_i16_sdwa vcc, sext(v2), v7 src0_sel:BYTE_0 src1_sel:DWORD
	v_mov_b32_e32 v7, 0xff800000
	v_mov_b32_e32 v23, 0x7f800000
	v_cndmask_b32_e32 v7, v7, v23, vcc
	v_cmp_eq_u32_e32 vcc, 0, v8
	v_mov_b32_e32 v8, 0x7f800001
	v_cndmask_b32_e32 v7, v8, v7, vcc
; %bb.5633:                             ;   in Loop: Header=BB6_4475 Depth=2
	s_or_b64 exec, exec, s[78:79]
.LBB6_5634:                             ;   in Loop: Header=BB6_4475 Depth=2
	s_or_b64 exec, exec, s[76:77]
.LBB6_5635:                             ;   in Loop: Header=BB6_4475 Depth=2
	s_or_b64 exec, exec, s[18:19]
	s_waitcnt vmcnt(1)
	v_cmp_ne_u16_sdwa s[76:77], v18, v28 src0_sel:BYTE_0 src1_sel:DWORD
	s_and_saveexec_b64 s[18:19], s[76:77]
	s_cbranch_execz .LBB6_5643
; %bb.5636:                             ;   in Loop: Header=BB6_4475 Depth=2
	v_cmp_ne_u16_sdwa s[78:79], sext(v18), s49 src0_sel:BYTE_0 src1_sel:DWORD
	v_bfrev_b32_e32 v6, 1
	s_and_saveexec_b64 s[76:77], s[78:79]
	s_cbranch_execz .LBB6_5642
; %bb.5637:                             ;   in Loop: Header=BB6_4475 Depth=2
	v_and_b32_e32 v6, 0x7c, v18
	v_and_b32_e32 v8, 3, v18
	v_cmp_ne_u32_e32 vcc, s50, v6
                                        ; implicit-def: $vgpr6
	s_and_saveexec_b64 s[78:79], vcc
	s_xor_b64 s[78:79], exec, s[78:79]
	s_cbranch_execz .LBB6_5639
; %bb.5638:                             ;   in Loop: Header=BB6_4475 Depth=2
	v_ffbh_u32_e32 v23, v8
	v_min_u32_e32 v23, 32, v23
	v_bfe_u32 v6, v18, 2, 5
	v_subrev_u32_e32 v26, 29, v23
	v_lshlrev_b64 v[26:27], v26, v[18:19]
	v_sub_u32_e32 v23, 30, v23
	v_cmp_eq_u32_e32 vcc, 0, v6
	v_cndmask_b32_e32 v6, v6, v23, vcc
	v_lshlrev_b32_e32 v23, 24, v18
	v_and_b32_e32 v26, 3, v26
	v_and_b32_e32 v23, 0x80000000, v23
	v_cndmask_b32_e32 v8, v8, v26, vcc
	v_lshl_add_u32 v6, v6, 23, v23
	v_lshl_or_b32 v6, v8, 21, v6
	v_add_u32_e32 v6, 0x38000000, v6
                                        ; implicit-def: $vgpr8
.LBB6_5639:                             ;   in Loop: Header=BB6_4475 Depth=2
	s_andn2_saveexec_b64 s[78:79], s[78:79]
; %bb.5640:                             ;   in Loop: Header=BB6_4475 Depth=2
	v_mov_b32_e32 v6, -1
	v_cmp_gt_i16_sdwa vcc, sext(v18), v6 src0_sel:BYTE_0 src1_sel:DWORD
	v_mov_b32_e32 v6, 0xff800000
	v_mov_b32_e32 v23, 0x7f800000
	v_cndmask_b32_e32 v6, v6, v23, vcc
	v_cmp_eq_u32_e32 vcc, 0, v8
	v_mov_b32_e32 v8, 0x7f800001
	v_cndmask_b32_e32 v6, v8, v6, vcc
; %bb.5641:                             ;   in Loop: Header=BB6_4475 Depth=2
	s_or_b64 exec, exec, s[78:79]
.LBB6_5642:                             ;   in Loop: Header=BB6_4475 Depth=2
	s_or_b64 exec, exec, s[76:77]
.LBB6_5643:                             ;   in Loop: Header=BB6_4475 Depth=2
	s_or_b64 exec, exec, s[18:19]
	v_mul_f32_e32 v6, v7, v6
	v_and_b32_e32 v7, 0x7f800000, v6
	v_mov_b32_e32 v8, v28
	v_cmp_ne_u64_e32 vcc, s[58:59], v[7:8]
	v_and_b32_e32 v27, 0x7fffff, v6
                                        ; implicit-def: $vgpr23
	s_and_saveexec_b64 s[18:19], vcc
	s_xor_b64 s[76:77], exec, s[18:19]
	s_cbranch_execz .LBB6_5657
; %bb.5644:                             ;   in Loop: Header=BB6_4475 Depth=2
	v_and_b32_e32 v7, 0x7fffffff, v6
	v_mov_b32_e32 v8, v28
	v_cmp_gt_u64_e32 vcc, s[60:61], v[7:8]
	v_and_b32_sdwa v26, v6, s52 dst_sel:DWORD dst_unused:UNUSED_PAD src0_sel:BYTE_3 src1_sel:DWORD
                                        ; implicit-def: $vgpr23
	s_and_saveexec_b64 s[18:19], vcc
	s_xor_b64 s[78:79], exec, s[18:19]
	s_cbranch_execz .LBB6_5654
; %bb.5645:                             ;   in Loop: Header=BB6_4475 Depth=2
	v_mov_b32_e32 v23, 0
	v_cmp_ne_u32_e32 vcc, 0, v6
	s_and_saveexec_b64 s[88:89], vcc
	s_cbranch_execz .LBB6_5653
; %bb.5646:                             ;   in Loop: Header=BB6_4475 Depth=2
	v_bfe_u32 v23, v6, 23, 8
	v_cmp_gt_u32_e64 s[18:19], s53, v23
	v_sub_u32_e32 v6, 0x71, v23
	v_cmp_eq_u32_e32 vcc, 0, v23
	v_cndmask_b32_e64 v6, 0, v6, s[18:19]
	v_mov_b32_e32 v8, 0x70
	v_cndmask_b32_e32 v29, v6, v8, vcc
	v_add_u32_e32 v8, 21, v29
	v_or_b32_e32 v7, 0x800000, v27
	v_lshlrev_b64 v[34:35], v8, -1
	v_cndmask_b32_e32 v6, v7, v27, vcc
	v_mov_b32_e32 v7, v28
	v_add_u32_e32 v8, 20, v29
	v_bfi_b32 v34, v34, 0, v6
	v_lshlrev_b64 v[36:37], v8, 1
	v_lshrrev_b64 v[6:7], v29, v[6:7]
	v_bfi_b32 v35, v35, 0, 0
	v_cmp_eq_u64_e64 s[18:19], v[34:35], v[36:37]
	v_mov_b32_e32 v8, v7
	v_mov_b32_e32 v7, v6
	s_and_saveexec_b64 s[90:91], s[18:19]
; %bb.5647:                             ;   in Loop: Header=BB6_4475 Depth=2
	v_bfe_u32 v7, v6, 21, 1
	v_add_co_u32_e64 v7, s[18:19], v6, v7
	v_add_co_u32_e64 v7, s[18:19], -1, v7
; %bb.5648:                             ;   in Loop: Header=BB6_4475 Depth=2
	s_or_b64 exec, exec, s[90:91]
	v_add_u32_e32 v8, 0xffffff81, v23
	v_mov_b32_e32 v23, 0xffffff82
	v_cndmask_b32_e32 v8, v8, v23, vcc
	v_lshrrev_b32_e32 v23, 23, v6
	v_add3_u32 v29, v29, v8, v23
	v_add_u32_e32 v23, 14, v29
	v_and_b32_e32 v7, 0x1fffff, v7
	v_add_u32_e32 v27, v7, v6
	v_cmp_ne_u32_e32 vcc, 0, v23
                                        ; implicit-def: $vgpr6_vgpr7
                                        ; implicit-def: $vgpr8
	s_and_saveexec_b64 s[18:19], vcc
	s_xor_b64 s[18:19], exec, s[18:19]
; %bb.5649:                             ;   in Loop: Header=BB6_4475 Depth=2
	v_cmp_lt_u64_e32 vcc, s[62:63], v[27:28]
	v_add_u32_e32 v6, 15, v29
	v_cndmask_b32_e32 v8, v23, v6, vcc
	v_cndmask_b32_e64 v6, 0, 1, vcc
	v_lshrrev_b64 v[6:7], v6, v[27:28]
; %bb.5650:                             ;   in Loop: Header=BB6_4475 Depth=2
	s_andn2_saveexec_b64 s[18:19], s[18:19]
; %bb.5651:                             ;   in Loop: Header=BB6_4475 Depth=2
	v_mov_b32_e32 v6, v27
	v_mov_b32_e32 v7, v28
	v_bfe_u32 v8, v27, 23, 1
; %bb.5652:                             ;   in Loop: Header=BB6_4475 Depth=2
	s_or_b64 exec, exec, s[18:19]
	v_lshrrev_b64 v[6:7], 21, v[6:7]
	v_cmp_gt_i32_e32 vcc, 32, v8
	v_cndmask_b32_e32 v7, 0, v7, vcc
	v_cndmask_b32_e32 v6, 3, v6, vcc
	v_cmp_eq_u64_e64 s[18:19], 0, v[6:7]
	v_min_i32_e32 v7, 31, v8
	v_lshlrev_b32_e32 v7, 2, v7
	v_cmp_eq_u32_e32 vcc, 0, v8
	v_and_b32_e32 v7, 0xfc, v7
	v_and_or_b32 v6, v6, 3, v7
	s_and_b64 s[18:19], vcc, s[18:19]
	v_cndmask_b32_e64 v6, v6, 0, s[18:19]
	v_or_b32_e32 v23, v6, v26
.LBB6_5653:                             ;   in Loop: Header=BB6_4475 Depth=2
	s_or_b64 exec, exec, s[88:89]
                                        ; implicit-def: $vgpr26
.LBB6_5654:                             ;   in Loop: Header=BB6_4475 Depth=2
	s_andn2_saveexec_b64 s[18:19], s[78:79]
; %bb.5655:                             ;   in Loop: Header=BB6_4475 Depth=2
	v_or_b32_e32 v23, 0x7b, v26
; %bb.5656:                             ;   in Loop: Header=BB6_4475 Depth=2
	s_or_b64 exec, exec, s[18:19]
                                        ; implicit-def: $vgpr6
.LBB6_5657:                             ;   in Loop: Header=BB6_4475 Depth=2
	s_andn2_saveexec_b64 s[18:19], s[76:77]
	s_cbranch_execz .LBB6_5663
; %bb.5658:                             ;   in Loop: Header=BB6_4475 Depth=2
	v_cmp_ne_u64_e32 vcc, 0, v[27:28]
                                        ; implicit-def: $vgpr23
	s_and_saveexec_b64 s[76:77], vcc
	s_xor_b64 s[76:77], exec, s[76:77]
; %bb.5659:                             ;   in Loop: Header=BB6_4475 Depth=2
	v_or_b32_sdwa v23, v6, s54 dst_sel:DWORD dst_unused:UNUSED_PAD src0_sel:BYTE_3 src1_sel:DWORD
                                        ; implicit-def: $vgpr6
; %bb.5660:                             ;   in Loop: Header=BB6_4475 Depth=2
	s_andn2_saveexec_b64 s[76:77], s[76:77]
; %bb.5661:                             ;   in Loop: Header=BB6_4475 Depth=2
	v_cmp_lt_i32_e32 vcc, -1, v6
	v_bfrev_b32_e32 v6, 0.5
	v_mov_b32_e32 v7, 0x7c
	v_cndmask_b32_e32 v23, v6, v7, vcc
; %bb.5662:                             ;   in Loop: Header=BB6_4475 Depth=2
	s_or_b64 exec, exec, s[76:77]
.LBB6_5663:                             ;   in Loop: Header=BB6_4475 Depth=2
	s_or_b64 exec, exec, s[18:19]
	v_lshrrev_b16_e32 v6, 8, v2
	v_cmp_ne_u16_e32 vcc, 0, v6
	v_mov_b32_e32 v8, 0
	v_mov_b32_e32 v26, 0
	s_and_saveexec_b64 s[18:19], vcc
	s_cbranch_execz .LBB6_5671
; %bb.5664:                             ;   in Loop: Header=BB6_4475 Depth=2
	v_cmp_ne_u16_e32 vcc, s52, v6
	v_bfrev_b32_e32 v26, 1
	s_and_saveexec_b64 s[76:77], vcc
	s_cbranch_execz .LBB6_5670
; %bb.5665:                             ;   in Loop: Header=BB6_4475 Depth=2
	v_and_b32_e32 v7, 0x7c, v6
	v_and_b32_e32 v27, 3, v6
	v_cmp_ne_u32_e32 vcc, s50, v7
                                        ; implicit-def: $vgpr26
	s_and_saveexec_b64 s[78:79], vcc
	s_xor_b64 s[78:79], exec, s[78:79]
	s_cbranch_execz .LBB6_5667
; %bb.5666:                             ;   in Loop: Header=BB6_4475 Depth=2
	v_ffbh_u32_e32 v29, v27
	v_min_u32_e32 v29, 32, v29
	v_mov_b32_e32 v7, v28
	v_subrev_u32_e32 v32, 29, v29
	v_bfe_u32 v26, v6, 2, 5
	v_lshlrev_b64 v[6:7], v32, v[6:7]
	v_sub_u32_e32 v7, 30, v29
	v_cmp_eq_u32_e32 vcc, 0, v26
	v_cndmask_b32_e32 v7, v26, v7, vcc
	v_lshlrev_b32_e32 v26, 16, v2
	v_and_b32_e32 v6, 3, v6
	v_and_b32_e32 v26, 0x80000000, v26
	v_cndmask_b32_e32 v6, v27, v6, vcc
	v_lshl_add_u32 v7, v7, 23, v26
	v_lshl_or_b32 v6, v6, 21, v7
	v_add_u32_e32 v26, 0x38000000, v6
                                        ; implicit-def: $vgpr27
.LBB6_5667:                             ;   in Loop: Header=BB6_4475 Depth=2
	s_andn2_saveexec_b64 s[78:79], s[78:79]
; %bb.5668:                             ;   in Loop: Header=BB6_4475 Depth=2
	v_cmp_lt_i16_e32 vcc, -1, v2
	v_mov_b32_e32 v6, 0xff800000
	v_mov_b32_e32 v7, 0x7f800000
	v_cndmask_b32_e32 v6, v6, v7, vcc
	v_cmp_eq_u32_e32 vcc, 0, v27
	v_mov_b32_e32 v7, 0x7f800001
	v_cndmask_b32_e32 v26, v7, v6, vcc
; %bb.5669:                             ;   in Loop: Header=BB6_4475 Depth=2
	s_or_b64 exec, exec, s[78:79]
.LBB6_5670:                             ;   in Loop: Header=BB6_4475 Depth=2
	s_or_b64 exec, exec, s[76:77]
.LBB6_5671:                             ;   in Loop: Header=BB6_4475 Depth=2
	s_or_b64 exec, exec, s[18:19]
	v_lshrrev_b16_e32 v6, 8, v18
	v_cmp_ne_u16_e32 vcc, 0, v6
	s_and_saveexec_b64 s[18:19], vcc
	s_cbranch_execz .LBB6_5679
; %bb.5672:                             ;   in Loop: Header=BB6_4475 Depth=2
	v_cmp_ne_u16_e32 vcc, s52, v6
	v_bfrev_b32_e32 v8, 1
	s_and_saveexec_b64 s[76:77], vcc
	s_cbranch_execz .LBB6_5678
; %bb.5673:                             ;   in Loop: Header=BB6_4475 Depth=2
	v_and_b32_e32 v7, 0x7c, v6
	v_and_b32_e32 v27, 3, v6
	v_cmp_ne_u32_e32 vcc, s50, v7
                                        ; implicit-def: $vgpr8
	s_and_saveexec_b64 s[78:79], vcc
	s_xor_b64 s[78:79], exec, s[78:79]
	s_cbranch_execz .LBB6_5675
; %bb.5674:                             ;   in Loop: Header=BB6_4475 Depth=2
	v_ffbh_u32_e32 v29, v27
	v_min_u32_e32 v29, 32, v29
	v_mov_b32_e32 v7, v28
	v_subrev_u32_e32 v32, 29, v29
	v_bfe_u32 v8, v6, 2, 5
	v_lshlrev_b64 v[6:7], v32, v[6:7]
	v_sub_u32_e32 v7, 30, v29
	v_cmp_eq_u32_e32 vcc, 0, v8
	v_cndmask_b32_e32 v7, v8, v7, vcc
	v_lshlrev_b32_e32 v8, 16, v18
	v_and_b32_e32 v6, 3, v6
	v_and_b32_e32 v8, 0x80000000, v8
	v_cndmask_b32_e32 v6, v27, v6, vcc
	v_lshl_add_u32 v7, v7, 23, v8
	v_lshl_or_b32 v6, v6, 21, v7
	v_add_u32_e32 v8, 0x38000000, v6
                                        ; implicit-def: $vgpr27
.LBB6_5675:                             ;   in Loop: Header=BB6_4475 Depth=2
	s_andn2_saveexec_b64 s[78:79], s[78:79]
; %bb.5676:                             ;   in Loop: Header=BB6_4475 Depth=2
	v_cmp_lt_i16_e32 vcc, -1, v18
	v_mov_b32_e32 v6, 0xff800000
	v_mov_b32_e32 v7, 0x7f800000
	v_cndmask_b32_e32 v6, v6, v7, vcc
	v_cmp_eq_u32_e32 vcc, 0, v27
	v_mov_b32_e32 v7, 0x7f800001
	v_cndmask_b32_e32 v8, v7, v6, vcc
; %bb.5677:                             ;   in Loop: Header=BB6_4475 Depth=2
	s_or_b64 exec, exec, s[78:79]
.LBB6_5678:                             ;   in Loop: Header=BB6_4475 Depth=2
	s_or_b64 exec, exec, s[76:77]
.LBB6_5679:                             ;   in Loop: Header=BB6_4475 Depth=2
	s_or_b64 exec, exec, s[18:19]
	v_mul_f32_e32 v6, v26, v8
	v_and_b32_e32 v7, 0x7f800000, v6
	v_mov_b32_e32 v8, v28
	v_cmp_ne_u64_e32 vcc, s[58:59], v[7:8]
	v_and_b32_e32 v27, 0x7fffff, v6
                                        ; implicit-def: $vgpr34
	s_and_saveexec_b64 s[18:19], vcc
	s_xor_b64 s[76:77], exec, s[18:19]
	s_cbranch_execz .LBB6_5693
; %bb.5680:                             ;   in Loop: Header=BB6_4475 Depth=2
	v_and_b32_e32 v7, 0x7fffffff, v6
	v_mov_b32_e32 v8, v28
	v_cmp_gt_u64_e32 vcc, s[60:61], v[7:8]
	v_and_b32_sdwa v26, v6, s52 dst_sel:DWORD dst_unused:UNUSED_PAD src0_sel:BYTE_3 src1_sel:DWORD
                                        ; implicit-def: $vgpr34
	s_and_saveexec_b64 s[18:19], vcc
	s_xor_b64 s[78:79], exec, s[18:19]
	s_cbranch_execz .LBB6_5690
; %bb.5681:                             ;   in Loop: Header=BB6_4475 Depth=2
	v_mov_b32_e32 v34, 0
	v_cmp_ne_u32_e32 vcc, 0, v6
	s_and_saveexec_b64 s[88:89], vcc
	s_cbranch_execz .LBB6_5689
; %bb.5682:                             ;   in Loop: Header=BB6_4475 Depth=2
	v_bfe_u32 v29, v6, 23, 8
	v_cmp_gt_u32_e64 s[18:19], s53, v29
	v_sub_u32_e32 v6, 0x71, v29
	v_cmp_eq_u32_e32 vcc, 0, v29
	v_cndmask_b32_e64 v6, 0, v6, s[18:19]
	v_mov_b32_e32 v8, 0x70
	v_cndmask_b32_e32 v34, v6, v8, vcc
	v_add_u32_e32 v8, 21, v34
	v_or_b32_e32 v7, 0x800000, v27
	v_lshlrev_b64 v[35:36], v8, -1
	v_cndmask_b32_e32 v6, v7, v27, vcc
	v_mov_b32_e32 v7, v28
	v_add_u32_e32 v8, 20, v34
	v_bfi_b32 v35, v35, 0, v6
	v_lshlrev_b64 v[37:38], v8, 1
	v_lshrrev_b64 v[6:7], v34, v[6:7]
	v_bfi_b32 v36, v36, 0, 0
	v_cmp_eq_u64_e64 s[18:19], v[35:36], v[37:38]
	v_mov_b32_e32 v8, v7
	v_mov_b32_e32 v7, v6
	s_and_saveexec_b64 s[90:91], s[18:19]
; %bb.5683:                             ;   in Loop: Header=BB6_4475 Depth=2
	v_bfe_u32 v7, v6, 21, 1
	v_add_co_u32_e64 v7, s[18:19], v6, v7
	v_add_co_u32_e64 v7, s[18:19], -1, v7
; %bb.5684:                             ;   in Loop: Header=BB6_4475 Depth=2
	s_or_b64 exec, exec, s[90:91]
	v_add_u32_e32 v8, 0xffffff81, v29
	v_mov_b32_e32 v27, 0xffffff82
	v_cndmask_b32_e32 v8, v8, v27, vcc
	v_lshrrev_b32_e32 v27, 23, v6
	v_add3_u32 v34, v34, v8, v27
	v_add_u32_e32 v29, 14, v34
	v_and_b32_e32 v7, 0x1fffff, v7
	v_add_u32_e32 v27, v7, v6
	v_cmp_ne_u32_e32 vcc, 0, v29
                                        ; implicit-def: $vgpr6_vgpr7
                                        ; implicit-def: $vgpr8
	s_and_saveexec_b64 s[18:19], vcc
	s_xor_b64 s[18:19], exec, s[18:19]
; %bb.5685:                             ;   in Loop: Header=BB6_4475 Depth=2
	v_cmp_lt_u64_e32 vcc, s[62:63], v[27:28]
	v_add_u32_e32 v6, 15, v34
	v_cndmask_b32_e32 v8, v29, v6, vcc
	v_cndmask_b32_e64 v6, 0, 1, vcc
	v_lshrrev_b64 v[6:7], v6, v[27:28]
; %bb.5686:                             ;   in Loop: Header=BB6_4475 Depth=2
	s_andn2_saveexec_b64 s[18:19], s[18:19]
; %bb.5687:                             ;   in Loop: Header=BB6_4475 Depth=2
	v_mov_b32_e32 v6, v27
	v_mov_b32_e32 v7, v28
	v_bfe_u32 v8, v27, 23, 1
; %bb.5688:                             ;   in Loop: Header=BB6_4475 Depth=2
	s_or_b64 exec, exec, s[18:19]
	v_lshrrev_b64 v[6:7], 21, v[6:7]
	v_cmp_gt_i32_e32 vcc, 32, v8
	v_cndmask_b32_e32 v7, 0, v7, vcc
	v_cndmask_b32_e32 v6, 3, v6, vcc
	v_cmp_eq_u64_e64 s[18:19], 0, v[6:7]
	v_min_i32_e32 v7, 31, v8
	v_lshlrev_b32_e32 v7, 2, v7
	v_cmp_eq_u32_e32 vcc, 0, v8
	v_and_b32_e32 v7, 0xfc, v7
	v_and_or_b32 v6, v6, 3, v7
	s_and_b64 s[18:19], vcc, s[18:19]
	v_cndmask_b32_e64 v6, v6, 0, s[18:19]
	v_or_b32_e32 v34, v6, v26
.LBB6_5689:                             ;   in Loop: Header=BB6_4475 Depth=2
	s_or_b64 exec, exec, s[88:89]
                                        ; implicit-def: $vgpr26
.LBB6_5690:                             ;   in Loop: Header=BB6_4475 Depth=2
	s_andn2_saveexec_b64 s[18:19], s[78:79]
; %bb.5691:                             ;   in Loop: Header=BB6_4475 Depth=2
	v_or_b32_e32 v34, 0x7b, v26
; %bb.5692:                             ;   in Loop: Header=BB6_4475 Depth=2
	s_or_b64 exec, exec, s[18:19]
                                        ; implicit-def: $vgpr6
.LBB6_5693:                             ;   in Loop: Header=BB6_4475 Depth=2
	s_andn2_saveexec_b64 s[18:19], s[76:77]
	s_cbranch_execz .LBB6_5699
; %bb.5694:                             ;   in Loop: Header=BB6_4475 Depth=2
	v_cmp_ne_u64_e32 vcc, 0, v[27:28]
                                        ; implicit-def: $vgpr34
	s_and_saveexec_b64 s[76:77], vcc
	s_xor_b64 s[76:77], exec, s[76:77]
; %bb.5695:                             ;   in Loop: Header=BB6_4475 Depth=2
	v_or_b32_sdwa v34, v6, s54 dst_sel:DWORD dst_unused:UNUSED_PAD src0_sel:BYTE_3 src1_sel:DWORD
                                        ; implicit-def: $vgpr6
; %bb.5696:                             ;   in Loop: Header=BB6_4475 Depth=2
	s_andn2_saveexec_b64 s[76:77], s[76:77]
; %bb.5697:                             ;   in Loop: Header=BB6_4475 Depth=2
	v_cmp_lt_i32_e32 vcc, -1, v6
	v_bfrev_b32_e32 v6, 0.5
	v_mov_b32_e32 v7, 0x7c
	v_cndmask_b32_e32 v34, v6, v7, vcc
; %bb.5698:                             ;   in Loop: Header=BB6_4475 Depth=2
	s_or_b64 exec, exec, s[76:77]
.LBB6_5699:                             ;   in Loop: Header=BB6_4475 Depth=2
	s_or_b64 exec, exec, s[18:19]
	v_lshrrev_b32_e32 v6, 16, v2
	v_cmp_ne_u16_sdwa s[76:77], v6, v28 src0_sel:BYTE_0 src1_sel:DWORD
	v_mov_b32_e32 v7, 0
	v_mov_b32_e32 v8, 0
	s_and_saveexec_b64 s[18:19], s[76:77]
	s_cbranch_execz .LBB6_5707
; %bb.5700:                             ;   in Loop: Header=BB6_4475 Depth=2
	v_cmp_ne_u16_sdwa s[78:79], v6, s52 src0_sel:BYTE_0 src1_sel:DWORD
	v_bfrev_b32_e32 v8, 1
	s_and_saveexec_b64 s[76:77], s[78:79]
	s_cbranch_execz .LBB6_5706
; %bb.5701:                             ;   in Loop: Header=BB6_4475 Depth=2
	v_and_b32_e32 v8, 0x7c0000, v2
	v_bfe_u32 v26, v2, 16, 2
	v_cmp_ne_u32_e32 vcc, s55, v8
                                        ; implicit-def: $vgpr8
	s_and_saveexec_b64 s[78:79], vcc
	s_xor_b64 s[78:79], exec, s[78:79]
	s_cbranch_execz .LBB6_5703
; %bb.5702:                             ;   in Loop: Header=BB6_4475 Depth=2
	v_ffbh_u32_e32 v27, v26
	v_min_u32_e32 v27, 32, v27
	v_subrev_u32_e32 v29, 29, v27
	v_lshlrev_b64 v[35:36], v29, v[6:7]
	v_bfe_u32 v8, v2, 18, 5
	v_sub_u32_e32 v6, 30, v27
	v_and_b32_e32 v27, 3, v35
	v_cmp_eq_u32_e32 vcc, 0, v8
	v_cndmask_b32_e32 v6, v8, v6, vcc
	v_cndmask_b32_e32 v8, v26, v27, vcc
	v_lshlrev_b32_e32 v26, 8, v2
	v_and_b32_e32 v26, 0x80000000, v26
	v_lshl_add_u32 v6, v6, 23, v26
	v_lshl_or_b32 v6, v8, 21, v6
	v_add_u32_e32 v8, 0x38000000, v6
                                        ; implicit-def: $vgpr26
                                        ; implicit-def: $vgpr6
.LBB6_5703:                             ;   in Loop: Header=BB6_4475 Depth=2
	s_andn2_saveexec_b64 s[78:79], s[78:79]
; %bb.5704:                             ;   in Loop: Header=BB6_4475 Depth=2
	v_mov_b32_e32 v8, -1
	v_cmp_gt_i16_sdwa vcc, sext(v6), v8 src0_sel:BYTE_0 src1_sel:DWORD
	v_mov_b32_e32 v6, 0xff800000
	v_mov_b32_e32 v8, 0x7f800000
	v_cndmask_b32_e32 v6, v6, v8, vcc
	v_cmp_eq_u32_e32 vcc, 0, v26
	v_mov_b32_e32 v8, 0x7f800001
	v_cndmask_b32_e32 v8, v8, v6, vcc
; %bb.5705:                             ;   in Loop: Header=BB6_4475 Depth=2
	s_or_b64 exec, exec, s[78:79]
.LBB6_5706:                             ;   in Loop: Header=BB6_4475 Depth=2
	s_or_b64 exec, exec, s[76:77]
.LBB6_5707:                             ;   in Loop: Header=BB6_4475 Depth=2
	s_or_b64 exec, exec, s[18:19]
	v_lshrrev_b32_e32 v6, 16, v18
	v_cmp_ne_u16_sdwa s[76:77], v6, v28 src0_sel:BYTE_0 src1_sel:DWORD
	s_and_saveexec_b64 s[18:19], s[76:77]
	s_cbranch_execz .LBB6_5715
; %bb.5708:                             ;   in Loop: Header=BB6_4475 Depth=2
	v_cmp_ne_u16_sdwa s[78:79], v6, s52 src0_sel:BYTE_0 src1_sel:DWORD
	v_bfrev_b32_e32 v7, 1
	s_and_saveexec_b64 s[76:77], s[78:79]
	s_cbranch_execz .LBB6_5714
; %bb.5709:                             ;   in Loop: Header=BB6_4475 Depth=2
	v_and_b32_e32 v7, 0x7c0000, v18
	v_bfe_u32 v26, v18, 16, 2
	v_cmp_ne_u32_e32 vcc, s55, v7
                                        ; implicit-def: $vgpr7
	s_and_saveexec_b64 s[78:79], vcc
	s_xor_b64 s[78:79], exec, s[78:79]
	s_cbranch_execz .LBB6_5711
; %bb.5710:                             ;   in Loop: Header=BB6_4475 Depth=2
	v_ffbh_u32_e32 v7, v26
	v_min_u32_e32 v29, 32, v7
	v_subrev_u32_e32 v7, 29, v29
	v_lshlrev_b64 v[6:7], v7, v[6:7]
	v_bfe_u32 v27, v18, 18, 5
	v_and_b32_e32 v6, 3, v6
	v_cmp_eq_u32_e32 vcc, 0, v27
	v_sub_u32_e32 v7, 30, v29
	v_cndmask_b32_e32 v6, v26, v6, vcc
	v_lshlrev_b32_e32 v26, 8, v18
	v_cndmask_b32_e32 v7, v27, v7, vcc
	v_and_b32_e32 v26, 0x80000000, v26
	v_lshl_add_u32 v7, v7, 23, v26
	v_lshl_or_b32 v6, v6, 21, v7
	v_add_u32_e32 v7, 0x38000000, v6
                                        ; implicit-def: $vgpr26
                                        ; implicit-def: $vgpr6
.LBB6_5711:                             ;   in Loop: Header=BB6_4475 Depth=2
	s_andn2_saveexec_b64 s[78:79], s[78:79]
; %bb.5712:                             ;   in Loop: Header=BB6_4475 Depth=2
	v_mov_b32_e32 v7, -1
	v_cmp_gt_i16_sdwa vcc, sext(v6), v7 src0_sel:BYTE_0 src1_sel:DWORD
	v_mov_b32_e32 v6, 0xff800000
	v_mov_b32_e32 v7, 0x7f800000
	v_cndmask_b32_e32 v6, v6, v7, vcc
	v_cmp_eq_u32_e32 vcc, 0, v26
	v_mov_b32_e32 v7, 0x7f800001
	v_cndmask_b32_e32 v7, v7, v6, vcc
; %bb.5713:                             ;   in Loop: Header=BB6_4475 Depth=2
	s_or_b64 exec, exec, s[78:79]
.LBB6_5714:                             ;   in Loop: Header=BB6_4475 Depth=2
	s_or_b64 exec, exec, s[76:77]
.LBB6_5715:                             ;   in Loop: Header=BB6_4475 Depth=2
	s_or_b64 exec, exec, s[18:19]
	v_mul_f32_e32 v6, v8, v7
	v_and_b32_e32 v7, 0x7f800000, v6
	v_mov_b32_e32 v8, v28
	v_cmp_ne_u64_e32 vcc, s[58:59], v[7:8]
	v_and_b32_e32 v27, 0x7fffff, v6
                                        ; implicit-def: $vgpr35
	s_and_saveexec_b64 s[18:19], vcc
	s_xor_b64 s[76:77], exec, s[18:19]
	s_cbranch_execz .LBB6_5729
; %bb.5716:                             ;   in Loop: Header=BB6_4475 Depth=2
	v_and_b32_e32 v7, 0x7fffffff, v6
	v_mov_b32_e32 v8, v28
	v_cmp_gt_u64_e32 vcc, s[60:61], v[7:8]
	v_and_b32_sdwa v26, v6, s52 dst_sel:DWORD dst_unused:UNUSED_PAD src0_sel:BYTE_3 src1_sel:DWORD
                                        ; implicit-def: $vgpr35
	s_and_saveexec_b64 s[18:19], vcc
	s_xor_b64 s[78:79], exec, s[18:19]
	s_cbranch_execz .LBB6_5726
; %bb.5717:                             ;   in Loop: Header=BB6_4475 Depth=2
	v_mov_b32_e32 v35, 0
	v_cmp_ne_u32_e32 vcc, 0, v6
	s_and_saveexec_b64 s[88:89], vcc
	s_cbranch_execz .LBB6_5725
; %bb.5718:                             ;   in Loop: Header=BB6_4475 Depth=2
	v_bfe_u32 v29, v6, 23, 8
	v_cmp_gt_u32_e64 s[18:19], s53, v29
	v_sub_u32_e32 v6, 0x71, v29
	v_cmp_eq_u32_e32 vcc, 0, v29
	v_cndmask_b32_e64 v6, 0, v6, s[18:19]
	v_mov_b32_e32 v8, 0x70
	v_cndmask_b32_e32 v35, v6, v8, vcc
	v_add_u32_e32 v8, 21, v35
	v_or_b32_e32 v7, 0x800000, v27
	v_lshlrev_b64 v[36:37], v8, -1
	v_cndmask_b32_e32 v6, v7, v27, vcc
	v_mov_b32_e32 v7, v28
	v_add_u32_e32 v8, 20, v35
	v_bfi_b32 v36, v36, 0, v6
	v_lshlrev_b64 v[38:39], v8, 1
	v_lshrrev_b64 v[6:7], v35, v[6:7]
	v_bfi_b32 v37, v37, 0, 0
	v_cmp_eq_u64_e64 s[18:19], v[36:37], v[38:39]
	v_mov_b32_e32 v8, v7
	v_mov_b32_e32 v7, v6
	s_and_saveexec_b64 s[90:91], s[18:19]
; %bb.5719:                             ;   in Loop: Header=BB6_4475 Depth=2
	v_bfe_u32 v7, v6, 21, 1
	v_add_co_u32_e64 v7, s[18:19], v6, v7
	v_add_co_u32_e64 v7, s[18:19], -1, v7
; %bb.5720:                             ;   in Loop: Header=BB6_4475 Depth=2
	s_or_b64 exec, exec, s[90:91]
	v_add_u32_e32 v8, 0xffffff81, v29
	v_mov_b32_e32 v27, 0xffffff82
	v_cndmask_b32_e32 v8, v8, v27, vcc
	v_lshrrev_b32_e32 v27, 23, v6
	v_add3_u32 v35, v35, v8, v27
	v_add_u32_e32 v29, 14, v35
	v_and_b32_e32 v7, 0x1fffff, v7
	v_add_u32_e32 v27, v7, v6
	v_cmp_ne_u32_e32 vcc, 0, v29
                                        ; implicit-def: $vgpr6_vgpr7
                                        ; implicit-def: $vgpr8
	s_and_saveexec_b64 s[18:19], vcc
	s_xor_b64 s[18:19], exec, s[18:19]
; %bb.5721:                             ;   in Loop: Header=BB6_4475 Depth=2
	v_cmp_lt_u64_e32 vcc, s[62:63], v[27:28]
	v_add_u32_e32 v6, 15, v35
	v_cndmask_b32_e32 v8, v29, v6, vcc
	v_cndmask_b32_e64 v6, 0, 1, vcc
	v_lshrrev_b64 v[6:7], v6, v[27:28]
; %bb.5722:                             ;   in Loop: Header=BB6_4475 Depth=2
	s_andn2_saveexec_b64 s[18:19], s[18:19]
; %bb.5723:                             ;   in Loop: Header=BB6_4475 Depth=2
	v_mov_b32_e32 v6, v27
	v_mov_b32_e32 v7, v28
	v_bfe_u32 v8, v27, 23, 1
; %bb.5724:                             ;   in Loop: Header=BB6_4475 Depth=2
	s_or_b64 exec, exec, s[18:19]
	v_lshrrev_b64 v[6:7], 21, v[6:7]
	v_cmp_gt_i32_e32 vcc, 32, v8
	v_cndmask_b32_e32 v7, 0, v7, vcc
	v_cndmask_b32_e32 v6, 3, v6, vcc
	v_cmp_eq_u64_e64 s[18:19], 0, v[6:7]
	v_min_i32_e32 v7, 31, v8
	v_lshlrev_b32_e32 v7, 2, v7
	v_cmp_eq_u32_e32 vcc, 0, v8
	v_and_b32_e32 v7, 0xfc, v7
	v_and_or_b32 v6, v6, 3, v7
	s_and_b64 s[18:19], vcc, s[18:19]
	v_cndmask_b32_e64 v6, v6, 0, s[18:19]
	v_or_b32_e32 v35, v6, v26
.LBB6_5725:                             ;   in Loop: Header=BB6_4475 Depth=2
	s_or_b64 exec, exec, s[88:89]
                                        ; implicit-def: $vgpr26
.LBB6_5726:                             ;   in Loop: Header=BB6_4475 Depth=2
	s_andn2_saveexec_b64 s[18:19], s[78:79]
; %bb.5727:                             ;   in Loop: Header=BB6_4475 Depth=2
	v_or_b32_e32 v35, 0x7b, v26
; %bb.5728:                             ;   in Loop: Header=BB6_4475 Depth=2
	s_or_b64 exec, exec, s[18:19]
                                        ; implicit-def: $vgpr6
.LBB6_5729:                             ;   in Loop: Header=BB6_4475 Depth=2
	s_andn2_saveexec_b64 s[18:19], s[76:77]
	s_cbranch_execz .LBB6_5735
; %bb.5730:                             ;   in Loop: Header=BB6_4475 Depth=2
	v_cmp_ne_u64_e32 vcc, 0, v[27:28]
                                        ; implicit-def: $vgpr35
	s_and_saveexec_b64 s[76:77], vcc
	s_xor_b64 s[76:77], exec, s[76:77]
; %bb.5731:                             ;   in Loop: Header=BB6_4475 Depth=2
	v_or_b32_sdwa v35, v6, s54 dst_sel:DWORD dst_unused:UNUSED_PAD src0_sel:BYTE_3 src1_sel:DWORD
                                        ; implicit-def: $vgpr6
; %bb.5732:                             ;   in Loop: Header=BB6_4475 Depth=2
	s_andn2_saveexec_b64 s[76:77], s[76:77]
; %bb.5733:                             ;   in Loop: Header=BB6_4475 Depth=2
	v_cmp_lt_i32_e32 vcc, -1, v6
	v_bfrev_b32_e32 v6, 0.5
	v_mov_b32_e32 v7, 0x7c
	v_cndmask_b32_e32 v35, v6, v7, vcc
; %bb.5734:                             ;   in Loop: Header=BB6_4475 Depth=2
	s_or_b64 exec, exec, s[76:77]
.LBB6_5735:                             ;   in Loop: Header=BB6_4475 Depth=2
	s_or_b64 exec, exec, s[18:19]
	v_cmp_lt_u32_e32 vcc, s57, v2
	v_mov_b32_e32 v7, 0
	v_mov_b32_e32 v8, 0
	s_and_saveexec_b64 s[18:19], vcc
	s_cbranch_execz .LBB6_5743
; %bb.5736:                             ;   in Loop: Header=BB6_4475 Depth=2
	v_lshrrev_b32_e32 v6, 24, v2
	v_cmp_ne_u32_e32 vcc, s52, v6
	v_bfrev_b32_e32 v8, 1
	s_and_saveexec_b64 s[76:77], vcc
	s_cbranch_execz .LBB6_5742
; %bb.5737:                             ;   in Loop: Header=BB6_4475 Depth=2
	v_and_b32_e32 v8, 0x7c000000, v2
	v_bfe_u32 v26, v2, 24, 2
	v_cmp_ne_u32_e32 vcc, s64, v8
                                        ; implicit-def: $vgpr8
	s_and_saveexec_b64 s[78:79], vcc
	s_xor_b64 s[78:79], exec, s[78:79]
	s_cbranch_execz .LBB6_5739
; %bb.5738:                             ;   in Loop: Header=BB6_4475 Depth=2
	v_ffbh_u32_e32 v27, v26
	v_min_u32_e32 v27, 32, v27
	v_subrev_u32_e32 v29, 29, v27
	v_lshlrev_b64 v[36:37], v29, v[6:7]
	v_bfe_u32 v8, v2, 26, 5
	v_sub_u32_e32 v6, 30, v27
	v_and_b32_e32 v27, 3, v36
	v_cmp_eq_u32_e32 vcc, 0, v8
	v_cndmask_b32_e32 v6, v8, v6, vcc
	v_cndmask_b32_e32 v8, v26, v27, vcc
	v_and_b32_e32 v26, 0x80000000, v2
	v_lshl_add_u32 v6, v6, 23, v26
	v_lshl_or_b32 v6, v8, 21, v6
	v_add_u32_e32 v8, 0x38000000, v6
                                        ; implicit-def: $vgpr26
.LBB6_5739:                             ;   in Loop: Header=BB6_4475 Depth=2
	s_andn2_saveexec_b64 s[78:79], s[78:79]
; %bb.5740:                             ;   in Loop: Header=BB6_4475 Depth=2
	v_cmp_lt_i32_e32 vcc, -1, v2
	v_mov_b32_e32 v6, 0xff800000
	v_mov_b32_e32 v8, 0x7f800000
	v_cndmask_b32_e32 v6, v6, v8, vcc
	v_cmp_eq_u32_e32 vcc, 0, v26
	v_mov_b32_e32 v8, 0x7f800001
	v_cndmask_b32_e32 v8, v8, v6, vcc
; %bb.5741:                             ;   in Loop: Header=BB6_4475 Depth=2
	s_or_b64 exec, exec, s[78:79]
.LBB6_5742:                             ;   in Loop: Header=BB6_4475 Depth=2
	s_or_b64 exec, exec, s[76:77]
.LBB6_5743:                             ;   in Loop: Header=BB6_4475 Depth=2
	s_or_b64 exec, exec, s[18:19]
	v_cmp_lt_u32_e32 vcc, s57, v18
	s_and_saveexec_b64 s[18:19], vcc
	s_cbranch_execz .LBB6_5751
; %bb.5744:                             ;   in Loop: Header=BB6_4475 Depth=2
	v_lshrrev_b32_e32 v6, 24, v18
	v_cmp_ne_u32_e32 vcc, s52, v6
	v_bfrev_b32_e32 v7, 1
	s_and_saveexec_b64 s[76:77], vcc
	s_cbranch_execz .LBB6_5750
; %bb.5745:                             ;   in Loop: Header=BB6_4475 Depth=2
	v_and_b32_e32 v7, 0x7c000000, v18
	v_bfe_u32 v26, v18, 24, 2
	v_cmp_ne_u32_e32 vcc, s64, v7
                                        ; implicit-def: $vgpr7
	s_and_saveexec_b64 s[78:79], vcc
	s_xor_b64 s[78:79], exec, s[78:79]
	s_cbranch_execz .LBB6_5747
; %bb.5746:                             ;   in Loop: Header=BB6_4475 Depth=2
	v_ffbh_u32_e32 v7, v26
	v_min_u32_e32 v29, 32, v7
	v_subrev_u32_e32 v7, 29, v29
	v_lshlrev_b64 v[6:7], v7, v[6:7]
	v_bfe_u32 v27, v18, 26, 5
	v_sub_u32_e32 v7, 30, v29
	v_and_b32_e32 v6, 3, v6
	v_cmp_eq_u32_e32 vcc, 0, v27
	v_cndmask_b32_e32 v7, v27, v7, vcc
	v_cndmask_b32_e32 v6, v26, v6, vcc
	v_and_b32_e32 v26, 0x80000000, v18
	v_lshl_add_u32 v7, v7, 23, v26
	v_lshl_or_b32 v6, v6, 21, v7
	v_add_u32_e32 v7, 0x38000000, v6
                                        ; implicit-def: $vgpr26
.LBB6_5747:                             ;   in Loop: Header=BB6_4475 Depth=2
	s_andn2_saveexec_b64 s[78:79], s[78:79]
; %bb.5748:                             ;   in Loop: Header=BB6_4475 Depth=2
	v_cmp_lt_i32_e32 vcc, -1, v18
	v_mov_b32_e32 v6, 0xff800000
	v_mov_b32_e32 v7, 0x7f800000
	v_cndmask_b32_e32 v6, v6, v7, vcc
	v_cmp_eq_u32_e32 vcc, 0, v26
	v_mov_b32_e32 v7, 0x7f800001
	v_cndmask_b32_e32 v7, v7, v6, vcc
; %bb.5749:                             ;   in Loop: Header=BB6_4475 Depth=2
	s_or_b64 exec, exec, s[78:79]
.LBB6_5750:                             ;   in Loop: Header=BB6_4475 Depth=2
	s_or_b64 exec, exec, s[76:77]
.LBB6_5751:                             ;   in Loop: Header=BB6_4475 Depth=2
	s_or_b64 exec, exec, s[18:19]
	v_mul_f32_e32 v6, v8, v7
	v_and_b32_e32 v7, 0x7f800000, v6
	v_mov_b32_e32 v8, v28
	v_cmp_ne_u64_e32 vcc, s[58:59], v[7:8]
	v_and_b32_e32 v27, 0x7fffff, v6
                                        ; implicit-def: $vgpr26
	s_and_saveexec_b64 s[18:19], vcc
	s_xor_b64 s[76:77], exec, s[18:19]
	s_cbranch_execz .LBB6_5765
; %bb.5752:                             ;   in Loop: Header=BB6_4475 Depth=2
	v_and_b32_e32 v7, 0x7fffffff, v6
	v_mov_b32_e32 v8, v28
	v_cmp_gt_u64_e32 vcc, s[60:61], v[7:8]
	v_and_b32_sdwa v29, v6, s52 dst_sel:DWORD dst_unused:UNUSED_PAD src0_sel:BYTE_3 src1_sel:DWORD
                                        ; implicit-def: $vgpr26
	s_and_saveexec_b64 s[18:19], vcc
	s_xor_b64 s[78:79], exec, s[18:19]
	s_cbranch_execz .LBB6_5762
; %bb.5753:                             ;   in Loop: Header=BB6_4475 Depth=2
	v_mov_b32_e32 v26, 0
	v_cmp_ne_u32_e32 vcc, 0, v6
	s_and_saveexec_b64 s[88:89], vcc
	s_cbranch_execz .LBB6_5761
; %bb.5754:                             ;   in Loop: Header=BB6_4475 Depth=2
	v_bfe_u32 v26, v6, 23, 8
	v_cmp_gt_u32_e64 s[18:19], s53, v26
	v_sub_u32_e32 v6, 0x71, v26
	v_cmp_eq_u32_e32 vcc, 0, v26
	v_cndmask_b32_e64 v6, 0, v6, s[18:19]
	v_mov_b32_e32 v8, 0x70
	v_cndmask_b32_e32 v36, v6, v8, vcc
	v_add_u32_e32 v8, 21, v36
	v_or_b32_e32 v7, 0x800000, v27
	v_lshlrev_b64 v[37:38], v8, -1
	v_cndmask_b32_e32 v6, v7, v27, vcc
	v_mov_b32_e32 v7, v28
	v_add_u32_e32 v8, 20, v36
	v_bfi_b32 v37, v37, 0, v6
	v_lshlrev_b64 v[48:49], v8, 1
	v_lshrrev_b64 v[6:7], v36, v[6:7]
	v_bfi_b32 v38, v38, 0, 0
	v_cmp_eq_u64_e64 s[18:19], v[37:38], v[48:49]
	v_mov_b32_e32 v8, v7
	v_mov_b32_e32 v7, v6
	s_and_saveexec_b64 s[90:91], s[18:19]
; %bb.5755:                             ;   in Loop: Header=BB6_4475 Depth=2
	v_bfe_u32 v7, v6, 21, 1
	v_add_co_u32_e64 v7, s[18:19], v6, v7
	v_add_co_u32_e64 v7, s[18:19], -1, v7
; %bb.5756:                             ;   in Loop: Header=BB6_4475 Depth=2
	s_or_b64 exec, exec, s[90:91]
	v_add_u32_e32 v8, 0xffffff81, v26
	v_mov_b32_e32 v26, 0xffffff82
	v_cndmask_b32_e32 v8, v8, v26, vcc
	v_lshrrev_b32_e32 v26, 23, v6
	v_add3_u32 v36, v36, v8, v26
	v_add_u32_e32 v26, 14, v36
	v_and_b32_e32 v7, 0x1fffff, v7
	v_add_u32_e32 v27, v7, v6
	v_cmp_ne_u32_e32 vcc, 0, v26
                                        ; implicit-def: $vgpr6_vgpr7
                                        ; implicit-def: $vgpr8
	s_and_saveexec_b64 s[18:19], vcc
	s_xor_b64 s[18:19], exec, s[18:19]
; %bb.5757:                             ;   in Loop: Header=BB6_4475 Depth=2
	v_cmp_lt_u64_e32 vcc, s[62:63], v[27:28]
	v_add_u32_e32 v6, 15, v36
	v_cndmask_b32_e32 v8, v26, v6, vcc
	v_cndmask_b32_e64 v6, 0, 1, vcc
	v_lshrrev_b64 v[6:7], v6, v[27:28]
; %bb.5758:                             ;   in Loop: Header=BB6_4475 Depth=2
	s_andn2_saveexec_b64 s[18:19], s[18:19]
; %bb.5759:                             ;   in Loop: Header=BB6_4475 Depth=2
	v_mov_b32_e32 v6, v27
	v_mov_b32_e32 v7, v28
	v_bfe_u32 v8, v27, 23, 1
; %bb.5760:                             ;   in Loop: Header=BB6_4475 Depth=2
	s_or_b64 exec, exec, s[18:19]
	v_lshrrev_b64 v[6:7], 21, v[6:7]
	v_cmp_gt_i32_e32 vcc, 32, v8
	v_cndmask_b32_e32 v7, 0, v7, vcc
	v_cndmask_b32_e32 v6, 3, v6, vcc
	v_cmp_eq_u64_e64 s[18:19], 0, v[6:7]
	v_min_i32_e32 v7, 31, v8
	v_lshlrev_b32_e32 v7, 2, v7
	v_cmp_eq_u32_e32 vcc, 0, v8
	v_and_b32_e32 v7, 0xfc, v7
	v_and_or_b32 v6, v6, 3, v7
	s_and_b64 s[18:19], vcc, s[18:19]
	v_cndmask_b32_e64 v6, v6, 0, s[18:19]
	v_or_b32_e32 v26, v6, v29
.LBB6_5761:                             ;   in Loop: Header=BB6_4475 Depth=2
	s_or_b64 exec, exec, s[88:89]
                                        ; implicit-def: $vgpr29
.LBB6_5762:                             ;   in Loop: Header=BB6_4475 Depth=2
	s_andn2_saveexec_b64 s[18:19], s[78:79]
; %bb.5763:                             ;   in Loop: Header=BB6_4475 Depth=2
	v_or_b32_e32 v26, 0x7b, v29
; %bb.5764:                             ;   in Loop: Header=BB6_4475 Depth=2
	s_or_b64 exec, exec, s[18:19]
                                        ; implicit-def: $vgpr6
.LBB6_5765:                             ;   in Loop: Header=BB6_4475 Depth=2
	s_andn2_saveexec_b64 s[18:19], s[76:77]
	s_cbranch_execz .LBB6_5771
; %bb.5766:                             ;   in Loop: Header=BB6_4475 Depth=2
	v_cmp_ne_u64_e32 vcc, 0, v[27:28]
                                        ; implicit-def: $vgpr26
	s_and_saveexec_b64 s[76:77], vcc
	s_xor_b64 s[76:77], exec, s[76:77]
; %bb.5767:                             ;   in Loop: Header=BB6_4475 Depth=2
	v_or_b32_sdwa v26, v6, s54 dst_sel:DWORD dst_unused:UNUSED_PAD src0_sel:BYTE_3 src1_sel:DWORD
                                        ; implicit-def: $vgpr6
; %bb.5768:                             ;   in Loop: Header=BB6_4475 Depth=2
	s_andn2_saveexec_b64 s[76:77], s[76:77]
; %bb.5769:                             ;   in Loop: Header=BB6_4475 Depth=2
	v_cmp_lt_i32_e32 vcc, -1, v6
	v_bfrev_b32_e32 v6, 0.5
	v_mov_b32_e32 v7, 0x7c
	v_cndmask_b32_e32 v26, v6, v7, vcc
; %bb.5770:                             ;   in Loop: Header=BB6_4475 Depth=2
	s_or_b64 exec, exec, s[76:77]
.LBB6_5771:                             ;   in Loop: Header=BB6_4475 Depth=2
	s_or_b64 exec, exec, s[18:19]
	v_mov_b32_e32 v27, v3
	v_cmp_ne_u16_sdwa s[76:77], v3, v28 src0_sel:BYTE_0 src1_sel:DWORD
	v_mov_b32_e32 v7, 0
	v_mov_b32_e32 v6, 0
	s_and_saveexec_b64 s[18:19], s[76:77]
	s_cbranch_execz .LBB6_5779
; %bb.5772:                             ;   in Loop: Header=BB6_4475 Depth=2
	v_cmp_ne_u16_sdwa s[78:79], v3, s52 src0_sel:BYTE_0 src1_sel:DWORD
	v_bfrev_b32_e32 v6, 1
	s_and_saveexec_b64 s[76:77], s[78:79]
	s_cbranch_execz .LBB6_5778
; %bb.5773:                             ;   in Loop: Header=BB6_4475 Depth=2
	v_and_b32_e32 v6, 0x7c, v3
	v_and_b32_e32 v8, 3, v3
	v_cmp_ne_u32_e32 vcc, s50, v6
                                        ; implicit-def: $vgpr6
	s_and_saveexec_b64 s[78:79], vcc
	s_xor_b64 s[78:79], exec, s[78:79]
	s_cbranch_execz .LBB6_5775
; %bb.5774:                             ;   in Loop: Header=BB6_4475 Depth=2
	v_ffbh_u32_e32 v29, v8
	v_min_u32_e32 v29, 32, v29
	v_bfe_u32 v6, v3, 2, 5
	v_subrev_u32_e32 v32, 29, v29
	v_lshlrev_b64 v[36:37], v32, v[27:28]
	v_sub_u32_e32 v29, 30, v29
	v_cmp_eq_u32_e32 vcc, 0, v6
	v_cndmask_b32_e32 v6, v6, v29, vcc
	v_lshlrev_b32_e32 v29, 24, v3
	v_and_b32_e32 v32, 3, v36
	v_and_b32_e32 v29, 0x80000000, v29
	v_cndmask_b32_e32 v8, v8, v32, vcc
	v_lshl_add_u32 v6, v6, 23, v29
	v_lshl_or_b32 v6, v8, 21, v6
	v_add_u32_e32 v6, 0x38000000, v6
                                        ; implicit-def: $vgpr8
.LBB6_5775:                             ;   in Loop: Header=BB6_4475 Depth=2
	s_andn2_saveexec_b64 s[78:79], s[78:79]
; %bb.5776:                             ;   in Loop: Header=BB6_4475 Depth=2
	v_mov_b32_e32 v6, -1
	v_cmp_gt_i16_sdwa vcc, sext(v3), v6 src0_sel:BYTE_0 src1_sel:DWORD
	v_mov_b32_e32 v6, 0xff800000
	v_mov_b32_e32 v29, 0x7f800000
	v_cndmask_b32_e32 v6, v6, v29, vcc
	v_cmp_eq_u32_e32 vcc, 0, v8
	v_mov_b32_e32 v8, 0x7f800001
	v_cndmask_b32_e32 v6, v8, v6, vcc
; %bb.5777:                             ;   in Loop: Header=BB6_4475 Depth=2
	s_or_b64 exec, exec, s[78:79]
.LBB6_5778:                             ;   in Loop: Header=BB6_4475 Depth=2
	s_or_b64 exec, exec, s[76:77]
.LBB6_5779:                             ;   in Loop: Header=BB6_4475 Depth=2
	s_or_b64 exec, exec, s[18:19]
	v_cmp_ne_u16_sdwa s[76:77], v19, v28 src0_sel:BYTE_0 src1_sel:DWORD
	s_and_saveexec_b64 s[18:19], s[76:77]
	s_cbranch_execz .LBB6_5787
; %bb.5780:                             ;   in Loop: Header=BB6_4475 Depth=2
	v_cmp_ne_u16_sdwa s[78:79], v19, s52 src0_sel:BYTE_0 src1_sel:DWORD
	v_bfrev_b32_e32 v7, 1
	s_and_saveexec_b64 s[76:77], s[78:79]
	s_cbranch_execz .LBB6_5786
; %bb.5781:                             ;   in Loop: Header=BB6_4475 Depth=2
	v_and_b32_e32 v7, 0x7c, v19
	v_and_b32_e32 v8, 3, v19
	v_cmp_ne_u32_e32 vcc, s50, v7
                                        ; implicit-def: $vgpr7
	s_and_saveexec_b64 s[78:79], vcc
	s_xor_b64 s[78:79], exec, s[78:79]
	s_cbranch_execz .LBB6_5783
; %bb.5782:                             ;   in Loop: Header=BB6_4475 Depth=2
	v_ffbh_u32_e32 v29, v8
	v_min_u32_e32 v29, 32, v29
	v_mov_b32_e32 v36, v19
	v_mov_b32_e32 v37, v28
	v_bfe_u32 v7, v19, 2, 5
	v_subrev_u32_e32 v32, 29, v29
	v_lshlrev_b64 v[36:37], v32, v[36:37]
	v_sub_u32_e32 v29, 30, v29
	v_cmp_eq_u32_e32 vcc, 0, v7
	v_cndmask_b32_e32 v7, v7, v29, vcc
	v_lshlrev_b32_e32 v29, 24, v19
	v_and_b32_e32 v32, 3, v36
	v_and_b32_e32 v29, 0x80000000, v29
	v_cndmask_b32_e32 v8, v8, v32, vcc
	v_lshl_add_u32 v7, v7, 23, v29
	v_lshl_or_b32 v7, v8, 21, v7
	v_add_u32_e32 v7, 0x38000000, v7
                                        ; implicit-def: $vgpr8
.LBB6_5783:                             ;   in Loop: Header=BB6_4475 Depth=2
	s_andn2_saveexec_b64 s[78:79], s[78:79]
; %bb.5784:                             ;   in Loop: Header=BB6_4475 Depth=2
	v_mov_b32_e32 v7, -1
	v_cmp_gt_i16_sdwa vcc, sext(v19), v7 src0_sel:BYTE_0 src1_sel:DWORD
	v_mov_b32_e32 v7, 0xff800000
	v_mov_b32_e32 v29, 0x7f800000
	v_cndmask_b32_e32 v7, v7, v29, vcc
	v_cmp_eq_u32_e32 vcc, 0, v8
	v_mov_b32_e32 v8, 0x7f800001
	v_cndmask_b32_e32 v7, v8, v7, vcc
; %bb.5785:                             ;   in Loop: Header=BB6_4475 Depth=2
	s_or_b64 exec, exec, s[78:79]
.LBB6_5786:                             ;   in Loop: Header=BB6_4475 Depth=2
	s_or_b64 exec, exec, s[76:77]
.LBB6_5787:                             ;   in Loop: Header=BB6_4475 Depth=2
	s_or_b64 exec, exec, s[18:19]
	v_mul_f32_e32 v8, v6, v7
	v_and_b32_e32 v36, 0x7f800000, v8
	v_mov_b32_e32 v37, v28
	v_cmp_ne_u64_e32 vcc, s[58:59], v[36:37]
	v_and_b32_e32 v6, 0x7fffff, v8
	v_mov_b32_e32 v7, v28
                                        ; implicit-def: $vgpr29
	s_and_saveexec_b64 s[18:19], vcc
	s_xor_b64 s[76:77], exec, s[18:19]
	s_cbranch_execz .LBB6_5801
; %bb.5788:                             ;   in Loop: Header=BB6_4475 Depth=2
	v_and_b32_e32 v36, 0x7fffffff, v8
	v_mov_b32_e32 v37, v28
	v_cmp_gt_u64_e32 vcc, s[60:61], v[36:37]
	v_and_b32_sdwa v36, v8, s52 dst_sel:DWORD dst_unused:UNUSED_PAD src0_sel:BYTE_3 src1_sel:DWORD
                                        ; implicit-def: $vgpr29
	s_and_saveexec_b64 s[18:19], vcc
	s_xor_b64 s[78:79], exec, s[18:19]
	s_cbranch_execz .LBB6_5798
; %bb.5789:                             ;   in Loop: Header=BB6_4475 Depth=2
	v_mov_b32_e32 v29, 0
	v_cmp_ne_u32_e32 vcc, 0, v8
	s_and_saveexec_b64 s[88:89], vcc
	s_cbranch_execz .LBB6_5797
; %bb.5790:                             ;   in Loop: Header=BB6_4475 Depth=2
	v_bfe_u32 v29, v8, 23, 8
	v_cmp_gt_u32_e64 s[18:19], s53, v29
	v_sub_u32_e32 v8, 0x71, v29
	v_cmp_eq_u32_e32 vcc, 0, v29
	v_cndmask_b32_e64 v8, 0, v8, s[18:19]
	v_mov_b32_e32 v33, 0x70
	v_cndmask_b32_e32 v37, v8, v33, vcc
	v_add_u32_e32 v8, 21, v37
	v_or_b32_e32 v32, 0x800000, v6
	v_lshlrev_b64 v[38:39], v8, -1
	v_cndmask_b32_e32 v6, v32, v6, vcc
	v_add_u32_e32 v8, 20, v37
	v_bfi_b32 v38, v38, 0, v6
	v_lshlrev_b64 v[48:49], v8, 1
	v_lshrrev_b64 v[6:7], v37, v[6:7]
	v_bfi_b32 v39, v39, 0, 0
	v_cmp_eq_u64_e64 s[18:19], v[38:39], v[48:49]
	v_mov_b32_e32 v8, v7
	v_mov_b32_e32 v7, v6
	s_and_saveexec_b64 s[90:91], s[18:19]
; %bb.5791:                             ;   in Loop: Header=BB6_4475 Depth=2
	v_bfe_u32 v7, v6, 21, 1
	v_add_co_u32_e64 v7, s[18:19], v6, v7
	v_add_co_u32_e64 v7, s[18:19], -1, v7
; %bb.5792:                             ;   in Loop: Header=BB6_4475 Depth=2
	s_or_b64 exec, exec, s[90:91]
	v_add_u32_e32 v8, 0xffffff81, v29
	v_mov_b32_e32 v29, 0xffffff82
	v_cndmask_b32_e32 v8, v8, v29, vcc
	v_lshrrev_b32_e32 v29, 23, v6
	v_add3_u32 v37, v37, v8, v29
	v_add_u32_e32 v29, 14, v37
	v_and_b32_e32 v7, 0x1fffff, v7
	v_add_u32_e32 v6, v7, v6
	v_mov_b32_e32 v7, v28
	v_cmp_ne_u32_e32 vcc, 0, v29
                                        ; implicit-def: $vgpr8
	s_and_saveexec_b64 s[18:19], vcc
	s_xor_b64 s[18:19], exec, s[18:19]
; %bb.5793:                             ;   in Loop: Header=BB6_4475 Depth=2
	v_cmp_lt_u64_e32 vcc, s[62:63], v[6:7]
	v_add_u32_e32 v8, 15, v37
	v_cndmask_b32_e32 v8, v29, v8, vcc
	v_cndmask_b32_e64 v29, 0, 1, vcc
	v_lshrrev_b64 v[6:7], v29, v[6:7]
; %bb.5794:                             ;   in Loop: Header=BB6_4475 Depth=2
	s_andn2_saveexec_b64 s[18:19], s[18:19]
; %bb.5795:                             ;   in Loop: Header=BB6_4475 Depth=2
	v_bfe_u32 v8, v6, 23, 1
; %bb.5796:                             ;   in Loop: Header=BB6_4475 Depth=2
	s_or_b64 exec, exec, s[18:19]
	v_lshrrev_b64 v[6:7], 21, v[6:7]
	v_cmp_gt_i32_e32 vcc, 32, v8
	v_cndmask_b32_e32 v7, 0, v7, vcc
	v_cndmask_b32_e32 v6, 3, v6, vcc
	v_cmp_eq_u64_e64 s[18:19], 0, v[6:7]
	v_min_i32_e32 v7, 31, v8
	v_lshlrev_b32_e32 v7, 2, v7
	v_cmp_eq_u32_e32 vcc, 0, v8
	v_and_b32_e32 v7, 0xfc, v7
	v_and_or_b32 v6, v6, 3, v7
	s_and_b64 s[18:19], vcc, s[18:19]
	v_cndmask_b32_e64 v6, v6, 0, s[18:19]
	v_or_b32_e32 v29, v6, v36
.LBB6_5797:                             ;   in Loop: Header=BB6_4475 Depth=2
	s_or_b64 exec, exec, s[88:89]
                                        ; implicit-def: $vgpr36
.LBB6_5798:                             ;   in Loop: Header=BB6_4475 Depth=2
	s_andn2_saveexec_b64 s[18:19], s[78:79]
; %bb.5799:                             ;   in Loop: Header=BB6_4475 Depth=2
	v_or_b32_e32 v29, 0x7b, v36
; %bb.5800:                             ;   in Loop: Header=BB6_4475 Depth=2
	s_or_b64 exec, exec, s[18:19]
                                        ; implicit-def: $vgpr8
                                        ; implicit-def: $vgpr6_vgpr7
.LBB6_5801:                             ;   in Loop: Header=BB6_4475 Depth=2
	s_andn2_saveexec_b64 s[18:19], s[76:77]
	s_cbranch_execz .LBB6_5807
; %bb.5802:                             ;   in Loop: Header=BB6_4475 Depth=2
	v_cmp_ne_u64_e32 vcc, 0, v[6:7]
                                        ; implicit-def: $vgpr29
	s_and_saveexec_b64 s[76:77], vcc
	s_xor_b64 s[76:77], exec, s[76:77]
; %bb.5803:                             ;   in Loop: Header=BB6_4475 Depth=2
	v_or_b32_sdwa v29, v8, s54 dst_sel:DWORD dst_unused:UNUSED_PAD src0_sel:BYTE_3 src1_sel:DWORD
                                        ; implicit-def: $vgpr8
; %bb.5804:                             ;   in Loop: Header=BB6_4475 Depth=2
	s_andn2_saveexec_b64 s[76:77], s[76:77]
; %bb.5805:                             ;   in Loop: Header=BB6_4475 Depth=2
	v_cmp_lt_i32_e32 vcc, -1, v8
	v_bfrev_b32_e32 v6, 0.5
	v_mov_b32_e32 v7, 0x7c
	v_cndmask_b32_e32 v29, v6, v7, vcc
; %bb.5806:                             ;   in Loop: Header=BB6_4475 Depth=2
	s_or_b64 exec, exec, s[76:77]
.LBB6_5807:                             ;   in Loop: Header=BB6_4475 Depth=2
	s_or_b64 exec, exec, s[18:19]
	v_lshrrev_b16_e32 v6, 8, v27
	v_cmp_ne_u16_e32 vcc, 0, v6
	v_mov_b32_e32 v8, 0
	v_mov_b32_e32 v36, 0
	s_and_saveexec_b64 s[18:19], vcc
	s_cbranch_execz .LBB6_5815
; %bb.5808:                             ;   in Loop: Header=BB6_4475 Depth=2
	v_cmp_ne_u16_e32 vcc, s52, v6
	v_bfrev_b32_e32 v36, 1
	s_and_saveexec_b64 s[76:77], vcc
	s_cbranch_execz .LBB6_5814
; %bb.5809:                             ;   in Loop: Header=BB6_4475 Depth=2
	v_and_b32_e32 v7, 0x7c, v6
	v_and_b32_e32 v37, 3, v6
	v_cmp_ne_u32_e32 vcc, s50, v7
                                        ; implicit-def: $vgpr36
	s_and_saveexec_b64 s[78:79], vcc
	s_xor_b64 s[78:79], exec, s[78:79]
	s_cbranch_execz .LBB6_5811
; %bb.5810:                             ;   in Loop: Header=BB6_4475 Depth=2
	v_ffbh_u32_e32 v33, v37
	v_min_u32_e32 v33, 32, v33
	v_mov_b32_e32 v7, v28
	v_subrev_u32_e32 v36, 29, v33
	v_bfe_u32 v32, v6, 2, 5
	v_lshlrev_b64 v[6:7], v36, v[6:7]
	v_sub_u32_e32 v7, 30, v33
	v_cmp_eq_u32_e32 vcc, 0, v32
	v_lshlrev_b32_e32 v27, 16, v27
	v_and_b32_e32 v6, 3, v6
	v_cndmask_b32_e32 v7, v32, v7, vcc
	v_and_b32_e32 v27, 0x80000000, v27
	v_cndmask_b32_e32 v6, v37, v6, vcc
	v_lshl_add_u32 v7, v7, 23, v27
	v_lshl_or_b32 v6, v6, 21, v7
	v_add_u32_e32 v36, 0x38000000, v6
                                        ; implicit-def: $vgpr37
.LBB6_5811:                             ;   in Loop: Header=BB6_4475 Depth=2
	s_andn2_saveexec_b64 s[78:79], s[78:79]
; %bb.5812:                             ;   in Loop: Header=BB6_4475 Depth=2
	v_cmp_lt_i16_e32 vcc, -1, v27
	v_mov_b32_e32 v6, 0xff800000
	v_mov_b32_e32 v7, 0x7f800000
	v_cndmask_b32_e32 v6, v6, v7, vcc
	v_cmp_eq_u32_e32 vcc, 0, v37
	v_mov_b32_e32 v7, 0x7f800001
	v_cndmask_b32_e32 v36, v7, v6, vcc
; %bb.5813:                             ;   in Loop: Header=BB6_4475 Depth=2
	s_or_b64 exec, exec, s[78:79]
.LBB6_5814:                             ;   in Loop: Header=BB6_4475 Depth=2
	s_or_b64 exec, exec, s[76:77]
.LBB6_5815:                             ;   in Loop: Header=BB6_4475 Depth=2
	s_or_b64 exec, exec, s[18:19]
	v_lshrrev_b16_e32 v6, 8, v19
	v_cmp_ne_u16_e32 vcc, 0, v6
	s_and_saveexec_b64 s[18:19], vcc
	s_cbranch_execz .LBB6_5823
; %bb.5816:                             ;   in Loop: Header=BB6_4475 Depth=2
	v_cmp_ne_u16_e32 vcc, s52, v6
	v_bfrev_b32_e32 v8, 1
	s_and_saveexec_b64 s[76:77], vcc
	s_cbranch_execz .LBB6_5822
; %bb.5817:                             ;   in Loop: Header=BB6_4475 Depth=2
	v_and_b32_e32 v7, 0x7c, v6
	v_and_b32_e32 v27, 3, v6
	v_cmp_ne_u32_e32 vcc, s50, v7
                                        ; implicit-def: $vgpr8
	s_and_saveexec_b64 s[78:79], vcc
	s_xor_b64 s[78:79], exec, s[78:79]
	s_cbranch_execz .LBB6_5819
; %bb.5818:                             ;   in Loop: Header=BB6_4475 Depth=2
	v_ffbh_u32_e32 v32, v27
	v_min_u32_e32 v32, 32, v32
	v_mov_b32_e32 v7, v28
	v_subrev_u32_e32 v33, 29, v32
	v_bfe_u32 v8, v6, 2, 5
	v_lshlrev_b64 v[6:7], v33, v[6:7]
	v_sub_u32_e32 v7, 30, v32
	v_cmp_eq_u32_e32 vcc, 0, v8
	v_cndmask_b32_e32 v7, v8, v7, vcc
	v_lshlrev_b32_e32 v8, 16, v19
	v_and_b32_e32 v6, 3, v6
	v_and_b32_e32 v8, 0x80000000, v8
	v_cndmask_b32_e32 v6, v27, v6, vcc
	v_lshl_add_u32 v7, v7, 23, v8
	v_lshl_or_b32 v6, v6, 21, v7
	v_add_u32_e32 v8, 0x38000000, v6
                                        ; implicit-def: $vgpr27
.LBB6_5819:                             ;   in Loop: Header=BB6_4475 Depth=2
	s_andn2_saveexec_b64 s[78:79], s[78:79]
; %bb.5820:                             ;   in Loop: Header=BB6_4475 Depth=2
	v_cmp_lt_i16_e32 vcc, -1, v19
	v_mov_b32_e32 v6, 0xff800000
	v_mov_b32_e32 v7, 0x7f800000
	v_cndmask_b32_e32 v6, v6, v7, vcc
	v_cmp_eq_u32_e32 vcc, 0, v27
	v_mov_b32_e32 v7, 0x7f800001
	v_cndmask_b32_e32 v8, v7, v6, vcc
; %bb.5821:                             ;   in Loop: Header=BB6_4475 Depth=2
	s_or_b64 exec, exec, s[78:79]
.LBB6_5822:                             ;   in Loop: Header=BB6_4475 Depth=2
	s_or_b64 exec, exec, s[76:77]
.LBB6_5823:                             ;   in Loop: Header=BB6_4475 Depth=2
	s_or_b64 exec, exec, s[18:19]
	v_mul_f32_e32 v6, v36, v8
	v_and_b32_e32 v7, 0x7f800000, v6
	v_mov_b32_e32 v8, v28
	v_cmp_ne_u64_e32 vcc, s[58:59], v[7:8]
	v_and_b32_e32 v27, 0x7fffff, v6
                                        ; implicit-def: $vgpr40
	s_and_saveexec_b64 s[18:19], vcc
	s_xor_b64 s[76:77], exec, s[18:19]
	s_cbranch_execz .LBB6_5837
; %bb.5824:                             ;   in Loop: Header=BB6_4475 Depth=2
	v_and_b32_e32 v7, 0x7fffffff, v6
	v_mov_b32_e32 v8, v28
	v_cmp_gt_u64_e32 vcc, s[60:61], v[7:8]
	v_and_b32_sdwa v36, v6, s52 dst_sel:DWORD dst_unused:UNUSED_PAD src0_sel:BYTE_3 src1_sel:DWORD
                                        ; implicit-def: $vgpr40
	s_and_saveexec_b64 s[18:19], vcc
	s_xor_b64 s[78:79], exec, s[18:19]
	s_cbranch_execz .LBB6_5834
; %bb.5825:                             ;   in Loop: Header=BB6_4475 Depth=2
	v_mov_b32_e32 v40, 0
	v_cmp_ne_u32_e32 vcc, 0, v6
	s_and_saveexec_b64 s[88:89], vcc
	s_cbranch_execz .LBB6_5833
; %bb.5826:                             ;   in Loop: Header=BB6_4475 Depth=2
	v_bfe_u32 v37, v6, 23, 8
	v_cmp_gt_u32_e64 s[18:19], s53, v37
	v_sub_u32_e32 v6, 0x71, v37
	v_cmp_eq_u32_e32 vcc, 0, v37
	v_cndmask_b32_e64 v6, 0, v6, s[18:19]
	v_mov_b32_e32 v8, 0x70
	v_cndmask_b32_e32 v38, v6, v8, vcc
	v_add_u32_e32 v8, 21, v38
	v_or_b32_e32 v7, 0x800000, v27
	v_lshlrev_b64 v[48:49], v8, -1
	v_cndmask_b32_e32 v6, v7, v27, vcc
	v_mov_b32_e32 v7, v28
	v_add_u32_e32 v8, 20, v38
	v_bfi_b32 v48, v48, 0, v6
	v_lshlrev_b64 v[39:40], v8, 1
	v_lshrrev_b64 v[6:7], v38, v[6:7]
	v_bfi_b32 v49, v49, 0, 0
	v_cmp_eq_u64_e64 s[18:19], v[48:49], v[39:40]
	v_mov_b32_e32 v8, v7
	v_mov_b32_e32 v7, v6
	s_and_saveexec_b64 s[90:91], s[18:19]
; %bb.5827:                             ;   in Loop: Header=BB6_4475 Depth=2
	v_bfe_u32 v7, v6, 21, 1
	v_add_co_u32_e64 v7, s[18:19], v6, v7
	v_add_co_u32_e64 v7, s[18:19], -1, v7
; %bb.5828:                             ;   in Loop: Header=BB6_4475 Depth=2
	s_or_b64 exec, exec, s[90:91]
	v_add_u32_e32 v8, 0xffffff81, v37
	v_mov_b32_e32 v27, 0xffffff82
	v_cndmask_b32_e32 v8, v8, v27, vcc
	v_lshrrev_b32_e32 v27, 23, v6
	v_add3_u32 v38, v38, v8, v27
	v_add_u32_e32 v37, 14, v38
	v_and_b32_e32 v7, 0x1fffff, v7
	v_add_u32_e32 v27, v7, v6
	v_cmp_ne_u32_e32 vcc, 0, v37
                                        ; implicit-def: $vgpr6_vgpr7
                                        ; implicit-def: $vgpr8
	s_and_saveexec_b64 s[18:19], vcc
	s_xor_b64 s[18:19], exec, s[18:19]
; %bb.5829:                             ;   in Loop: Header=BB6_4475 Depth=2
	v_cmp_lt_u64_e32 vcc, s[62:63], v[27:28]
	v_add_u32_e32 v6, 15, v38
	v_cndmask_b32_e32 v8, v37, v6, vcc
	v_cndmask_b32_e64 v6, 0, 1, vcc
	v_lshrrev_b64 v[6:7], v6, v[27:28]
; %bb.5830:                             ;   in Loop: Header=BB6_4475 Depth=2
	s_andn2_saveexec_b64 s[18:19], s[18:19]
; %bb.5831:                             ;   in Loop: Header=BB6_4475 Depth=2
	v_mov_b32_e32 v6, v27
	v_mov_b32_e32 v7, v28
	v_bfe_u32 v8, v27, 23, 1
; %bb.5832:                             ;   in Loop: Header=BB6_4475 Depth=2
	s_or_b64 exec, exec, s[18:19]
	v_lshrrev_b64 v[6:7], 21, v[6:7]
	v_cmp_gt_i32_e32 vcc, 32, v8
	v_cndmask_b32_e32 v7, 0, v7, vcc
	v_cndmask_b32_e32 v6, 3, v6, vcc
	v_cmp_eq_u64_e64 s[18:19], 0, v[6:7]
	v_min_i32_e32 v7, 31, v8
	v_lshlrev_b32_e32 v7, 2, v7
	v_cmp_eq_u32_e32 vcc, 0, v8
	v_and_b32_e32 v7, 0xfc, v7
	v_and_or_b32 v6, v6, 3, v7
	s_and_b64 s[18:19], vcc, s[18:19]
	v_cndmask_b32_e64 v6, v6, 0, s[18:19]
	v_or_b32_e32 v40, v6, v36
.LBB6_5833:                             ;   in Loop: Header=BB6_4475 Depth=2
	s_or_b64 exec, exec, s[88:89]
                                        ; implicit-def: $vgpr36
.LBB6_5834:                             ;   in Loop: Header=BB6_4475 Depth=2
	s_andn2_saveexec_b64 s[18:19], s[78:79]
; %bb.5835:                             ;   in Loop: Header=BB6_4475 Depth=2
	v_or_b32_e32 v40, 0x7b, v36
; %bb.5836:                             ;   in Loop: Header=BB6_4475 Depth=2
	s_or_b64 exec, exec, s[18:19]
                                        ; implicit-def: $vgpr6
.LBB6_5837:                             ;   in Loop: Header=BB6_4475 Depth=2
	s_andn2_saveexec_b64 s[18:19], s[76:77]
	s_cbranch_execz .LBB6_5843
; %bb.5838:                             ;   in Loop: Header=BB6_4475 Depth=2
	v_cmp_ne_u64_e32 vcc, 0, v[27:28]
                                        ; implicit-def: $vgpr40
	s_and_saveexec_b64 s[76:77], vcc
	s_xor_b64 s[76:77], exec, s[76:77]
; %bb.5839:                             ;   in Loop: Header=BB6_4475 Depth=2
	v_or_b32_sdwa v40, v6, s54 dst_sel:DWORD dst_unused:UNUSED_PAD src0_sel:BYTE_3 src1_sel:DWORD
                                        ; implicit-def: $vgpr6
; %bb.5840:                             ;   in Loop: Header=BB6_4475 Depth=2
	s_andn2_saveexec_b64 s[76:77], s[76:77]
; %bb.5841:                             ;   in Loop: Header=BB6_4475 Depth=2
	v_cmp_lt_i32_e32 vcc, -1, v6
	v_bfrev_b32_e32 v6, 0.5
	v_mov_b32_e32 v7, 0x7c
	v_cndmask_b32_e32 v40, v6, v7, vcc
; %bb.5842:                             ;   in Loop: Header=BB6_4475 Depth=2
	s_or_b64 exec, exec, s[76:77]
.LBB6_5843:                             ;   in Loop: Header=BB6_4475 Depth=2
	s_or_b64 exec, exec, s[18:19]
	v_lshrrev_b32_e32 v6, 16, v3
	v_cmp_ne_u16_sdwa s[76:77], v6, v28 src0_sel:BYTE_0 src1_sel:DWORD
	v_mov_b32_e32 v7, 0
	v_mov_b32_e32 v8, 0
	s_and_saveexec_b64 s[18:19], s[76:77]
	s_cbranch_execz .LBB6_5851
; %bb.5844:                             ;   in Loop: Header=BB6_4475 Depth=2
	v_cmp_ne_u16_sdwa s[78:79], v6, s52 src0_sel:BYTE_0 src1_sel:DWORD
	v_bfrev_b32_e32 v8, 1
	s_and_saveexec_b64 s[76:77], s[78:79]
	s_cbranch_execz .LBB6_5850
; %bb.5845:                             ;   in Loop: Header=BB6_4475 Depth=2
	v_and_b32_e32 v8, 0x7c0000, v3
	v_bfe_u32 v27, v3, 16, 2
	v_cmp_ne_u32_e32 vcc, s55, v8
                                        ; implicit-def: $vgpr8
	s_and_saveexec_b64 s[78:79], vcc
	s_xor_b64 s[78:79], exec, s[78:79]
	s_cbranch_execz .LBB6_5847
; %bb.5846:                             ;   in Loop: Header=BB6_4475 Depth=2
	v_ffbh_u32_e32 v32, v27
	v_min_u32_e32 v32, 32, v32
	v_subrev_u32_e32 v33, 29, v32
	v_lshlrev_b64 v[36:37], v33, v[6:7]
	v_bfe_u32 v8, v3, 18, 5
	v_sub_u32_e32 v6, 30, v32
	v_and_b32_e32 v32, 3, v36
	v_cmp_eq_u32_e32 vcc, 0, v8
	v_cndmask_b32_e32 v6, v8, v6, vcc
	v_cndmask_b32_e32 v8, v27, v32, vcc
	v_lshlrev_b32_e32 v27, 8, v3
	v_and_b32_e32 v27, 0x80000000, v27
	v_lshl_add_u32 v6, v6, 23, v27
	v_lshl_or_b32 v6, v8, 21, v6
	v_add_u32_e32 v8, 0x38000000, v6
                                        ; implicit-def: $vgpr27
                                        ; implicit-def: $vgpr6
.LBB6_5847:                             ;   in Loop: Header=BB6_4475 Depth=2
	s_andn2_saveexec_b64 s[78:79], s[78:79]
; %bb.5848:                             ;   in Loop: Header=BB6_4475 Depth=2
	v_mov_b32_e32 v8, -1
	v_cmp_gt_i16_sdwa vcc, sext(v6), v8 src0_sel:BYTE_0 src1_sel:DWORD
	v_mov_b32_e32 v6, 0xff800000
	v_mov_b32_e32 v8, 0x7f800000
	v_cndmask_b32_e32 v6, v6, v8, vcc
	v_cmp_eq_u32_e32 vcc, 0, v27
	v_mov_b32_e32 v8, 0x7f800001
	v_cndmask_b32_e32 v8, v8, v6, vcc
; %bb.5849:                             ;   in Loop: Header=BB6_4475 Depth=2
	s_or_b64 exec, exec, s[78:79]
.LBB6_5850:                             ;   in Loop: Header=BB6_4475 Depth=2
	s_or_b64 exec, exec, s[76:77]
.LBB6_5851:                             ;   in Loop: Header=BB6_4475 Depth=2
	s_or_b64 exec, exec, s[18:19]
	v_lshrrev_b32_e32 v6, 16, v19
	v_cmp_ne_u16_sdwa s[76:77], v6, v28 src0_sel:BYTE_0 src1_sel:DWORD
	s_and_saveexec_b64 s[18:19], s[76:77]
	s_cbranch_execz .LBB6_5859
; %bb.5852:                             ;   in Loop: Header=BB6_4475 Depth=2
	v_cmp_ne_u16_sdwa s[78:79], v6, s52 src0_sel:BYTE_0 src1_sel:DWORD
	v_bfrev_b32_e32 v7, 1
	s_and_saveexec_b64 s[76:77], s[78:79]
	s_cbranch_execz .LBB6_5858
; %bb.5853:                             ;   in Loop: Header=BB6_4475 Depth=2
	v_and_b32_e32 v7, 0x7c0000, v19
	v_bfe_u32 v27, v19, 16, 2
	v_cmp_ne_u32_e32 vcc, s55, v7
                                        ; implicit-def: $vgpr7
	s_and_saveexec_b64 s[78:79], vcc
	s_xor_b64 s[78:79], exec, s[78:79]
	s_cbranch_execz .LBB6_5855
; %bb.5854:                             ;   in Loop: Header=BB6_4475 Depth=2
	v_ffbh_u32_e32 v7, v27
	v_min_u32_e32 v33, 32, v7
	v_subrev_u32_e32 v7, 29, v33
	v_lshlrev_b64 v[6:7], v7, v[6:7]
	v_bfe_u32 v32, v19, 18, 5
	v_and_b32_e32 v6, 3, v6
	v_cmp_eq_u32_e32 vcc, 0, v32
	v_sub_u32_e32 v7, 30, v33
	v_cndmask_b32_e32 v6, v27, v6, vcc
	v_lshlrev_b32_e32 v27, 8, v19
	v_cndmask_b32_e32 v7, v32, v7, vcc
	v_and_b32_e32 v27, 0x80000000, v27
	v_lshl_add_u32 v7, v7, 23, v27
	v_lshl_or_b32 v6, v6, 21, v7
	v_add_u32_e32 v7, 0x38000000, v6
                                        ; implicit-def: $vgpr27
                                        ; implicit-def: $vgpr6
.LBB6_5855:                             ;   in Loop: Header=BB6_4475 Depth=2
	s_andn2_saveexec_b64 s[78:79], s[78:79]
; %bb.5856:                             ;   in Loop: Header=BB6_4475 Depth=2
	v_mov_b32_e32 v7, -1
	v_cmp_gt_i16_sdwa vcc, sext(v6), v7 src0_sel:BYTE_0 src1_sel:DWORD
	v_mov_b32_e32 v6, 0xff800000
	v_mov_b32_e32 v7, 0x7f800000
	v_cndmask_b32_e32 v6, v6, v7, vcc
	v_cmp_eq_u32_e32 vcc, 0, v27
	v_mov_b32_e32 v7, 0x7f800001
	v_cndmask_b32_e32 v7, v7, v6, vcc
; %bb.5857:                             ;   in Loop: Header=BB6_4475 Depth=2
	s_or_b64 exec, exec, s[78:79]
.LBB6_5858:                             ;   in Loop: Header=BB6_4475 Depth=2
	s_or_b64 exec, exec, s[76:77]
.LBB6_5859:                             ;   in Loop: Header=BB6_4475 Depth=2
	s_or_b64 exec, exec, s[18:19]
	v_mul_f32_e32 v6, v8, v7
	v_and_b32_e32 v7, 0x7f800000, v6
	v_mov_b32_e32 v8, v28
	v_cmp_ne_u64_e32 vcc, s[58:59], v[7:8]
	v_and_b32_e32 v27, 0x7fffff, v6
                                        ; implicit-def: $vgpr8
	s_and_saveexec_b64 s[18:19], vcc
	s_xor_b64 s[76:77], exec, s[18:19]
	s_cbranch_execz .LBB6_5873
; %bb.5860:                             ;   in Loop: Header=BB6_4475 Depth=2
	v_and_b32_e32 v7, 0x7fffffff, v6
	v_mov_b32_e32 v8, v28
	v_cmp_gt_u64_e32 vcc, s[60:61], v[7:8]
	v_and_b32_sdwa v36, v6, s52 dst_sel:DWORD dst_unused:UNUSED_PAD src0_sel:BYTE_3 src1_sel:DWORD
                                        ; implicit-def: $vgpr8
	s_and_saveexec_b64 s[18:19], vcc
	s_xor_b64 s[78:79], exec, s[18:19]
	s_cbranch_execz .LBB6_5870
; %bb.5861:                             ;   in Loop: Header=BB6_4475 Depth=2
	v_mov_b32_e32 v8, 0
	v_cmp_ne_u32_e32 vcc, 0, v6
	s_and_saveexec_b64 s[88:89], vcc
	s_cbranch_execz .LBB6_5869
; %bb.5862:                             ;   in Loop: Header=BB6_4475 Depth=2
	v_bfe_u32 v37, v6, 23, 8
	v_cmp_gt_u32_e64 s[18:19], s53, v37
	v_sub_u32_e32 v6, 0x71, v37
	v_cmp_eq_u32_e32 vcc, 0, v37
	v_cndmask_b32_e64 v6, 0, v6, s[18:19]
	v_mov_b32_e32 v8, 0x70
	v_cndmask_b32_e32 v38, v6, v8, vcc
	v_add_u32_e32 v8, 21, v38
	v_or_b32_e32 v7, 0x800000, v27
	v_lshlrev_b64 v[48:49], v8, -1
	v_cndmask_b32_e32 v6, v7, v27, vcc
	v_mov_b32_e32 v7, v28
	v_add_u32_e32 v8, 20, v38
	v_bfi_b32 v48, v48, 0, v6
	v_lshlrev_b64 v[41:42], v8, 1
	v_lshrrev_b64 v[6:7], v38, v[6:7]
	v_bfi_b32 v49, v49, 0, 0
	v_cmp_eq_u64_e64 s[18:19], v[48:49], v[41:42]
	v_mov_b32_e32 v8, v7
	v_mov_b32_e32 v7, v6
	s_and_saveexec_b64 s[90:91], s[18:19]
; %bb.5863:                             ;   in Loop: Header=BB6_4475 Depth=2
	v_bfe_u32 v7, v6, 21, 1
	v_add_co_u32_e64 v7, s[18:19], v6, v7
	v_add_co_u32_e64 v7, s[18:19], -1, v7
; %bb.5864:                             ;   in Loop: Header=BB6_4475 Depth=2
	s_or_b64 exec, exec, s[90:91]
	v_add_u32_e32 v8, 0xffffff81, v37
	v_mov_b32_e32 v27, 0xffffff82
	v_cndmask_b32_e32 v8, v8, v27, vcc
	v_lshrrev_b32_e32 v27, 23, v6
	v_add3_u32 v38, v38, v8, v27
	v_add_u32_e32 v37, 14, v38
	v_and_b32_e32 v7, 0x1fffff, v7
	v_add_u32_e32 v27, v7, v6
	v_cmp_ne_u32_e32 vcc, 0, v37
                                        ; implicit-def: $vgpr6_vgpr7
                                        ; implicit-def: $vgpr8
	s_and_saveexec_b64 s[18:19], vcc
	s_xor_b64 s[18:19], exec, s[18:19]
; %bb.5865:                             ;   in Loop: Header=BB6_4475 Depth=2
	v_cmp_lt_u64_e32 vcc, s[62:63], v[27:28]
	v_add_u32_e32 v6, 15, v38
	v_cndmask_b32_e32 v8, v37, v6, vcc
	v_cndmask_b32_e64 v6, 0, 1, vcc
	v_lshrrev_b64 v[6:7], v6, v[27:28]
; %bb.5866:                             ;   in Loop: Header=BB6_4475 Depth=2
	s_andn2_saveexec_b64 s[18:19], s[18:19]
; %bb.5867:                             ;   in Loop: Header=BB6_4475 Depth=2
	v_mov_b32_e32 v6, v27
	v_mov_b32_e32 v7, v28
	v_bfe_u32 v8, v27, 23, 1
; %bb.5868:                             ;   in Loop: Header=BB6_4475 Depth=2
	s_or_b64 exec, exec, s[18:19]
	v_lshrrev_b64 v[6:7], 21, v[6:7]
	v_cmp_gt_i32_e32 vcc, 32, v8
	v_cndmask_b32_e32 v7, 0, v7, vcc
	v_cndmask_b32_e32 v6, 3, v6, vcc
	v_cmp_eq_u64_e64 s[18:19], 0, v[6:7]
	v_min_i32_e32 v7, 31, v8
	v_lshlrev_b32_e32 v7, 2, v7
	v_cmp_eq_u32_e32 vcc, 0, v8
	v_and_b32_e32 v7, 0xfc, v7
	v_and_or_b32 v6, v6, 3, v7
	s_and_b64 s[18:19], vcc, s[18:19]
	v_cndmask_b32_e64 v6, v6, 0, s[18:19]
	v_or_b32_e32 v8, v6, v36
.LBB6_5869:                             ;   in Loop: Header=BB6_4475 Depth=2
	s_or_b64 exec, exec, s[88:89]
                                        ; implicit-def: $vgpr36
.LBB6_5870:                             ;   in Loop: Header=BB6_4475 Depth=2
	s_andn2_saveexec_b64 s[18:19], s[78:79]
; %bb.5871:                             ;   in Loop: Header=BB6_4475 Depth=2
	v_or_b32_e32 v8, 0x7b, v36
; %bb.5872:                             ;   in Loop: Header=BB6_4475 Depth=2
	s_or_b64 exec, exec, s[18:19]
                                        ; implicit-def: $vgpr6
.LBB6_5873:                             ;   in Loop: Header=BB6_4475 Depth=2
	s_andn2_saveexec_b64 s[18:19], s[76:77]
	s_cbranch_execz .LBB6_5879
; %bb.5874:                             ;   in Loop: Header=BB6_4475 Depth=2
	v_cmp_ne_u64_e32 vcc, 0, v[27:28]
                                        ; implicit-def: $vgpr8
	s_and_saveexec_b64 s[76:77], vcc
	s_xor_b64 s[76:77], exec, s[76:77]
; %bb.5875:                             ;   in Loop: Header=BB6_4475 Depth=2
	v_or_b32_sdwa v8, v6, s54 dst_sel:DWORD dst_unused:UNUSED_PAD src0_sel:BYTE_3 src1_sel:DWORD
                                        ; implicit-def: $vgpr6
; %bb.5876:                             ;   in Loop: Header=BB6_4475 Depth=2
	s_andn2_saveexec_b64 s[76:77], s[76:77]
; %bb.5877:                             ;   in Loop: Header=BB6_4475 Depth=2
	v_cmp_lt_i32_e32 vcc, -1, v6
	v_bfrev_b32_e32 v6, 0.5
	v_mov_b32_e32 v7, 0x7c
	v_cndmask_b32_e32 v8, v6, v7, vcc
; %bb.5878:                             ;   in Loop: Header=BB6_4475 Depth=2
	s_or_b64 exec, exec, s[76:77]
.LBB6_5879:                             ;   in Loop: Header=BB6_4475 Depth=2
	s_or_b64 exec, exec, s[18:19]
	v_cmp_lt_u64_e32 vcc, s[56:57], v[2:3]
	v_mov_b32_e32 v7, 0
	v_mov_b32_e32 v27, 0
	s_and_saveexec_b64 s[18:19], vcc
	s_cbranch_execz .LBB6_5887
; %bb.5880:                             ;   in Loop: Header=BB6_4475 Depth=2
	v_lshrrev_b32_e32 v6, 24, v3
	v_cmp_ne_u32_e32 vcc, s52, v6
	v_bfrev_b32_e32 v27, 1
	s_and_saveexec_b64 s[76:77], vcc
	s_cbranch_execz .LBB6_5886
; %bb.5881:                             ;   in Loop: Header=BB6_4475 Depth=2
	v_and_b32_e32 v27, 0x7c000000, v3
	v_bfe_u32 v36, v3, 24, 2
	v_cmp_ne_u32_e32 vcc, s64, v27
                                        ; implicit-def: $vgpr27
	s_and_saveexec_b64 s[78:79], vcc
	s_xor_b64 s[78:79], exec, s[78:79]
	s_cbranch_execz .LBB6_5883
; %bb.5882:                             ;   in Loop: Header=BB6_4475 Depth=2
	v_ffbh_u32_e32 v32, v36
	v_min_u32_e32 v32, 32, v32
	v_subrev_u32_e32 v33, 29, v32
	v_lshlrev_b64 v[37:38], v33, v[6:7]
	v_bfe_u32 v27, v3, 26, 5
	v_sub_u32_e32 v6, 30, v32
	v_and_b32_e32 v32, 3, v37
	v_cmp_eq_u32_e32 vcc, 0, v27
	v_cndmask_b32_e32 v6, v27, v6, vcc
	v_cndmask_b32_e32 v27, v36, v32, vcc
	v_and_b32_e32 v32, 0x80000000, v3
	v_lshl_add_u32 v6, v6, 23, v32
	v_lshl_or_b32 v6, v27, 21, v6
	v_add_u32_e32 v27, 0x38000000, v6
                                        ; implicit-def: $vgpr36
.LBB6_5883:                             ;   in Loop: Header=BB6_4475 Depth=2
	s_andn2_saveexec_b64 s[78:79], s[78:79]
; %bb.5884:                             ;   in Loop: Header=BB6_4475 Depth=2
	v_cmp_lt_i64_e32 vcc, -1, v[2:3]
	v_mov_b32_e32 v2, 0xff800000
	v_mov_b32_e32 v3, 0x7f800000
	v_cndmask_b32_e32 v2, v2, v3, vcc
	v_cmp_eq_u32_e32 vcc, 0, v36
	v_mov_b32_e32 v3, 0x7f800001
	v_cndmask_b32_e32 v27, v3, v2, vcc
; %bb.5885:                             ;   in Loop: Header=BB6_4475 Depth=2
	s_or_b64 exec, exec, s[78:79]
.LBB6_5886:                             ;   in Loop: Header=BB6_4475 Depth=2
	s_or_b64 exec, exec, s[76:77]
.LBB6_5887:                             ;   in Loop: Header=BB6_4475 Depth=2
	s_or_b64 exec, exec, s[18:19]
	v_cmp_lt_u64_e32 vcc, s[56:57], v[18:19]
	s_and_saveexec_b64 s[18:19], vcc
	s_cbranch_execz .LBB6_5895
; %bb.5888:                             ;   in Loop: Header=BB6_4475 Depth=2
	v_lshrrev_b32_e32 v2, 24, v19
	v_cmp_ne_u32_e32 vcc, s52, v2
	v_bfrev_b32_e32 v7, 1
	s_and_saveexec_b64 s[76:77], vcc
	s_cbranch_execz .LBB6_5894
; %bb.5889:                             ;   in Loop: Header=BB6_4475 Depth=2
	v_and_b32_e32 v6, 0x7c000000, v19
	v_bfe_u32 v3, v19, 24, 2
	v_cmp_ne_u32_e32 vcc, s64, v6
                                        ; implicit-def: $vgpr7
	s_and_saveexec_b64 s[78:79], vcc
	s_xor_b64 s[78:79], exec, s[78:79]
	s_cbranch_execz .LBB6_5891
; %bb.5890:                             ;   in Loop: Header=BB6_4475 Depth=2
	v_ffbh_u32_e32 v6, v3
	v_min_u32_e32 v33, 32, v6
	v_subrev_u32_e32 v6, 29, v33
	v_lshlrev_b64 v[6:7], v6, v[2:3]
	v_bfe_u32 v32, v19, 26, 5
	v_sub_u32_e32 v2, 30, v33
	v_and_b32_e32 v6, 3, v6
	v_cmp_eq_u32_e32 vcc, 0, v32
	v_cndmask_b32_e32 v2, v32, v2, vcc
	v_cndmask_b32_e32 v3, v3, v6, vcc
	v_and_b32_e32 v6, 0x80000000, v19
	v_lshl_add_u32 v2, v2, 23, v6
	v_lshl_or_b32 v2, v3, 21, v2
	v_add_u32_e32 v7, 0x38000000, v2
                                        ; implicit-def: $vgpr3
.LBB6_5891:                             ;   in Loop: Header=BB6_4475 Depth=2
	s_andn2_saveexec_b64 s[78:79], s[78:79]
; %bb.5892:                             ;   in Loop: Header=BB6_4475 Depth=2
	v_cmp_lt_i64_e32 vcc, -1, v[18:19]
	v_mov_b32_e32 v2, 0xff800000
	v_mov_b32_e32 v6, 0x7f800000
	v_cndmask_b32_e32 v2, v2, v6, vcc
	v_cmp_eq_u32_e32 vcc, 0, v3
	v_mov_b32_e32 v3, 0x7f800001
	v_cndmask_b32_e32 v7, v3, v2, vcc
; %bb.5893:                             ;   in Loop: Header=BB6_4475 Depth=2
	s_or_b64 exec, exec, s[78:79]
.LBB6_5894:                             ;   in Loop: Header=BB6_4475 Depth=2
	s_or_b64 exec, exec, s[76:77]
.LBB6_5895:                             ;   in Loop: Header=BB6_4475 Depth=2
	s_or_b64 exec, exec, s[18:19]
	v_mul_f32_e32 v2, v27, v7
	v_and_b32_e32 v6, 0x7f800000, v2
	v_mov_b32_e32 v7, v28
	v_cmp_ne_u64_e32 vcc, s[58:59], v[6:7]
	v_and_b32_e32 v27, 0x7fffff, v2
                                        ; implicit-def: $vgpr18
	s_and_saveexec_b64 s[18:19], vcc
	s_xor_b64 s[76:77], exec, s[18:19]
	s_cbranch_execz .LBB6_5909
; %bb.5896:                             ;   in Loop: Header=BB6_4475 Depth=2
	v_and_b32_e32 v6, 0x7fffffff, v2
	v_mov_b32_e32 v7, v28
	v_cmp_gt_u64_e32 vcc, s[60:61], v[6:7]
	v_and_b32_sdwa v19, v2, s52 dst_sel:DWORD dst_unused:UNUSED_PAD src0_sel:BYTE_3 src1_sel:DWORD
                                        ; implicit-def: $vgpr18
	s_and_saveexec_b64 s[18:19], vcc
	s_xor_b64 s[78:79], exec, s[18:19]
	s_cbranch_execz .LBB6_5906
; %bb.5897:                             ;   in Loop: Header=BB6_4475 Depth=2
	v_mov_b32_e32 v18, 0
	v_cmp_ne_u32_e32 vcc, 0, v2
	s_and_saveexec_b64 s[88:89], vcc
	s_cbranch_execz .LBB6_5905
; %bb.5898:                             ;   in Loop: Header=BB6_4475 Depth=2
	v_bfe_u32 v18, v2, 23, 8
	v_cmp_gt_u32_e64 s[18:19], s53, v18
	v_sub_u32_e32 v2, 0x71, v18
	v_cmp_eq_u32_e32 vcc, 0, v18
	v_cndmask_b32_e64 v2, 0, v2, s[18:19]
	v_mov_b32_e32 v6, 0x70
	v_cndmask_b32_e32 v36, v2, v6, vcc
	v_add_u32_e32 v6, 21, v36
	v_or_b32_e32 v3, 0x800000, v27
	v_lshlrev_b64 v[6:7], v6, -1
	v_cndmask_b32_e32 v2, v3, v27, vcc
	v_mov_b32_e32 v3, v28
	v_add_u32_e32 v27, 20, v36
	v_bfi_b32 v6, v6, 0, v2
	v_lshlrev_b64 v[37:38], v27, 1
	v_lshrrev_b64 v[2:3], v36, v[2:3]
	v_bfi_b32 v7, v7, 0, 0
	v_cmp_eq_u64_e64 s[18:19], v[6:7], v[37:38]
	v_mov_b32_e32 v7, v3
	v_mov_b32_e32 v6, v2
	s_and_saveexec_b64 s[90:91], s[18:19]
; %bb.5899:                             ;   in Loop: Header=BB6_4475 Depth=2
	v_bfe_u32 v3, v2, 21, 1
	v_add_co_u32_e64 v3, s[18:19], v2, v3
	v_add_co_u32_e64 v6, s[18:19], -1, v3
; %bb.5900:                             ;   in Loop: Header=BB6_4475 Depth=2
	s_or_b64 exec, exec, s[90:91]
	v_add_u32_e32 v3, 0xffffff81, v18
	v_mov_b32_e32 v7, 0xffffff82
	v_cndmask_b32_e32 v3, v3, v7, vcc
	v_lshrrev_b32_e32 v7, 23, v2
	v_add3_u32 v18, v36, v3, v7
	v_add_u32_e32 v7, 14, v18
	v_and_b32_e32 v3, 0x1fffff, v6
	v_add_u32_e32 v27, v3, v2
	v_cmp_ne_u32_e32 vcc, 0, v7
                                        ; implicit-def: $vgpr2_vgpr3
                                        ; implicit-def: $vgpr6
	s_and_saveexec_b64 s[18:19], vcc
	s_xor_b64 s[18:19], exec, s[18:19]
; %bb.5901:                             ;   in Loop: Header=BB6_4475 Depth=2
	v_cmp_lt_u64_e32 vcc, s[62:63], v[27:28]
	v_add_u32_e32 v2, 15, v18
	v_cndmask_b32_e32 v6, v7, v2, vcc
	v_cndmask_b32_e64 v2, 0, 1, vcc
	v_lshrrev_b64 v[2:3], v2, v[27:28]
; %bb.5902:                             ;   in Loop: Header=BB6_4475 Depth=2
	s_andn2_saveexec_b64 s[18:19], s[18:19]
; %bb.5903:                             ;   in Loop: Header=BB6_4475 Depth=2
	v_mov_b32_e32 v2, v27
	v_mov_b32_e32 v3, v28
	v_bfe_u32 v6, v27, 23, 1
; %bb.5904:                             ;   in Loop: Header=BB6_4475 Depth=2
	s_or_b64 exec, exec, s[18:19]
	v_lshrrev_b64 v[2:3], 21, v[2:3]
	v_cmp_gt_i32_e32 vcc, 32, v6
	v_cndmask_b32_e32 v3, 0, v3, vcc
	v_cndmask_b32_e32 v2, 3, v2, vcc
	v_cmp_eq_u64_e64 s[18:19], 0, v[2:3]
	v_min_i32_e32 v3, 31, v6
	v_lshlrev_b32_e32 v3, 2, v3
	v_cmp_eq_u32_e32 vcc, 0, v6
	v_and_b32_e32 v3, 0xfc, v3
	v_and_or_b32 v2, v2, 3, v3
	s_and_b64 s[18:19], vcc, s[18:19]
	v_cndmask_b32_e64 v2, v2, 0, s[18:19]
	v_or_b32_e32 v18, v2, v19
.LBB6_5905:                             ;   in Loop: Header=BB6_4475 Depth=2
	s_or_b64 exec, exec, s[88:89]
                                        ; implicit-def: $vgpr19
.LBB6_5906:                             ;   in Loop: Header=BB6_4475 Depth=2
	s_andn2_saveexec_b64 s[18:19], s[78:79]
; %bb.5907:                             ;   in Loop: Header=BB6_4475 Depth=2
	v_or_b32_e32 v18, 0x7b, v19
; %bb.5908:                             ;   in Loop: Header=BB6_4475 Depth=2
	s_or_b64 exec, exec, s[18:19]
                                        ; implicit-def: $vgpr2
.LBB6_5909:                             ;   in Loop: Header=BB6_4475 Depth=2
	s_andn2_saveexec_b64 s[18:19], s[76:77]
	s_cbranch_execz .LBB6_5915
; %bb.5910:                             ;   in Loop: Header=BB6_4475 Depth=2
	v_cmp_ne_u64_e32 vcc, 0, v[27:28]
                                        ; implicit-def: $vgpr18
	s_and_saveexec_b64 s[76:77], vcc
	s_xor_b64 s[76:77], exec, s[76:77]
; %bb.5911:                             ;   in Loop: Header=BB6_4475 Depth=2
	v_or_b32_sdwa v18, v2, s54 dst_sel:DWORD dst_unused:UNUSED_PAD src0_sel:BYTE_3 src1_sel:DWORD
                                        ; implicit-def: $vgpr2
; %bb.5912:                             ;   in Loop: Header=BB6_4475 Depth=2
	s_andn2_saveexec_b64 s[76:77], s[76:77]
; %bb.5913:                             ;   in Loop: Header=BB6_4475 Depth=2
	v_cmp_lt_i32_e32 vcc, -1, v2
	v_bfrev_b32_e32 v2, 0.5
	v_mov_b32_e32 v3, 0x7c
	v_cndmask_b32_e32 v18, v2, v3, vcc
; %bb.5914:                             ;   in Loop: Header=BB6_4475 Depth=2
	s_or_b64 exec, exec, s[76:77]
.LBB6_5915:                             ;   in Loop: Header=BB6_4475 Depth=2
	s_or_b64 exec, exec, s[18:19]
	v_cmp_ne_u16_sdwa s[76:77], v4, v28 src0_sel:BYTE_0 src1_sel:DWORD
	v_mov_b32_e32 v2, 0
	v_mov_b32_e32 v3, 0
	s_and_saveexec_b64 s[18:19], s[76:77]
	s_cbranch_execz .LBB6_5923
; %bb.5916:                             ;   in Loop: Header=BB6_4475 Depth=2
	v_cmp_ne_u16_sdwa s[78:79], sext(v4), s49 src0_sel:BYTE_0 src1_sel:DWORD
	v_bfrev_b32_e32 v3, 1
	s_and_saveexec_b64 s[76:77], s[78:79]
	s_cbranch_execz .LBB6_5922
; %bb.5917:                             ;   in Loop: Header=BB6_4475 Depth=2
	v_and_b32_e32 v3, 0x7c, v4
	v_and_b32_e32 v6, 3, v4
	v_cmp_ne_u32_e32 vcc, s50, v3
                                        ; implicit-def: $vgpr3
	s_and_saveexec_b64 s[78:79], vcc
	s_xor_b64 s[78:79], exec, s[78:79]
	s_cbranch_execz .LBB6_5919
; %bb.5918:                             ;   in Loop: Header=BB6_4475 Depth=2
	v_ffbh_u32_e32 v7, v6
	v_min_u32_e32 v7, 32, v7
	v_bfe_u32 v3, v4, 2, 5
	v_subrev_u32_e32 v19, 29, v7
	v_lshlrev_b64 v[36:37], v19, v[4:5]
	v_sub_u32_e32 v7, 30, v7
	v_cmp_eq_u32_e32 vcc, 0, v3
	v_cndmask_b32_e32 v3, v3, v7, vcc
	v_lshlrev_b32_e32 v7, 24, v4
	v_and_b32_e32 v19, 3, v36
	v_and_b32_e32 v7, 0x80000000, v7
	v_cndmask_b32_e32 v6, v6, v19, vcc
	v_lshl_add_u32 v3, v3, 23, v7
	v_lshl_or_b32 v3, v6, 21, v3
	v_add_u32_e32 v3, 0x38000000, v3
                                        ; implicit-def: $vgpr6
.LBB6_5919:                             ;   in Loop: Header=BB6_4475 Depth=2
	s_andn2_saveexec_b64 s[78:79], s[78:79]
; %bb.5920:                             ;   in Loop: Header=BB6_4475 Depth=2
	v_mov_b32_e32 v3, -1
	v_cmp_gt_i16_sdwa vcc, sext(v4), v3 src0_sel:BYTE_0 src1_sel:DWORD
	v_mov_b32_e32 v3, 0xff800000
	v_mov_b32_e32 v7, 0x7f800000
	v_cndmask_b32_e32 v3, v3, v7, vcc
	v_cmp_eq_u32_e32 vcc, 0, v6
	v_mov_b32_e32 v6, 0x7f800001
	v_cndmask_b32_e32 v3, v6, v3, vcc
; %bb.5921:                             ;   in Loop: Header=BB6_4475 Depth=2
	s_or_b64 exec, exec, s[78:79]
.LBB6_5922:                             ;   in Loop: Header=BB6_4475 Depth=2
	s_or_b64 exec, exec, s[76:77]
.LBB6_5923:                             ;   in Loop: Header=BB6_4475 Depth=2
	s_or_b64 exec, exec, s[18:19]
	v_cmp_ne_u16_sdwa s[76:77], v20, v28 src0_sel:BYTE_0 src1_sel:DWORD
	s_and_saveexec_b64 s[18:19], s[76:77]
	s_cbranch_execz .LBB6_5931
; %bb.5924:                             ;   in Loop: Header=BB6_4475 Depth=2
	v_cmp_ne_u16_sdwa s[78:79], sext(v20), s49 src0_sel:BYTE_0 src1_sel:DWORD
	v_bfrev_b32_e32 v2, 1
	s_and_saveexec_b64 s[76:77], s[78:79]
	s_cbranch_execz .LBB6_5930
; %bb.5925:                             ;   in Loop: Header=BB6_4475 Depth=2
	v_and_b32_e32 v2, 0x7c, v20
	v_and_b32_e32 v6, 3, v20
	v_cmp_ne_u32_e32 vcc, s50, v2
                                        ; implicit-def: $vgpr2
	s_and_saveexec_b64 s[78:79], vcc
	s_xor_b64 s[78:79], exec, s[78:79]
	s_cbranch_execz .LBB6_5927
; %bb.5926:                             ;   in Loop: Header=BB6_4475 Depth=2
	v_ffbh_u32_e32 v7, v6
	v_min_u32_e32 v7, 32, v7
	v_bfe_u32 v2, v20, 2, 5
	v_subrev_u32_e32 v19, 29, v7
	v_lshlrev_b64 v[36:37], v19, v[20:21]
	v_sub_u32_e32 v7, 30, v7
	v_cmp_eq_u32_e32 vcc, 0, v2
	v_cndmask_b32_e32 v2, v2, v7, vcc
	v_lshlrev_b32_e32 v7, 24, v20
	v_and_b32_e32 v19, 3, v36
	v_and_b32_e32 v7, 0x80000000, v7
	v_cndmask_b32_e32 v6, v6, v19, vcc
	v_lshl_add_u32 v2, v2, 23, v7
	v_lshl_or_b32 v2, v6, 21, v2
	v_add_u32_e32 v2, 0x38000000, v2
                                        ; implicit-def: $vgpr6
.LBB6_5927:                             ;   in Loop: Header=BB6_4475 Depth=2
	s_andn2_saveexec_b64 s[78:79], s[78:79]
; %bb.5928:                             ;   in Loop: Header=BB6_4475 Depth=2
	v_mov_b32_e32 v2, -1
	v_cmp_gt_i16_sdwa vcc, sext(v20), v2 src0_sel:BYTE_0 src1_sel:DWORD
	v_mov_b32_e32 v2, 0xff800000
	v_mov_b32_e32 v7, 0x7f800000
	v_cndmask_b32_e32 v2, v2, v7, vcc
	v_cmp_eq_u32_e32 vcc, 0, v6
	v_mov_b32_e32 v6, 0x7f800001
	v_cndmask_b32_e32 v2, v6, v2, vcc
; %bb.5929:                             ;   in Loop: Header=BB6_4475 Depth=2
	s_or_b64 exec, exec, s[78:79]
.LBB6_5930:                             ;   in Loop: Header=BB6_4475 Depth=2
	s_or_b64 exec, exec, s[76:77]
.LBB6_5931:                             ;   in Loop: Header=BB6_4475 Depth=2
	s_or_b64 exec, exec, s[18:19]
	v_mul_f32_e32 v2, v3, v2
	v_and_b32_e32 v6, 0x7f800000, v2
	v_mov_b32_e32 v7, v28
	v_cmp_ne_u64_e32 vcc, s[58:59], v[6:7]
	v_and_b32_e32 v27, 0x7fffff, v2
                                        ; implicit-def: $vgpr19
	s_and_saveexec_b64 s[18:19], vcc
	s_xor_b64 s[76:77], exec, s[18:19]
	s_cbranch_execz .LBB6_5945
; %bb.5932:                             ;   in Loop: Header=BB6_4475 Depth=2
	v_and_b32_e32 v6, 0x7fffffff, v2
	v_mov_b32_e32 v7, v28
	v_cmp_gt_u64_e32 vcc, s[60:61], v[6:7]
	v_and_b32_sdwa v36, v2, s52 dst_sel:DWORD dst_unused:UNUSED_PAD src0_sel:BYTE_3 src1_sel:DWORD
                                        ; implicit-def: $vgpr19
	s_and_saveexec_b64 s[18:19], vcc
	s_xor_b64 s[78:79], exec, s[18:19]
	s_cbranch_execz .LBB6_5942
; %bb.5933:                             ;   in Loop: Header=BB6_4475 Depth=2
	v_mov_b32_e32 v19, 0
	v_cmp_ne_u32_e32 vcc, 0, v2
	s_and_saveexec_b64 s[88:89], vcc
	s_cbranch_execz .LBB6_5941
; %bb.5934:                             ;   in Loop: Header=BB6_4475 Depth=2
	v_bfe_u32 v19, v2, 23, 8
	v_cmp_gt_u32_e64 s[18:19], s53, v19
	v_sub_u32_e32 v2, 0x71, v19
	v_cmp_eq_u32_e32 vcc, 0, v19
	v_cndmask_b32_e64 v2, 0, v2, s[18:19]
	v_mov_b32_e32 v6, 0x70
	v_cndmask_b32_e32 v37, v2, v6, vcc
	v_add_u32_e32 v6, 21, v37
	v_or_b32_e32 v3, 0x800000, v27
	v_lshlrev_b64 v[6:7], v6, -1
	v_cndmask_b32_e32 v2, v3, v27, vcc
	v_mov_b32_e32 v3, v28
	v_add_u32_e32 v27, 20, v37
	v_bfi_b32 v6, v6, 0, v2
	v_lshlrev_b64 v[38:39], v27, 1
	v_lshrrev_b64 v[2:3], v37, v[2:3]
	v_bfi_b32 v7, v7, 0, 0
	v_cmp_eq_u64_e64 s[18:19], v[6:7], v[38:39]
	v_mov_b32_e32 v7, v3
	v_mov_b32_e32 v6, v2
	s_and_saveexec_b64 s[90:91], s[18:19]
; %bb.5935:                             ;   in Loop: Header=BB6_4475 Depth=2
	v_bfe_u32 v3, v2, 21, 1
	v_add_co_u32_e64 v3, s[18:19], v2, v3
	v_add_co_u32_e64 v6, s[18:19], -1, v3
; %bb.5936:                             ;   in Loop: Header=BB6_4475 Depth=2
	s_or_b64 exec, exec, s[90:91]
	v_add_u32_e32 v3, 0xffffff81, v19
	v_mov_b32_e32 v7, 0xffffff82
	v_cndmask_b32_e32 v3, v3, v7, vcc
	v_lshrrev_b32_e32 v7, 23, v2
	v_add3_u32 v19, v37, v3, v7
	v_add_u32_e32 v7, 14, v19
	v_and_b32_e32 v3, 0x1fffff, v6
	v_add_u32_e32 v27, v3, v2
	v_cmp_ne_u32_e32 vcc, 0, v7
                                        ; implicit-def: $vgpr2_vgpr3
                                        ; implicit-def: $vgpr6
	s_and_saveexec_b64 s[18:19], vcc
	s_xor_b64 s[18:19], exec, s[18:19]
; %bb.5937:                             ;   in Loop: Header=BB6_4475 Depth=2
	v_cmp_lt_u64_e32 vcc, s[62:63], v[27:28]
	v_add_u32_e32 v2, 15, v19
	v_cndmask_b32_e32 v6, v7, v2, vcc
	v_cndmask_b32_e64 v2, 0, 1, vcc
	v_lshrrev_b64 v[2:3], v2, v[27:28]
; %bb.5938:                             ;   in Loop: Header=BB6_4475 Depth=2
	s_andn2_saveexec_b64 s[18:19], s[18:19]
; %bb.5939:                             ;   in Loop: Header=BB6_4475 Depth=2
	v_mov_b32_e32 v2, v27
	v_mov_b32_e32 v3, v28
	v_bfe_u32 v6, v27, 23, 1
; %bb.5940:                             ;   in Loop: Header=BB6_4475 Depth=2
	s_or_b64 exec, exec, s[18:19]
	v_lshrrev_b64 v[2:3], 21, v[2:3]
	v_cmp_gt_i32_e32 vcc, 32, v6
	v_cndmask_b32_e32 v3, 0, v3, vcc
	v_cndmask_b32_e32 v2, 3, v2, vcc
	v_cmp_eq_u64_e64 s[18:19], 0, v[2:3]
	v_min_i32_e32 v3, 31, v6
	v_lshlrev_b32_e32 v3, 2, v3
	v_cmp_eq_u32_e32 vcc, 0, v6
	v_and_b32_e32 v3, 0xfc, v3
	v_and_or_b32 v2, v2, 3, v3
	s_and_b64 s[18:19], vcc, s[18:19]
	v_cndmask_b32_e64 v2, v2, 0, s[18:19]
	v_or_b32_e32 v19, v2, v36
.LBB6_5941:                             ;   in Loop: Header=BB6_4475 Depth=2
	s_or_b64 exec, exec, s[88:89]
                                        ; implicit-def: $vgpr36
.LBB6_5942:                             ;   in Loop: Header=BB6_4475 Depth=2
	s_andn2_saveexec_b64 s[18:19], s[78:79]
; %bb.5943:                             ;   in Loop: Header=BB6_4475 Depth=2
	v_or_b32_e32 v19, 0x7b, v36
; %bb.5944:                             ;   in Loop: Header=BB6_4475 Depth=2
	s_or_b64 exec, exec, s[18:19]
                                        ; implicit-def: $vgpr2
.LBB6_5945:                             ;   in Loop: Header=BB6_4475 Depth=2
	s_andn2_saveexec_b64 s[18:19], s[76:77]
	s_cbranch_execz .LBB6_5951
; %bb.5946:                             ;   in Loop: Header=BB6_4475 Depth=2
	v_cmp_ne_u64_e32 vcc, 0, v[27:28]
                                        ; implicit-def: $vgpr19
	s_and_saveexec_b64 s[76:77], vcc
	s_xor_b64 s[76:77], exec, s[76:77]
; %bb.5947:                             ;   in Loop: Header=BB6_4475 Depth=2
	v_or_b32_sdwa v19, v2, s54 dst_sel:DWORD dst_unused:UNUSED_PAD src0_sel:BYTE_3 src1_sel:DWORD
                                        ; implicit-def: $vgpr2
; %bb.5948:                             ;   in Loop: Header=BB6_4475 Depth=2
	s_andn2_saveexec_b64 s[76:77], s[76:77]
; %bb.5949:                             ;   in Loop: Header=BB6_4475 Depth=2
	v_cmp_lt_i32_e32 vcc, -1, v2
	v_bfrev_b32_e32 v2, 0.5
	v_mov_b32_e32 v3, 0x7c
	v_cndmask_b32_e32 v19, v2, v3, vcc
; %bb.5950:                             ;   in Loop: Header=BB6_4475 Depth=2
	s_or_b64 exec, exec, s[76:77]
.LBB6_5951:                             ;   in Loop: Header=BB6_4475 Depth=2
	s_or_b64 exec, exec, s[18:19]
	v_lshrrev_b16_e32 v2, 8, v4
	v_cmp_ne_u16_e32 vcc, 0, v2
	v_mov_b32_e32 v6, 0
	v_mov_b32_e32 v7, 0
	s_and_saveexec_b64 s[18:19], vcc
	s_cbranch_execz .LBB6_5959
; %bb.5952:                             ;   in Loop: Header=BB6_4475 Depth=2
	v_cmp_ne_u16_e32 vcc, s52, v2
	v_bfrev_b32_e32 v7, 1
	s_and_saveexec_b64 s[76:77], vcc
	s_cbranch_execz .LBB6_5958
; %bb.5953:                             ;   in Loop: Header=BB6_4475 Depth=2
	v_and_b32_e32 v3, 0x7c, v2
	v_and_b32_e32 v27, 3, v2
	v_cmp_ne_u32_e32 vcc, s50, v3
                                        ; implicit-def: $vgpr7
	s_and_saveexec_b64 s[78:79], vcc
	s_xor_b64 s[78:79], exec, s[78:79]
	s_cbranch_execz .LBB6_5955
; %bb.5954:                             ;   in Loop: Header=BB6_4475 Depth=2
	v_ffbh_u32_e32 v32, v27
	v_min_u32_e32 v32, 32, v32
	v_mov_b32_e32 v3, v28
	v_subrev_u32_e32 v33, 29, v32
	v_bfe_u32 v7, v2, 2, 5
	v_lshlrev_b64 v[2:3], v33, v[2:3]
	v_sub_u32_e32 v3, 30, v32
	v_cmp_eq_u32_e32 vcc, 0, v7
	v_cndmask_b32_e32 v3, v7, v3, vcc
	v_lshlrev_b32_e32 v7, 16, v4
	v_and_b32_e32 v2, 3, v2
	v_and_b32_e32 v7, 0x80000000, v7
	v_cndmask_b32_e32 v2, v27, v2, vcc
	v_lshl_add_u32 v3, v3, 23, v7
	v_lshl_or_b32 v2, v2, 21, v3
	v_add_u32_e32 v7, 0x38000000, v2
                                        ; implicit-def: $vgpr27
.LBB6_5955:                             ;   in Loop: Header=BB6_4475 Depth=2
	s_andn2_saveexec_b64 s[78:79], s[78:79]
; %bb.5956:                             ;   in Loop: Header=BB6_4475 Depth=2
	v_cmp_lt_i16_e32 vcc, -1, v4
	v_mov_b32_e32 v2, 0xff800000
	v_mov_b32_e32 v3, 0x7f800000
	v_cndmask_b32_e32 v2, v2, v3, vcc
	v_cmp_eq_u32_e32 vcc, 0, v27
	v_mov_b32_e32 v3, 0x7f800001
	v_cndmask_b32_e32 v7, v3, v2, vcc
; %bb.5957:                             ;   in Loop: Header=BB6_4475 Depth=2
	s_or_b64 exec, exec, s[78:79]
.LBB6_5958:                             ;   in Loop: Header=BB6_4475 Depth=2
	s_or_b64 exec, exec, s[76:77]
.LBB6_5959:                             ;   in Loop: Header=BB6_4475 Depth=2
	s_or_b64 exec, exec, s[18:19]
	v_lshrrev_b16_e32 v2, 8, v20
	v_cmp_ne_u16_e32 vcc, 0, v2
	s_and_saveexec_b64 s[18:19], vcc
	s_cbranch_execz .LBB6_5967
; %bb.5960:                             ;   in Loop: Header=BB6_4475 Depth=2
	v_cmp_ne_u16_e32 vcc, s52, v2
	v_bfrev_b32_e32 v6, 1
	s_and_saveexec_b64 s[76:77], vcc
	s_cbranch_execz .LBB6_5966
; %bb.5961:                             ;   in Loop: Header=BB6_4475 Depth=2
	v_and_b32_e32 v3, 0x7c, v2
	v_and_b32_e32 v27, 3, v2
	v_cmp_ne_u32_e32 vcc, s50, v3
                                        ; implicit-def: $vgpr6
	s_and_saveexec_b64 s[78:79], vcc
	s_xor_b64 s[78:79], exec, s[78:79]
	s_cbranch_execz .LBB6_5963
; %bb.5962:                             ;   in Loop: Header=BB6_4475 Depth=2
	v_ffbh_u32_e32 v32, v27
	v_min_u32_e32 v32, 32, v32
	v_mov_b32_e32 v3, v28
	v_subrev_u32_e32 v33, 29, v32
	v_bfe_u32 v6, v2, 2, 5
	v_lshlrev_b64 v[2:3], v33, v[2:3]
	v_sub_u32_e32 v3, 30, v32
	v_cmp_eq_u32_e32 vcc, 0, v6
	v_cndmask_b32_e32 v3, v6, v3, vcc
	v_lshlrev_b32_e32 v6, 16, v20
	v_and_b32_e32 v2, 3, v2
	v_and_b32_e32 v6, 0x80000000, v6
	v_cndmask_b32_e32 v2, v27, v2, vcc
	v_lshl_add_u32 v3, v3, 23, v6
	v_lshl_or_b32 v2, v2, 21, v3
	v_add_u32_e32 v6, 0x38000000, v2
                                        ; implicit-def: $vgpr27
.LBB6_5963:                             ;   in Loop: Header=BB6_4475 Depth=2
	s_andn2_saveexec_b64 s[78:79], s[78:79]
; %bb.5964:                             ;   in Loop: Header=BB6_4475 Depth=2
	v_cmp_lt_i16_e32 vcc, -1, v20
	v_mov_b32_e32 v2, 0xff800000
	v_mov_b32_e32 v3, 0x7f800000
	v_cndmask_b32_e32 v2, v2, v3, vcc
	v_cmp_eq_u32_e32 vcc, 0, v27
	v_mov_b32_e32 v3, 0x7f800001
	v_cndmask_b32_e32 v6, v3, v2, vcc
; %bb.5965:                             ;   in Loop: Header=BB6_4475 Depth=2
	s_or_b64 exec, exec, s[78:79]
.LBB6_5966:                             ;   in Loop: Header=BB6_4475 Depth=2
	s_or_b64 exec, exec, s[76:77]
.LBB6_5967:                             ;   in Loop: Header=BB6_4475 Depth=2
	s_or_b64 exec, exec, s[18:19]
	v_mul_f32_e32 v2, v7, v6
	v_and_b32_e32 v6, 0x7f800000, v2
	v_mov_b32_e32 v7, v28
	v_cmp_ne_u64_e32 vcc, s[58:59], v[6:7]
	v_and_b32_e32 v27, 0x7fffff, v2
                                        ; implicit-def: $vgpr41
	s_and_saveexec_b64 s[18:19], vcc
	s_xor_b64 s[76:77], exec, s[18:19]
	s_cbranch_execz .LBB6_5981
; %bb.5968:                             ;   in Loop: Header=BB6_4475 Depth=2
	v_and_b32_e32 v6, 0x7fffffff, v2
	v_mov_b32_e32 v7, v28
	v_cmp_gt_u64_e32 vcc, s[60:61], v[6:7]
	v_and_b32_sdwa v36, v2, s52 dst_sel:DWORD dst_unused:UNUSED_PAD src0_sel:BYTE_3 src1_sel:DWORD
                                        ; implicit-def: $vgpr41
	s_and_saveexec_b64 s[18:19], vcc
	s_xor_b64 s[78:79], exec, s[18:19]
	s_cbranch_execz .LBB6_5978
; %bb.5969:                             ;   in Loop: Header=BB6_4475 Depth=2
	v_mov_b32_e32 v41, 0
	v_cmp_ne_u32_e32 vcc, 0, v2
	s_and_saveexec_b64 s[88:89], vcc
	s_cbranch_execz .LBB6_5977
; %bb.5970:                             ;   in Loop: Header=BB6_4475 Depth=2
	v_bfe_u32 v37, v2, 23, 8
	v_cmp_gt_u32_e64 s[18:19], s53, v37
	v_sub_u32_e32 v2, 0x71, v37
	v_cmp_eq_u32_e32 vcc, 0, v37
	v_cndmask_b32_e64 v2, 0, v2, s[18:19]
	v_mov_b32_e32 v6, 0x70
	v_cndmask_b32_e32 v38, v2, v6, vcc
	v_add_u32_e32 v6, 21, v38
	v_or_b32_e32 v3, 0x800000, v27
	v_lshlrev_b64 v[6:7], v6, -1
	v_cndmask_b32_e32 v2, v3, v27, vcc
	v_mov_b32_e32 v3, v28
	v_add_u32_e32 v27, 20, v38
	v_bfi_b32 v6, v6, 0, v2
	v_lshlrev_b64 v[48:49], v27, 1
	v_lshrrev_b64 v[2:3], v38, v[2:3]
	v_bfi_b32 v7, v7, 0, 0
	v_cmp_eq_u64_e64 s[18:19], v[6:7], v[48:49]
	v_mov_b32_e32 v7, v3
	v_mov_b32_e32 v6, v2
	s_and_saveexec_b64 s[90:91], s[18:19]
; %bb.5971:                             ;   in Loop: Header=BB6_4475 Depth=2
	v_bfe_u32 v3, v2, 21, 1
	v_add_co_u32_e64 v3, s[18:19], v2, v3
	v_add_co_u32_e64 v6, s[18:19], -1, v3
; %bb.5972:                             ;   in Loop: Header=BB6_4475 Depth=2
	s_or_b64 exec, exec, s[90:91]
	v_add_u32_e32 v3, 0xffffff81, v37
	v_mov_b32_e32 v7, 0xffffff82
	v_cndmask_b32_e32 v3, v3, v7, vcc
	v_lshrrev_b32_e32 v7, 23, v2
	v_add3_u32 v37, v38, v3, v7
	v_add_u32_e32 v7, 14, v37
	v_and_b32_e32 v3, 0x1fffff, v6
	v_add_u32_e32 v27, v3, v2
	v_cmp_ne_u32_e32 vcc, 0, v7
                                        ; implicit-def: $vgpr2_vgpr3
                                        ; implicit-def: $vgpr6
	s_and_saveexec_b64 s[18:19], vcc
	s_xor_b64 s[18:19], exec, s[18:19]
; %bb.5973:                             ;   in Loop: Header=BB6_4475 Depth=2
	v_cmp_lt_u64_e32 vcc, s[62:63], v[27:28]
	v_add_u32_e32 v2, 15, v37
	v_cndmask_b32_e32 v6, v7, v2, vcc
	v_cndmask_b32_e64 v2, 0, 1, vcc
	v_lshrrev_b64 v[2:3], v2, v[27:28]
; %bb.5974:                             ;   in Loop: Header=BB6_4475 Depth=2
	s_andn2_saveexec_b64 s[18:19], s[18:19]
; %bb.5975:                             ;   in Loop: Header=BB6_4475 Depth=2
	v_mov_b32_e32 v2, v27
	v_mov_b32_e32 v3, v28
	v_bfe_u32 v6, v27, 23, 1
; %bb.5976:                             ;   in Loop: Header=BB6_4475 Depth=2
	s_or_b64 exec, exec, s[18:19]
	v_lshrrev_b64 v[2:3], 21, v[2:3]
	v_cmp_gt_i32_e32 vcc, 32, v6
	v_cndmask_b32_e32 v3, 0, v3, vcc
	v_cndmask_b32_e32 v2, 3, v2, vcc
	v_cmp_eq_u64_e64 s[18:19], 0, v[2:3]
	v_min_i32_e32 v3, 31, v6
	v_lshlrev_b32_e32 v3, 2, v3
	v_cmp_eq_u32_e32 vcc, 0, v6
	v_and_b32_e32 v3, 0xfc, v3
	v_and_or_b32 v2, v2, 3, v3
	s_and_b64 s[18:19], vcc, s[18:19]
	v_cndmask_b32_e64 v2, v2, 0, s[18:19]
	v_or_b32_e32 v41, v2, v36
.LBB6_5977:                             ;   in Loop: Header=BB6_4475 Depth=2
	s_or_b64 exec, exec, s[88:89]
                                        ; implicit-def: $vgpr36
.LBB6_5978:                             ;   in Loop: Header=BB6_4475 Depth=2
	s_andn2_saveexec_b64 s[18:19], s[78:79]
; %bb.5979:                             ;   in Loop: Header=BB6_4475 Depth=2
	v_or_b32_e32 v41, 0x7b, v36
; %bb.5980:                             ;   in Loop: Header=BB6_4475 Depth=2
	s_or_b64 exec, exec, s[18:19]
                                        ; implicit-def: $vgpr2
.LBB6_5981:                             ;   in Loop: Header=BB6_4475 Depth=2
	s_andn2_saveexec_b64 s[18:19], s[76:77]
	s_cbranch_execz .LBB6_5987
; %bb.5982:                             ;   in Loop: Header=BB6_4475 Depth=2
	v_cmp_ne_u64_e32 vcc, 0, v[27:28]
                                        ; implicit-def: $vgpr41
	s_and_saveexec_b64 s[76:77], vcc
	s_xor_b64 s[76:77], exec, s[76:77]
; %bb.5983:                             ;   in Loop: Header=BB6_4475 Depth=2
	v_or_b32_sdwa v41, v2, s54 dst_sel:DWORD dst_unused:UNUSED_PAD src0_sel:BYTE_3 src1_sel:DWORD
                                        ; implicit-def: $vgpr2
; %bb.5984:                             ;   in Loop: Header=BB6_4475 Depth=2
	s_andn2_saveexec_b64 s[76:77], s[76:77]
; %bb.5985:                             ;   in Loop: Header=BB6_4475 Depth=2
	v_cmp_lt_i32_e32 vcc, -1, v2
	v_bfrev_b32_e32 v2, 0.5
	v_mov_b32_e32 v3, 0x7c
	v_cndmask_b32_e32 v41, v2, v3, vcc
; %bb.5986:                             ;   in Loop: Header=BB6_4475 Depth=2
	s_or_b64 exec, exec, s[76:77]
.LBB6_5987:                             ;   in Loop: Header=BB6_4475 Depth=2
	s_or_b64 exec, exec, s[18:19]
	v_lshrrev_b32_e32 v2, 16, v4
	v_cmp_ne_u16_sdwa s[76:77], v2, v28 src0_sel:BYTE_0 src1_sel:DWORD
	v_mov_b32_e32 v3, 0
	v_mov_b32_e32 v6, 0
	s_and_saveexec_b64 s[18:19], s[76:77]
	s_cbranch_execz .LBB6_5995
; %bb.5988:                             ;   in Loop: Header=BB6_4475 Depth=2
	v_cmp_ne_u16_sdwa s[78:79], v2, s52 src0_sel:BYTE_0 src1_sel:DWORD
	v_bfrev_b32_e32 v6, 1
	s_and_saveexec_b64 s[76:77], s[78:79]
	s_cbranch_execz .LBB6_5994
; %bb.5989:                             ;   in Loop: Header=BB6_4475 Depth=2
	v_and_b32_e32 v6, 0x7c0000, v4
	v_bfe_u32 v7, v4, 16, 2
	v_cmp_ne_u32_e32 vcc, s55, v6
                                        ; implicit-def: $vgpr6
	s_and_saveexec_b64 s[78:79], vcc
	s_xor_b64 s[78:79], exec, s[78:79]
	s_cbranch_execz .LBB6_5991
; %bb.5990:                             ;   in Loop: Header=BB6_4475 Depth=2
	v_ffbh_u32_e32 v27, v7
	v_min_u32_e32 v27, 32, v27
	v_subrev_u32_e32 v32, 29, v27
	v_lshlrev_b64 v[36:37], v32, v[2:3]
	v_bfe_u32 v6, v4, 18, 5
	v_sub_u32_e32 v2, 30, v27
	v_and_b32_e32 v27, 3, v36
	v_cmp_eq_u32_e32 vcc, 0, v6
	v_cndmask_b32_e32 v2, v6, v2, vcc
	v_cndmask_b32_e32 v6, v7, v27, vcc
	v_lshlrev_b32_e32 v7, 8, v4
	v_and_b32_e32 v7, 0x80000000, v7
	v_lshl_add_u32 v2, v2, 23, v7
	v_lshl_or_b32 v2, v6, 21, v2
	v_add_u32_e32 v6, 0x38000000, v2
                                        ; implicit-def: $vgpr7
                                        ; implicit-def: $vgpr2
.LBB6_5991:                             ;   in Loop: Header=BB6_4475 Depth=2
	s_andn2_saveexec_b64 s[78:79], s[78:79]
; %bb.5992:                             ;   in Loop: Header=BB6_4475 Depth=2
	v_mov_b32_e32 v6, -1
	v_cmp_gt_i16_sdwa vcc, sext(v2), v6 src0_sel:BYTE_0 src1_sel:DWORD
	v_mov_b32_e32 v2, 0xff800000
	v_mov_b32_e32 v6, 0x7f800000
	v_cndmask_b32_e32 v2, v2, v6, vcc
	v_cmp_eq_u32_e32 vcc, 0, v7
	v_mov_b32_e32 v6, 0x7f800001
	v_cndmask_b32_e32 v6, v6, v2, vcc
; %bb.5993:                             ;   in Loop: Header=BB6_4475 Depth=2
	s_or_b64 exec, exec, s[78:79]
.LBB6_5994:                             ;   in Loop: Header=BB6_4475 Depth=2
	s_or_b64 exec, exec, s[76:77]
.LBB6_5995:                             ;   in Loop: Header=BB6_4475 Depth=2
	s_or_b64 exec, exec, s[18:19]
	v_lshrrev_b32_e32 v2, 16, v20
	v_cmp_ne_u16_sdwa s[76:77], v2, v28 src0_sel:BYTE_0 src1_sel:DWORD
	s_and_saveexec_b64 s[18:19], s[76:77]
	s_cbranch_execz .LBB6_6003
; %bb.5996:                             ;   in Loop: Header=BB6_4475 Depth=2
	v_cmp_ne_u16_sdwa s[78:79], v2, s52 src0_sel:BYTE_0 src1_sel:DWORD
	v_bfrev_b32_e32 v3, 1
	s_and_saveexec_b64 s[76:77], s[78:79]
	s_cbranch_execz .LBB6_6002
; %bb.5997:                             ;   in Loop: Header=BB6_4475 Depth=2
	v_and_b32_e32 v3, 0x7c0000, v20
	v_bfe_u32 v7, v20, 16, 2
	v_cmp_ne_u32_e32 vcc, s55, v3
                                        ; implicit-def: $vgpr3
	s_and_saveexec_b64 s[78:79], vcc
	s_xor_b64 s[78:79], exec, s[78:79]
	s_cbranch_execz .LBB6_5999
; %bb.5998:                             ;   in Loop: Header=BB6_4475 Depth=2
	v_ffbh_u32_e32 v3, v7
	v_min_u32_e32 v32, 32, v3
	v_subrev_u32_e32 v3, 29, v32
	v_lshlrev_b64 v[2:3], v3, v[2:3]
	v_bfe_u32 v27, v20, 18, 5
	v_and_b32_e32 v2, 3, v2
	v_cmp_eq_u32_e32 vcc, 0, v27
	v_sub_u32_e32 v3, 30, v32
	v_cndmask_b32_e32 v2, v7, v2, vcc
	v_lshlrev_b32_e32 v7, 8, v20
	v_cndmask_b32_e32 v3, v27, v3, vcc
	v_and_b32_e32 v7, 0x80000000, v7
	v_lshl_add_u32 v3, v3, 23, v7
	v_lshl_or_b32 v2, v2, 21, v3
	v_add_u32_e32 v3, 0x38000000, v2
                                        ; implicit-def: $vgpr7
                                        ; implicit-def: $vgpr2
.LBB6_5999:                             ;   in Loop: Header=BB6_4475 Depth=2
	s_andn2_saveexec_b64 s[78:79], s[78:79]
; %bb.6000:                             ;   in Loop: Header=BB6_4475 Depth=2
	v_mov_b32_e32 v3, -1
	v_cmp_gt_i16_sdwa vcc, sext(v2), v3 src0_sel:BYTE_0 src1_sel:DWORD
	v_mov_b32_e32 v2, 0xff800000
	v_mov_b32_e32 v3, 0x7f800000
	v_cndmask_b32_e32 v2, v2, v3, vcc
	v_cmp_eq_u32_e32 vcc, 0, v7
	v_mov_b32_e32 v3, 0x7f800001
	v_cndmask_b32_e32 v3, v3, v2, vcc
; %bb.6001:                             ;   in Loop: Header=BB6_4475 Depth=2
	s_or_b64 exec, exec, s[78:79]
.LBB6_6002:                             ;   in Loop: Header=BB6_4475 Depth=2
	s_or_b64 exec, exec, s[76:77]
.LBB6_6003:                             ;   in Loop: Header=BB6_4475 Depth=2
	s_or_b64 exec, exec, s[18:19]
	v_mul_f32_e32 v2, v6, v3
	v_and_b32_e32 v6, 0x7f800000, v2
	v_mov_b32_e32 v7, v28
	v_cmp_ne_u64_e32 vcc, s[58:59], v[6:7]
	v_and_b32_e32 v27, 0x7fffff, v2
                                        ; implicit-def: $vgpr42
	s_and_saveexec_b64 s[18:19], vcc
	s_xor_b64 s[76:77], exec, s[18:19]
	s_cbranch_execz .LBB6_6017
; %bb.6004:                             ;   in Loop: Header=BB6_4475 Depth=2
	v_and_b32_e32 v6, 0x7fffffff, v2
	v_mov_b32_e32 v7, v28
	v_cmp_gt_u64_e32 vcc, s[60:61], v[6:7]
	v_and_b32_sdwa v36, v2, s52 dst_sel:DWORD dst_unused:UNUSED_PAD src0_sel:BYTE_3 src1_sel:DWORD
                                        ; implicit-def: $vgpr42
	s_and_saveexec_b64 s[18:19], vcc
	s_xor_b64 s[78:79], exec, s[18:19]
	s_cbranch_execz .LBB6_6014
; %bb.6005:                             ;   in Loop: Header=BB6_4475 Depth=2
	v_mov_b32_e32 v42, 0
	v_cmp_ne_u32_e32 vcc, 0, v2
	s_and_saveexec_b64 s[88:89], vcc
	s_cbranch_execz .LBB6_6013
; %bb.6006:                             ;   in Loop: Header=BB6_4475 Depth=2
	v_bfe_u32 v37, v2, 23, 8
	v_cmp_gt_u32_e64 s[18:19], s53, v37
	v_sub_u32_e32 v2, 0x71, v37
	v_cmp_eq_u32_e32 vcc, 0, v37
	v_cndmask_b32_e64 v2, 0, v2, s[18:19]
	v_mov_b32_e32 v6, 0x70
	v_cndmask_b32_e32 v38, v2, v6, vcc
	v_add_u32_e32 v6, 21, v38
	v_or_b32_e32 v3, 0x800000, v27
	v_lshlrev_b64 v[6:7], v6, -1
	v_cndmask_b32_e32 v2, v3, v27, vcc
	v_mov_b32_e32 v3, v28
	v_add_u32_e32 v27, 20, v38
	v_bfi_b32 v6, v6, 0, v2
	v_lshlrev_b64 v[48:49], v27, 1
	v_lshrrev_b64 v[2:3], v38, v[2:3]
	v_bfi_b32 v7, v7, 0, 0
	v_cmp_eq_u64_e64 s[18:19], v[6:7], v[48:49]
	v_mov_b32_e32 v7, v3
	v_mov_b32_e32 v6, v2
	s_and_saveexec_b64 s[90:91], s[18:19]
; %bb.6007:                             ;   in Loop: Header=BB6_4475 Depth=2
	v_bfe_u32 v3, v2, 21, 1
	v_add_co_u32_e64 v3, s[18:19], v2, v3
	v_add_co_u32_e64 v6, s[18:19], -1, v3
; %bb.6008:                             ;   in Loop: Header=BB6_4475 Depth=2
	s_or_b64 exec, exec, s[90:91]
	v_add_u32_e32 v3, 0xffffff81, v37
	v_mov_b32_e32 v7, 0xffffff82
	v_cndmask_b32_e32 v3, v3, v7, vcc
	v_lshrrev_b32_e32 v7, 23, v2
	v_add3_u32 v37, v38, v3, v7
	v_add_u32_e32 v7, 14, v37
	v_and_b32_e32 v3, 0x1fffff, v6
	v_add_u32_e32 v27, v3, v2
	v_cmp_ne_u32_e32 vcc, 0, v7
                                        ; implicit-def: $vgpr2_vgpr3
                                        ; implicit-def: $vgpr6
	s_and_saveexec_b64 s[18:19], vcc
	s_xor_b64 s[18:19], exec, s[18:19]
; %bb.6009:                             ;   in Loop: Header=BB6_4475 Depth=2
	v_cmp_lt_u64_e32 vcc, s[62:63], v[27:28]
	v_add_u32_e32 v2, 15, v37
	v_cndmask_b32_e32 v6, v7, v2, vcc
	v_cndmask_b32_e64 v2, 0, 1, vcc
	v_lshrrev_b64 v[2:3], v2, v[27:28]
; %bb.6010:                             ;   in Loop: Header=BB6_4475 Depth=2
	s_andn2_saveexec_b64 s[18:19], s[18:19]
; %bb.6011:                             ;   in Loop: Header=BB6_4475 Depth=2
	v_mov_b32_e32 v2, v27
	v_mov_b32_e32 v3, v28
	v_bfe_u32 v6, v27, 23, 1
; %bb.6012:                             ;   in Loop: Header=BB6_4475 Depth=2
	s_or_b64 exec, exec, s[18:19]
	v_lshrrev_b64 v[2:3], 21, v[2:3]
	v_cmp_gt_i32_e32 vcc, 32, v6
	v_cndmask_b32_e32 v3, 0, v3, vcc
	v_cndmask_b32_e32 v2, 3, v2, vcc
	v_cmp_eq_u64_e64 s[18:19], 0, v[2:3]
	v_min_i32_e32 v3, 31, v6
	v_lshlrev_b32_e32 v3, 2, v3
	v_cmp_eq_u32_e32 vcc, 0, v6
	v_and_b32_e32 v3, 0xfc, v3
	v_and_or_b32 v2, v2, 3, v3
	s_and_b64 s[18:19], vcc, s[18:19]
	v_cndmask_b32_e64 v2, v2, 0, s[18:19]
	v_or_b32_e32 v42, v2, v36
.LBB6_6013:                             ;   in Loop: Header=BB6_4475 Depth=2
	s_or_b64 exec, exec, s[88:89]
                                        ; implicit-def: $vgpr36
.LBB6_6014:                             ;   in Loop: Header=BB6_4475 Depth=2
	s_andn2_saveexec_b64 s[18:19], s[78:79]
; %bb.6015:                             ;   in Loop: Header=BB6_4475 Depth=2
	v_or_b32_e32 v42, 0x7b, v36
; %bb.6016:                             ;   in Loop: Header=BB6_4475 Depth=2
	s_or_b64 exec, exec, s[18:19]
                                        ; implicit-def: $vgpr2
.LBB6_6017:                             ;   in Loop: Header=BB6_4475 Depth=2
	s_andn2_saveexec_b64 s[18:19], s[76:77]
	s_cbranch_execz .LBB6_6023
; %bb.6018:                             ;   in Loop: Header=BB6_4475 Depth=2
	v_cmp_ne_u64_e32 vcc, 0, v[27:28]
                                        ; implicit-def: $vgpr42
	s_and_saveexec_b64 s[76:77], vcc
	s_xor_b64 s[76:77], exec, s[76:77]
; %bb.6019:                             ;   in Loop: Header=BB6_4475 Depth=2
	v_or_b32_sdwa v42, v2, s54 dst_sel:DWORD dst_unused:UNUSED_PAD src0_sel:BYTE_3 src1_sel:DWORD
                                        ; implicit-def: $vgpr2
; %bb.6020:                             ;   in Loop: Header=BB6_4475 Depth=2
	s_andn2_saveexec_b64 s[76:77], s[76:77]
; %bb.6021:                             ;   in Loop: Header=BB6_4475 Depth=2
	v_cmp_lt_i32_e32 vcc, -1, v2
	v_bfrev_b32_e32 v2, 0.5
	v_mov_b32_e32 v3, 0x7c
	v_cndmask_b32_e32 v42, v2, v3, vcc
; %bb.6022:                             ;   in Loop: Header=BB6_4475 Depth=2
	s_or_b64 exec, exec, s[76:77]
.LBB6_6023:                             ;   in Loop: Header=BB6_4475 Depth=2
	s_or_b64 exec, exec, s[18:19]
	v_cmp_lt_u32_e32 vcc, s57, v4
	v_mov_b32_e32 v3, 0
	v_mov_b32_e32 v6, 0
	s_and_saveexec_b64 s[18:19], vcc
	s_cbranch_execz .LBB6_6031
; %bb.6024:                             ;   in Loop: Header=BB6_4475 Depth=2
	v_lshrrev_b32_e32 v2, 24, v4
	v_cmp_ne_u32_e32 vcc, s52, v2
	v_bfrev_b32_e32 v6, 1
	s_and_saveexec_b64 s[76:77], vcc
	s_cbranch_execz .LBB6_6030
; %bb.6025:                             ;   in Loop: Header=BB6_4475 Depth=2
	v_and_b32_e32 v6, 0x7c000000, v4
	v_bfe_u32 v7, v4, 24, 2
	v_cmp_ne_u32_e32 vcc, s64, v6
                                        ; implicit-def: $vgpr6
	s_and_saveexec_b64 s[78:79], vcc
	s_xor_b64 s[78:79], exec, s[78:79]
	s_cbranch_execz .LBB6_6027
; %bb.6026:                             ;   in Loop: Header=BB6_4475 Depth=2
	v_ffbh_u32_e32 v27, v7
	v_min_u32_e32 v27, 32, v27
	v_subrev_u32_e32 v32, 29, v27
	v_lshlrev_b64 v[36:37], v32, v[2:3]
	v_bfe_u32 v6, v4, 26, 5
	v_sub_u32_e32 v2, 30, v27
	v_and_b32_e32 v27, 3, v36
	v_cmp_eq_u32_e32 vcc, 0, v6
	v_cndmask_b32_e32 v2, v6, v2, vcc
	v_cndmask_b32_e32 v6, v7, v27, vcc
	v_and_b32_e32 v7, 0x80000000, v4
	v_lshl_add_u32 v2, v2, 23, v7
	v_lshl_or_b32 v2, v6, 21, v2
	v_add_u32_e32 v6, 0x38000000, v2
                                        ; implicit-def: $vgpr7
.LBB6_6027:                             ;   in Loop: Header=BB6_4475 Depth=2
	s_andn2_saveexec_b64 s[78:79], s[78:79]
; %bb.6028:                             ;   in Loop: Header=BB6_4475 Depth=2
	v_cmp_lt_i32_e32 vcc, -1, v4
	v_mov_b32_e32 v2, 0xff800000
	v_mov_b32_e32 v6, 0x7f800000
	v_cndmask_b32_e32 v2, v2, v6, vcc
	v_cmp_eq_u32_e32 vcc, 0, v7
	v_mov_b32_e32 v6, 0x7f800001
	v_cndmask_b32_e32 v6, v6, v2, vcc
; %bb.6029:                             ;   in Loop: Header=BB6_4475 Depth=2
	s_or_b64 exec, exec, s[78:79]
.LBB6_6030:                             ;   in Loop: Header=BB6_4475 Depth=2
	s_or_b64 exec, exec, s[76:77]
.LBB6_6031:                             ;   in Loop: Header=BB6_4475 Depth=2
	s_or_b64 exec, exec, s[18:19]
	v_cmp_lt_u32_e32 vcc, s57, v20
	s_and_saveexec_b64 s[18:19], vcc
	s_cbranch_execz .LBB6_6039
; %bb.6032:                             ;   in Loop: Header=BB6_4475 Depth=2
	v_lshrrev_b32_e32 v2, 24, v20
	v_cmp_ne_u32_e32 vcc, s52, v2
	v_bfrev_b32_e32 v3, 1
	s_and_saveexec_b64 s[76:77], vcc
	s_cbranch_execz .LBB6_6038
; %bb.6033:                             ;   in Loop: Header=BB6_4475 Depth=2
	v_and_b32_e32 v3, 0x7c000000, v20
	v_bfe_u32 v7, v20, 24, 2
	v_cmp_ne_u32_e32 vcc, s64, v3
                                        ; implicit-def: $vgpr3
	s_and_saveexec_b64 s[78:79], vcc
	s_xor_b64 s[78:79], exec, s[78:79]
	s_cbranch_execz .LBB6_6035
; %bb.6034:                             ;   in Loop: Header=BB6_4475 Depth=2
	v_ffbh_u32_e32 v3, v7
	v_min_u32_e32 v32, 32, v3
	v_subrev_u32_e32 v3, 29, v32
	v_lshlrev_b64 v[2:3], v3, v[2:3]
	v_bfe_u32 v27, v20, 26, 5
	v_sub_u32_e32 v3, 30, v32
	v_and_b32_e32 v2, 3, v2
	v_cmp_eq_u32_e32 vcc, 0, v27
	v_cndmask_b32_e32 v3, v27, v3, vcc
	v_cndmask_b32_e32 v2, v7, v2, vcc
	v_and_b32_e32 v7, 0x80000000, v20
	v_lshl_add_u32 v3, v3, 23, v7
	v_lshl_or_b32 v2, v2, 21, v3
	v_add_u32_e32 v3, 0x38000000, v2
                                        ; implicit-def: $vgpr7
.LBB6_6035:                             ;   in Loop: Header=BB6_4475 Depth=2
	s_andn2_saveexec_b64 s[78:79], s[78:79]
; %bb.6036:                             ;   in Loop: Header=BB6_4475 Depth=2
	v_cmp_lt_i32_e32 vcc, -1, v20
	v_mov_b32_e32 v2, 0xff800000
	v_mov_b32_e32 v3, 0x7f800000
	v_cndmask_b32_e32 v2, v2, v3, vcc
	v_cmp_eq_u32_e32 vcc, 0, v7
	v_mov_b32_e32 v3, 0x7f800001
	v_cndmask_b32_e32 v3, v3, v2, vcc
; %bb.6037:                             ;   in Loop: Header=BB6_4475 Depth=2
	s_or_b64 exec, exec, s[78:79]
.LBB6_6038:                             ;   in Loop: Header=BB6_4475 Depth=2
	s_or_b64 exec, exec, s[76:77]
.LBB6_6039:                             ;   in Loop: Header=BB6_4475 Depth=2
	s_or_b64 exec, exec, s[18:19]
	v_mul_f32_e32 v2, v6, v3
	v_and_b32_e32 v6, 0x7f800000, v2
	v_mov_b32_e32 v7, v28
	v_cmp_ne_u64_e32 vcc, s[58:59], v[6:7]
	v_and_b32_e32 v27, 0x7fffff, v2
                                        ; implicit-def: $vgpr43
	s_and_saveexec_b64 s[18:19], vcc
	s_xor_b64 s[76:77], exec, s[18:19]
	s_cbranch_execz .LBB6_6053
; %bb.6040:                             ;   in Loop: Header=BB6_4475 Depth=2
	v_and_b32_e32 v6, 0x7fffffff, v2
	v_mov_b32_e32 v7, v28
	v_cmp_gt_u64_e32 vcc, s[60:61], v[6:7]
	v_and_b32_sdwa v36, v2, s52 dst_sel:DWORD dst_unused:UNUSED_PAD src0_sel:BYTE_3 src1_sel:DWORD
                                        ; implicit-def: $vgpr43
	s_and_saveexec_b64 s[18:19], vcc
	s_xor_b64 s[78:79], exec, s[18:19]
	s_cbranch_execz .LBB6_6050
; %bb.6041:                             ;   in Loop: Header=BB6_4475 Depth=2
	v_mov_b32_e32 v43, 0
	v_cmp_ne_u32_e32 vcc, 0, v2
	s_and_saveexec_b64 s[88:89], vcc
	s_cbranch_execz .LBB6_6049
; %bb.6042:                             ;   in Loop: Header=BB6_4475 Depth=2
	v_bfe_u32 v37, v2, 23, 8
	v_cmp_gt_u32_e64 s[18:19], s53, v37
	v_sub_u32_e32 v2, 0x71, v37
	v_cmp_eq_u32_e32 vcc, 0, v37
	v_cndmask_b32_e64 v2, 0, v2, s[18:19]
	v_mov_b32_e32 v6, 0x70
	v_cndmask_b32_e32 v38, v2, v6, vcc
	v_add_u32_e32 v6, 21, v38
	v_or_b32_e32 v3, 0x800000, v27
	v_lshlrev_b64 v[6:7], v6, -1
	v_cndmask_b32_e32 v2, v3, v27, vcc
	v_mov_b32_e32 v3, v28
	v_add_u32_e32 v27, 20, v38
	v_bfi_b32 v6, v6, 0, v2
	v_lshlrev_b64 v[48:49], v27, 1
	v_lshrrev_b64 v[2:3], v38, v[2:3]
	v_bfi_b32 v7, v7, 0, 0
	v_cmp_eq_u64_e64 s[18:19], v[6:7], v[48:49]
	v_mov_b32_e32 v7, v3
	v_mov_b32_e32 v6, v2
	s_and_saveexec_b64 s[90:91], s[18:19]
; %bb.6043:                             ;   in Loop: Header=BB6_4475 Depth=2
	v_bfe_u32 v3, v2, 21, 1
	v_add_co_u32_e64 v3, s[18:19], v2, v3
	v_add_co_u32_e64 v6, s[18:19], -1, v3
; %bb.6044:                             ;   in Loop: Header=BB6_4475 Depth=2
	s_or_b64 exec, exec, s[90:91]
	v_add_u32_e32 v3, 0xffffff81, v37
	v_mov_b32_e32 v7, 0xffffff82
	v_cndmask_b32_e32 v3, v3, v7, vcc
	v_lshrrev_b32_e32 v7, 23, v2
	v_add3_u32 v37, v38, v3, v7
	v_add_u32_e32 v7, 14, v37
	v_and_b32_e32 v3, 0x1fffff, v6
	v_add_u32_e32 v27, v3, v2
	v_cmp_ne_u32_e32 vcc, 0, v7
                                        ; implicit-def: $vgpr2_vgpr3
                                        ; implicit-def: $vgpr6
	s_and_saveexec_b64 s[18:19], vcc
	s_xor_b64 s[18:19], exec, s[18:19]
; %bb.6045:                             ;   in Loop: Header=BB6_4475 Depth=2
	v_cmp_lt_u64_e32 vcc, s[62:63], v[27:28]
	v_add_u32_e32 v2, 15, v37
	v_cndmask_b32_e32 v6, v7, v2, vcc
	v_cndmask_b32_e64 v2, 0, 1, vcc
	v_lshrrev_b64 v[2:3], v2, v[27:28]
; %bb.6046:                             ;   in Loop: Header=BB6_4475 Depth=2
	s_andn2_saveexec_b64 s[18:19], s[18:19]
; %bb.6047:                             ;   in Loop: Header=BB6_4475 Depth=2
	v_mov_b32_e32 v2, v27
	v_mov_b32_e32 v3, v28
	v_bfe_u32 v6, v27, 23, 1
; %bb.6048:                             ;   in Loop: Header=BB6_4475 Depth=2
	s_or_b64 exec, exec, s[18:19]
	v_lshrrev_b64 v[2:3], 21, v[2:3]
	v_cmp_gt_i32_e32 vcc, 32, v6
	v_cndmask_b32_e32 v3, 0, v3, vcc
	v_cndmask_b32_e32 v2, 3, v2, vcc
	v_cmp_eq_u64_e64 s[18:19], 0, v[2:3]
	v_min_i32_e32 v3, 31, v6
	v_lshlrev_b32_e32 v3, 2, v3
	v_cmp_eq_u32_e32 vcc, 0, v6
	v_and_b32_e32 v3, 0xfc, v3
	v_and_or_b32 v2, v2, 3, v3
	s_and_b64 s[18:19], vcc, s[18:19]
	v_cndmask_b32_e64 v2, v2, 0, s[18:19]
	v_or_b32_e32 v43, v2, v36
.LBB6_6049:                             ;   in Loop: Header=BB6_4475 Depth=2
	s_or_b64 exec, exec, s[88:89]
                                        ; implicit-def: $vgpr36
.LBB6_6050:                             ;   in Loop: Header=BB6_4475 Depth=2
	s_andn2_saveexec_b64 s[18:19], s[78:79]
; %bb.6051:                             ;   in Loop: Header=BB6_4475 Depth=2
	v_or_b32_e32 v43, 0x7b, v36
; %bb.6052:                             ;   in Loop: Header=BB6_4475 Depth=2
	s_or_b64 exec, exec, s[18:19]
                                        ; implicit-def: $vgpr2
.LBB6_6053:                             ;   in Loop: Header=BB6_4475 Depth=2
	s_andn2_saveexec_b64 s[18:19], s[76:77]
	s_cbranch_execz .LBB6_6059
; %bb.6054:                             ;   in Loop: Header=BB6_4475 Depth=2
	v_cmp_ne_u64_e32 vcc, 0, v[27:28]
                                        ; implicit-def: $vgpr43
	s_and_saveexec_b64 s[76:77], vcc
	s_xor_b64 s[76:77], exec, s[76:77]
; %bb.6055:                             ;   in Loop: Header=BB6_4475 Depth=2
	v_or_b32_sdwa v43, v2, s54 dst_sel:DWORD dst_unused:UNUSED_PAD src0_sel:BYTE_3 src1_sel:DWORD
                                        ; implicit-def: $vgpr2
; %bb.6056:                             ;   in Loop: Header=BB6_4475 Depth=2
	s_andn2_saveexec_b64 s[76:77], s[76:77]
; %bb.6057:                             ;   in Loop: Header=BB6_4475 Depth=2
	v_cmp_lt_i32_e32 vcc, -1, v2
	v_bfrev_b32_e32 v2, 0.5
	v_mov_b32_e32 v3, 0x7c
	v_cndmask_b32_e32 v43, v2, v3, vcc
; %bb.6058:                             ;   in Loop: Header=BB6_4475 Depth=2
	s_or_b64 exec, exec, s[76:77]
.LBB6_6059:                             ;   in Loop: Header=BB6_4475 Depth=2
	s_or_b64 exec, exec, s[18:19]
	v_mov_b32_e32 v27, v5
	v_cmp_ne_u16_sdwa s[76:77], v5, v28 src0_sel:BYTE_0 src1_sel:DWORD
	v_mov_b32_e32 v3, 0
	v_mov_b32_e32 v2, 0
	s_and_saveexec_b64 s[18:19], s[76:77]
	s_cbranch_execz .LBB6_6067
; %bb.6060:                             ;   in Loop: Header=BB6_4475 Depth=2
	v_cmp_ne_u16_sdwa s[78:79], v5, s52 src0_sel:BYTE_0 src1_sel:DWORD
	v_bfrev_b32_e32 v2, 1
	s_and_saveexec_b64 s[76:77], s[78:79]
	s_cbranch_execz .LBB6_6066
; %bb.6061:                             ;   in Loop: Header=BB6_4475 Depth=2
	v_and_b32_e32 v2, 0x7c, v5
	v_and_b32_e32 v6, 3, v5
	v_cmp_ne_u32_e32 vcc, s50, v2
                                        ; implicit-def: $vgpr2
	s_and_saveexec_b64 s[78:79], vcc
	s_xor_b64 s[78:79], exec, s[78:79]
	s_cbranch_execz .LBB6_6063
; %bb.6062:                             ;   in Loop: Header=BB6_4475 Depth=2
	v_ffbh_u32_e32 v7, v6
	v_min_u32_e32 v7, 32, v7
	v_bfe_u32 v2, v5, 2, 5
	v_subrev_u32_e32 v32, 29, v7
	v_lshlrev_b64 v[36:37], v32, v[27:28]
	v_sub_u32_e32 v7, 30, v7
	v_cmp_eq_u32_e32 vcc, 0, v2
	v_cndmask_b32_e32 v2, v2, v7, vcc
	v_lshlrev_b32_e32 v7, 24, v5
	v_and_b32_e32 v32, 3, v36
	v_and_b32_e32 v7, 0x80000000, v7
	v_cndmask_b32_e32 v6, v6, v32, vcc
	v_lshl_add_u32 v2, v2, 23, v7
	v_lshl_or_b32 v2, v6, 21, v2
	v_add_u32_e32 v2, 0x38000000, v2
                                        ; implicit-def: $vgpr6
.LBB6_6063:                             ;   in Loop: Header=BB6_4475 Depth=2
	s_andn2_saveexec_b64 s[78:79], s[78:79]
; %bb.6064:                             ;   in Loop: Header=BB6_4475 Depth=2
	v_mov_b32_e32 v2, -1
	v_cmp_gt_i16_sdwa vcc, sext(v5), v2 src0_sel:BYTE_0 src1_sel:DWORD
	v_mov_b32_e32 v2, 0xff800000
	v_mov_b32_e32 v7, 0x7f800000
	v_cndmask_b32_e32 v2, v2, v7, vcc
	v_cmp_eq_u32_e32 vcc, 0, v6
	v_mov_b32_e32 v6, 0x7f800001
	v_cndmask_b32_e32 v2, v6, v2, vcc
; %bb.6065:                             ;   in Loop: Header=BB6_4475 Depth=2
	s_or_b64 exec, exec, s[78:79]
.LBB6_6066:                             ;   in Loop: Header=BB6_4475 Depth=2
	s_or_b64 exec, exec, s[76:77]
.LBB6_6067:                             ;   in Loop: Header=BB6_4475 Depth=2
	s_or_b64 exec, exec, s[18:19]
	v_cmp_ne_u16_sdwa s[76:77], v21, v28 src0_sel:BYTE_0 src1_sel:DWORD
	s_and_saveexec_b64 s[18:19], s[76:77]
	s_cbranch_execz .LBB6_6075
; %bb.6068:                             ;   in Loop: Header=BB6_4475 Depth=2
	v_cmp_ne_u16_sdwa s[78:79], v21, s52 src0_sel:BYTE_0 src1_sel:DWORD
	v_bfrev_b32_e32 v3, 1
	s_and_saveexec_b64 s[76:77], s[78:79]
	s_cbranch_execz .LBB6_6074
; %bb.6069:                             ;   in Loop: Header=BB6_4475 Depth=2
	v_and_b32_e32 v3, 0x7c, v21
	v_and_b32_e32 v6, 3, v21
	v_cmp_ne_u32_e32 vcc, s50, v3
                                        ; implicit-def: $vgpr3
	s_and_saveexec_b64 s[78:79], vcc
	s_xor_b64 s[78:79], exec, s[78:79]
	s_cbranch_execz .LBB6_6071
; %bb.6070:                             ;   in Loop: Header=BB6_4475 Depth=2
	v_ffbh_u32_e32 v7, v6
	v_min_u32_e32 v7, 32, v7
	v_mov_b32_e32 v36, v21
	v_mov_b32_e32 v37, v28
	v_bfe_u32 v3, v21, 2, 5
	v_subrev_u32_e32 v32, 29, v7
	v_lshlrev_b64 v[36:37], v32, v[36:37]
	v_sub_u32_e32 v7, 30, v7
	v_cmp_eq_u32_e32 vcc, 0, v3
	v_cndmask_b32_e32 v3, v3, v7, vcc
	v_lshlrev_b32_e32 v7, 24, v21
	v_and_b32_e32 v32, 3, v36
	v_and_b32_e32 v7, 0x80000000, v7
	v_cndmask_b32_e32 v6, v6, v32, vcc
	v_lshl_add_u32 v3, v3, 23, v7
	v_lshl_or_b32 v3, v6, 21, v3
	v_add_u32_e32 v3, 0x38000000, v3
                                        ; implicit-def: $vgpr6
.LBB6_6071:                             ;   in Loop: Header=BB6_4475 Depth=2
	s_andn2_saveexec_b64 s[78:79], s[78:79]
; %bb.6072:                             ;   in Loop: Header=BB6_4475 Depth=2
	v_mov_b32_e32 v3, -1
	v_cmp_gt_i16_sdwa vcc, sext(v21), v3 src0_sel:BYTE_0 src1_sel:DWORD
	v_mov_b32_e32 v3, 0xff800000
	v_mov_b32_e32 v7, 0x7f800000
	v_cndmask_b32_e32 v3, v3, v7, vcc
	v_cmp_eq_u32_e32 vcc, 0, v6
	v_mov_b32_e32 v6, 0x7f800001
	v_cndmask_b32_e32 v3, v6, v3, vcc
; %bb.6073:                             ;   in Loop: Header=BB6_4475 Depth=2
	s_or_b64 exec, exec, s[78:79]
.LBB6_6074:                             ;   in Loop: Header=BB6_4475 Depth=2
	s_or_b64 exec, exec, s[76:77]
.LBB6_6075:                             ;   in Loop: Header=BB6_4475 Depth=2
	s_or_b64 exec, exec, s[18:19]
	v_mul_f32_e32 v6, v2, v3
	v_and_b32_e32 v36, 0x7f800000, v6
	v_mov_b32_e32 v37, v28
	v_cmp_ne_u64_e32 vcc, s[58:59], v[36:37]
	v_and_b32_e32 v2, 0x7fffff, v6
	v_mov_b32_e32 v3, v28
                                        ; implicit-def: $vgpr44
	s_and_saveexec_b64 s[18:19], vcc
	s_xor_b64 s[76:77], exec, s[18:19]
	s_cbranch_execz .LBB6_6089
; %bb.6076:                             ;   in Loop: Header=BB6_4475 Depth=2
	v_and_b32_e32 v36, 0x7fffffff, v6
	v_mov_b32_e32 v37, v28
	v_cmp_gt_u64_e32 vcc, s[60:61], v[36:37]
	v_and_b32_sdwa v36, v6, s52 dst_sel:DWORD dst_unused:UNUSED_PAD src0_sel:BYTE_3 src1_sel:DWORD
                                        ; implicit-def: $vgpr44
	s_and_saveexec_b64 s[18:19], vcc
	s_xor_b64 s[78:79], exec, s[18:19]
	s_cbranch_execz .LBB6_6086
; %bb.6077:                             ;   in Loop: Header=BB6_4475 Depth=2
	v_mov_b32_e32 v44, 0
	v_cmp_ne_u32_e32 vcc, 0, v6
	s_and_saveexec_b64 s[88:89], vcc
	s_cbranch_execz .LBB6_6085
; %bb.6078:                             ;   in Loop: Header=BB6_4475 Depth=2
	v_bfe_u32 v37, v6, 23, 8
	v_cmp_gt_u32_e64 s[18:19], s53, v37
	v_sub_u32_e32 v6, 0x71, v37
	v_cmp_eq_u32_e32 vcc, 0, v37
	v_cndmask_b32_e64 v6, 0, v6, s[18:19]
	v_mov_b32_e32 v32, 0x70
	v_cndmask_b32_e32 v38, v6, v32, vcc
	v_or_b32_e32 v7, 0x800000, v2
	v_add_u32_e32 v6, 21, v38
	v_cndmask_b32_e32 v2, v7, v2, vcc
	v_lshlrev_b64 v[6:7], v6, -1
	v_add_u32_e32 v32, 20, v38
	v_bfi_b32 v6, v6, 0, v2
	v_lshlrev_b64 v[48:49], v32, 1
	v_lshrrev_b64 v[2:3], v38, v[2:3]
	v_bfi_b32 v7, v7, 0, 0
	v_cmp_eq_u64_e64 s[18:19], v[6:7], v[48:49]
	v_mov_b32_e32 v7, v3
	v_mov_b32_e32 v6, v2
	s_and_saveexec_b64 s[90:91], s[18:19]
; %bb.6079:                             ;   in Loop: Header=BB6_4475 Depth=2
	v_bfe_u32 v3, v2, 21, 1
	v_add_co_u32_e64 v3, s[18:19], v2, v3
	v_add_co_u32_e64 v6, s[18:19], -1, v3
; %bb.6080:                             ;   in Loop: Header=BB6_4475 Depth=2
	s_or_b64 exec, exec, s[90:91]
	v_add_u32_e32 v3, 0xffffff81, v37
	v_mov_b32_e32 v7, 0xffffff82
	v_cndmask_b32_e32 v3, v3, v7, vcc
	v_lshrrev_b32_e32 v7, 23, v2
	v_add3_u32 v37, v38, v3, v7
	v_add_u32_e32 v7, 14, v37
	v_and_b32_e32 v3, 0x1fffff, v6
	v_add_u32_e32 v2, v3, v2
	v_mov_b32_e32 v3, v28
	v_cmp_ne_u32_e32 vcc, 0, v7
                                        ; implicit-def: $vgpr6
	s_and_saveexec_b64 s[18:19], vcc
	s_xor_b64 s[18:19], exec, s[18:19]
; %bb.6081:                             ;   in Loop: Header=BB6_4475 Depth=2
	v_cmp_lt_u64_e32 vcc, s[62:63], v[2:3]
	v_add_u32_e32 v6, 15, v37
	v_cndmask_b32_e32 v6, v7, v6, vcc
	v_cndmask_b32_e64 v7, 0, 1, vcc
	v_lshrrev_b64 v[2:3], v7, v[2:3]
; %bb.6082:                             ;   in Loop: Header=BB6_4475 Depth=2
	s_andn2_saveexec_b64 s[18:19], s[18:19]
; %bb.6083:                             ;   in Loop: Header=BB6_4475 Depth=2
	v_bfe_u32 v6, v2, 23, 1
; %bb.6084:                             ;   in Loop: Header=BB6_4475 Depth=2
	s_or_b64 exec, exec, s[18:19]
	v_lshrrev_b64 v[2:3], 21, v[2:3]
	v_cmp_gt_i32_e32 vcc, 32, v6
	v_cndmask_b32_e32 v3, 0, v3, vcc
	v_cndmask_b32_e32 v2, 3, v2, vcc
	v_cmp_eq_u64_e64 s[18:19], 0, v[2:3]
	v_min_i32_e32 v3, 31, v6
	v_lshlrev_b32_e32 v3, 2, v3
	v_cmp_eq_u32_e32 vcc, 0, v6
	v_and_b32_e32 v3, 0xfc, v3
	v_and_or_b32 v2, v2, 3, v3
	s_and_b64 s[18:19], vcc, s[18:19]
	v_cndmask_b32_e64 v2, v2, 0, s[18:19]
	v_or_b32_e32 v44, v2, v36
.LBB6_6085:                             ;   in Loop: Header=BB6_4475 Depth=2
	s_or_b64 exec, exec, s[88:89]
                                        ; implicit-def: $vgpr36
.LBB6_6086:                             ;   in Loop: Header=BB6_4475 Depth=2
	s_andn2_saveexec_b64 s[18:19], s[78:79]
; %bb.6087:                             ;   in Loop: Header=BB6_4475 Depth=2
	v_or_b32_e32 v44, 0x7b, v36
; %bb.6088:                             ;   in Loop: Header=BB6_4475 Depth=2
	s_or_b64 exec, exec, s[18:19]
                                        ; implicit-def: $vgpr6
                                        ; implicit-def: $vgpr2_vgpr3
.LBB6_6089:                             ;   in Loop: Header=BB6_4475 Depth=2
	s_andn2_saveexec_b64 s[18:19], s[76:77]
	s_cbranch_execz .LBB6_6095
; %bb.6090:                             ;   in Loop: Header=BB6_4475 Depth=2
	v_cmp_ne_u64_e32 vcc, 0, v[2:3]
                                        ; implicit-def: $vgpr44
	s_and_saveexec_b64 s[76:77], vcc
	s_xor_b64 s[76:77], exec, s[76:77]
; %bb.6091:                             ;   in Loop: Header=BB6_4475 Depth=2
	v_or_b32_sdwa v44, v6, s54 dst_sel:DWORD dst_unused:UNUSED_PAD src0_sel:BYTE_3 src1_sel:DWORD
                                        ; implicit-def: $vgpr6
; %bb.6092:                             ;   in Loop: Header=BB6_4475 Depth=2
	s_andn2_saveexec_b64 s[76:77], s[76:77]
; %bb.6093:                             ;   in Loop: Header=BB6_4475 Depth=2
	v_cmp_lt_i32_e32 vcc, -1, v6
	v_bfrev_b32_e32 v2, 0.5
	v_mov_b32_e32 v3, 0x7c
	v_cndmask_b32_e32 v44, v2, v3, vcc
; %bb.6094:                             ;   in Loop: Header=BB6_4475 Depth=2
	s_or_b64 exec, exec, s[76:77]
.LBB6_6095:                             ;   in Loop: Header=BB6_4475 Depth=2
	s_or_b64 exec, exec, s[18:19]
	v_lshrrev_b16_e32 v2, 8, v27
	v_cmp_ne_u16_e32 vcc, 0, v2
	v_mov_b32_e32 v6, 0
	v_mov_b32_e32 v7, 0
	s_and_saveexec_b64 s[18:19], vcc
	s_cbranch_execz .LBB6_6103
; %bb.6096:                             ;   in Loop: Header=BB6_4475 Depth=2
	v_cmp_ne_u16_e32 vcc, s52, v2
	v_bfrev_b32_e32 v7, 1
	s_and_saveexec_b64 s[76:77], vcc
	s_cbranch_execz .LBB6_6102
; %bb.6097:                             ;   in Loop: Header=BB6_4475 Depth=2
	v_and_b32_e32 v3, 0x7c, v2
	v_and_b32_e32 v36, 3, v2
	v_cmp_ne_u32_e32 vcc, s50, v3
                                        ; implicit-def: $vgpr7
	s_and_saveexec_b64 s[78:79], vcc
	s_xor_b64 s[78:79], exec, s[78:79]
	s_cbranch_execz .LBB6_6099
; %bb.6098:                             ;   in Loop: Header=BB6_4475 Depth=2
	v_ffbh_u32_e32 v32, v36
	v_min_u32_e32 v32, 32, v32
	v_mov_b32_e32 v3, v28
	v_subrev_u32_e32 v33, 29, v32
	v_bfe_u32 v7, v2, 2, 5
	v_lshlrev_b64 v[2:3], v33, v[2:3]
	v_sub_u32_e32 v3, 30, v32
	v_cmp_eq_u32_e32 vcc, 0, v7
	v_cndmask_b32_e32 v3, v7, v3, vcc
	v_lshlrev_b32_e32 v7, 16, v27
	v_and_b32_e32 v2, 3, v2
	v_and_b32_e32 v7, 0x80000000, v7
	v_cndmask_b32_e32 v2, v36, v2, vcc
	v_lshl_add_u32 v3, v3, 23, v7
	v_lshl_or_b32 v2, v2, 21, v3
	v_add_u32_e32 v7, 0x38000000, v2
                                        ; implicit-def: $vgpr36
.LBB6_6099:                             ;   in Loop: Header=BB6_4475 Depth=2
	s_andn2_saveexec_b64 s[78:79], s[78:79]
; %bb.6100:                             ;   in Loop: Header=BB6_4475 Depth=2
	v_cmp_lt_i16_e32 vcc, -1, v27
	v_mov_b32_e32 v2, 0xff800000
	v_mov_b32_e32 v3, 0x7f800000
	v_cndmask_b32_e32 v2, v2, v3, vcc
	v_cmp_eq_u32_e32 vcc, 0, v36
	v_mov_b32_e32 v3, 0x7f800001
	v_cndmask_b32_e32 v7, v3, v2, vcc
; %bb.6101:                             ;   in Loop: Header=BB6_4475 Depth=2
	s_or_b64 exec, exec, s[78:79]
.LBB6_6102:                             ;   in Loop: Header=BB6_4475 Depth=2
	s_or_b64 exec, exec, s[76:77]
.LBB6_6103:                             ;   in Loop: Header=BB6_4475 Depth=2
	s_or_b64 exec, exec, s[18:19]
	v_lshrrev_b16_e32 v2, 8, v21
	v_cmp_ne_u16_e32 vcc, 0, v2
	s_and_saveexec_b64 s[18:19], vcc
	s_cbranch_execz .LBB6_6111
; %bb.6104:                             ;   in Loop: Header=BB6_4475 Depth=2
	v_cmp_ne_u16_e32 vcc, s52, v2
	v_bfrev_b32_e32 v6, 1
	s_and_saveexec_b64 s[76:77], vcc
	s_cbranch_execz .LBB6_6110
; %bb.6105:                             ;   in Loop: Header=BB6_4475 Depth=2
	v_and_b32_e32 v3, 0x7c, v2
	v_and_b32_e32 v27, 3, v2
	v_cmp_ne_u32_e32 vcc, s50, v3
                                        ; implicit-def: $vgpr6
	s_and_saveexec_b64 s[78:79], vcc
	s_xor_b64 s[78:79], exec, s[78:79]
	s_cbranch_execz .LBB6_6107
; %bb.6106:                             ;   in Loop: Header=BB6_4475 Depth=2
	v_ffbh_u32_e32 v32, v27
	v_min_u32_e32 v32, 32, v32
	v_mov_b32_e32 v3, v28
	v_subrev_u32_e32 v33, 29, v32
	v_bfe_u32 v6, v2, 2, 5
	v_lshlrev_b64 v[2:3], v33, v[2:3]
	v_sub_u32_e32 v3, 30, v32
	v_cmp_eq_u32_e32 vcc, 0, v6
	v_cndmask_b32_e32 v3, v6, v3, vcc
	v_lshlrev_b32_e32 v6, 16, v21
	v_and_b32_e32 v2, 3, v2
	v_and_b32_e32 v6, 0x80000000, v6
	v_cndmask_b32_e32 v2, v27, v2, vcc
	v_lshl_add_u32 v3, v3, 23, v6
	v_lshl_or_b32 v2, v2, 21, v3
	v_add_u32_e32 v6, 0x38000000, v2
                                        ; implicit-def: $vgpr27
.LBB6_6107:                             ;   in Loop: Header=BB6_4475 Depth=2
	s_andn2_saveexec_b64 s[78:79], s[78:79]
; %bb.6108:                             ;   in Loop: Header=BB6_4475 Depth=2
	v_cmp_lt_i16_e32 vcc, -1, v21
	v_mov_b32_e32 v2, 0xff800000
	v_mov_b32_e32 v3, 0x7f800000
	v_cndmask_b32_e32 v2, v2, v3, vcc
	v_cmp_eq_u32_e32 vcc, 0, v27
	v_mov_b32_e32 v3, 0x7f800001
	v_cndmask_b32_e32 v6, v3, v2, vcc
; %bb.6109:                             ;   in Loop: Header=BB6_4475 Depth=2
	s_or_b64 exec, exec, s[78:79]
.LBB6_6110:                             ;   in Loop: Header=BB6_4475 Depth=2
	s_or_b64 exec, exec, s[76:77]
.LBB6_6111:                             ;   in Loop: Header=BB6_4475 Depth=2
	s_or_b64 exec, exec, s[18:19]
	v_mul_f32_e32 v2, v7, v6
	v_and_b32_e32 v6, 0x7f800000, v2
	v_mov_b32_e32 v7, v28
	v_cmp_ne_u64_e32 vcc, s[58:59], v[6:7]
	v_and_b32_e32 v27, 0x7fffff, v2
                                        ; implicit-def: $vgpr36
	s_and_saveexec_b64 s[18:19], vcc
	s_xor_b64 s[76:77], exec, s[18:19]
	s_cbranch_execz .LBB6_6125
; %bb.6112:                             ;   in Loop: Header=BB6_4475 Depth=2
	v_and_b32_e32 v6, 0x7fffffff, v2
	v_mov_b32_e32 v7, v28
	v_cmp_gt_u64_e32 vcc, s[60:61], v[6:7]
	v_and_b32_sdwa v37, v2, s52 dst_sel:DWORD dst_unused:UNUSED_PAD src0_sel:BYTE_3 src1_sel:DWORD
                                        ; implicit-def: $vgpr36
	s_and_saveexec_b64 s[18:19], vcc
	s_xor_b64 s[78:79], exec, s[18:19]
	s_cbranch_execz .LBB6_6122
; %bb.6113:                             ;   in Loop: Header=BB6_4475 Depth=2
	v_mov_b32_e32 v36, 0
	v_cmp_ne_u32_e32 vcc, 0, v2
	s_and_saveexec_b64 s[88:89], vcc
	s_cbranch_execz .LBB6_6121
; %bb.6114:                             ;   in Loop: Header=BB6_4475 Depth=2
	v_bfe_u32 v36, v2, 23, 8
	v_cmp_gt_u32_e64 s[18:19], s53, v36
	v_sub_u32_e32 v2, 0x71, v36
	v_cmp_eq_u32_e32 vcc, 0, v36
	v_cndmask_b32_e64 v2, 0, v2, s[18:19]
	v_mov_b32_e32 v6, 0x70
	v_cndmask_b32_e32 v38, v2, v6, vcc
	v_add_u32_e32 v6, 21, v38
	v_or_b32_e32 v3, 0x800000, v27
	v_lshlrev_b64 v[6:7], v6, -1
	v_cndmask_b32_e32 v2, v3, v27, vcc
	v_mov_b32_e32 v3, v28
	v_add_u32_e32 v27, 20, v38
	v_bfi_b32 v6, v6, 0, v2
	v_lshlrev_b64 v[48:49], v27, 1
	v_lshrrev_b64 v[2:3], v38, v[2:3]
	v_bfi_b32 v7, v7, 0, 0
	v_cmp_eq_u64_e64 s[18:19], v[6:7], v[48:49]
	v_mov_b32_e32 v7, v3
	v_mov_b32_e32 v6, v2
	s_and_saveexec_b64 s[90:91], s[18:19]
; %bb.6115:                             ;   in Loop: Header=BB6_4475 Depth=2
	v_bfe_u32 v3, v2, 21, 1
	v_add_co_u32_e64 v3, s[18:19], v2, v3
	v_add_co_u32_e64 v6, s[18:19], -1, v3
; %bb.6116:                             ;   in Loop: Header=BB6_4475 Depth=2
	s_or_b64 exec, exec, s[90:91]
	v_add_u32_e32 v3, 0xffffff81, v36
	v_mov_b32_e32 v7, 0xffffff82
	v_cndmask_b32_e32 v3, v3, v7, vcc
	v_lshrrev_b32_e32 v7, 23, v2
	v_add3_u32 v36, v38, v3, v7
	v_add_u32_e32 v7, 14, v36
	v_and_b32_e32 v3, 0x1fffff, v6
	v_add_u32_e32 v27, v3, v2
	v_cmp_ne_u32_e32 vcc, 0, v7
                                        ; implicit-def: $vgpr2_vgpr3
                                        ; implicit-def: $vgpr6
	s_and_saveexec_b64 s[18:19], vcc
	s_xor_b64 s[18:19], exec, s[18:19]
; %bb.6117:                             ;   in Loop: Header=BB6_4475 Depth=2
	v_cmp_lt_u64_e32 vcc, s[62:63], v[27:28]
	v_add_u32_e32 v2, 15, v36
	v_cndmask_b32_e32 v6, v7, v2, vcc
	v_cndmask_b32_e64 v2, 0, 1, vcc
	v_lshrrev_b64 v[2:3], v2, v[27:28]
; %bb.6118:                             ;   in Loop: Header=BB6_4475 Depth=2
	s_andn2_saveexec_b64 s[18:19], s[18:19]
; %bb.6119:                             ;   in Loop: Header=BB6_4475 Depth=2
	v_mov_b32_e32 v2, v27
	v_mov_b32_e32 v3, v28
	v_bfe_u32 v6, v27, 23, 1
; %bb.6120:                             ;   in Loop: Header=BB6_4475 Depth=2
	s_or_b64 exec, exec, s[18:19]
	v_lshrrev_b64 v[2:3], 21, v[2:3]
	v_cmp_gt_i32_e32 vcc, 32, v6
	v_cndmask_b32_e32 v3, 0, v3, vcc
	v_cndmask_b32_e32 v2, 3, v2, vcc
	v_cmp_eq_u64_e64 s[18:19], 0, v[2:3]
	v_min_i32_e32 v3, 31, v6
	v_lshlrev_b32_e32 v3, 2, v3
	v_cmp_eq_u32_e32 vcc, 0, v6
	v_and_b32_e32 v3, 0xfc, v3
	v_and_or_b32 v2, v2, 3, v3
	s_and_b64 s[18:19], vcc, s[18:19]
	v_cndmask_b32_e64 v2, v2, 0, s[18:19]
	v_or_b32_e32 v36, v2, v37
.LBB6_6121:                             ;   in Loop: Header=BB6_4475 Depth=2
	s_or_b64 exec, exec, s[88:89]
                                        ; implicit-def: $vgpr37
.LBB6_6122:                             ;   in Loop: Header=BB6_4475 Depth=2
	s_andn2_saveexec_b64 s[18:19], s[78:79]
; %bb.6123:                             ;   in Loop: Header=BB6_4475 Depth=2
	v_or_b32_e32 v36, 0x7b, v37
; %bb.6124:                             ;   in Loop: Header=BB6_4475 Depth=2
	s_or_b64 exec, exec, s[18:19]
                                        ; implicit-def: $vgpr2
.LBB6_6125:                             ;   in Loop: Header=BB6_4475 Depth=2
	s_andn2_saveexec_b64 s[18:19], s[76:77]
	s_cbranch_execz .LBB6_6131
; %bb.6126:                             ;   in Loop: Header=BB6_4475 Depth=2
	v_cmp_ne_u64_e32 vcc, 0, v[27:28]
                                        ; implicit-def: $vgpr36
	s_and_saveexec_b64 s[76:77], vcc
	s_xor_b64 s[76:77], exec, s[76:77]
; %bb.6127:                             ;   in Loop: Header=BB6_4475 Depth=2
	v_or_b32_sdwa v36, v2, s54 dst_sel:DWORD dst_unused:UNUSED_PAD src0_sel:BYTE_3 src1_sel:DWORD
                                        ; implicit-def: $vgpr2
; %bb.6128:                             ;   in Loop: Header=BB6_4475 Depth=2
	s_andn2_saveexec_b64 s[76:77], s[76:77]
; %bb.6129:                             ;   in Loop: Header=BB6_4475 Depth=2
	v_cmp_lt_i32_e32 vcc, -1, v2
	v_bfrev_b32_e32 v2, 0.5
	v_mov_b32_e32 v3, 0x7c
	v_cndmask_b32_e32 v36, v2, v3, vcc
; %bb.6130:                             ;   in Loop: Header=BB6_4475 Depth=2
	s_or_b64 exec, exec, s[76:77]
.LBB6_6131:                             ;   in Loop: Header=BB6_4475 Depth=2
	s_or_b64 exec, exec, s[18:19]
	v_lshrrev_b32_e32 v2, 16, v5
	v_cmp_ne_u16_sdwa s[76:77], v2, v28 src0_sel:BYTE_0 src1_sel:DWORD
	v_mov_b32_e32 v3, 0
	v_mov_b32_e32 v6, 0
	s_and_saveexec_b64 s[18:19], s[76:77]
	s_cbranch_execz .LBB6_6139
; %bb.6132:                             ;   in Loop: Header=BB6_4475 Depth=2
	v_cmp_ne_u16_sdwa s[78:79], v2, s52 src0_sel:BYTE_0 src1_sel:DWORD
	v_bfrev_b32_e32 v6, 1
	s_and_saveexec_b64 s[76:77], s[78:79]
	s_cbranch_execz .LBB6_6138
; %bb.6133:                             ;   in Loop: Header=BB6_4475 Depth=2
	v_and_b32_e32 v6, 0x7c0000, v5
	v_bfe_u32 v7, v5, 16, 2
	v_cmp_ne_u32_e32 vcc, s55, v6
                                        ; implicit-def: $vgpr6
	s_and_saveexec_b64 s[78:79], vcc
	s_xor_b64 s[78:79], exec, s[78:79]
	s_cbranch_execz .LBB6_6135
; %bb.6134:                             ;   in Loop: Header=BB6_4475 Depth=2
	v_ffbh_u32_e32 v27, v7
	v_min_u32_e32 v27, 32, v27
	v_subrev_u32_e32 v32, 29, v27
	v_lshlrev_b64 v[37:38], v32, v[2:3]
	v_bfe_u32 v6, v5, 18, 5
	v_sub_u32_e32 v2, 30, v27
	v_and_b32_e32 v27, 3, v37
	v_cmp_eq_u32_e32 vcc, 0, v6
	v_cndmask_b32_e32 v2, v6, v2, vcc
	v_cndmask_b32_e32 v6, v7, v27, vcc
	v_lshlrev_b32_e32 v7, 8, v5
	v_and_b32_e32 v7, 0x80000000, v7
	v_lshl_add_u32 v2, v2, 23, v7
	v_lshl_or_b32 v2, v6, 21, v2
	v_add_u32_e32 v6, 0x38000000, v2
                                        ; implicit-def: $vgpr7
                                        ; implicit-def: $vgpr2
.LBB6_6135:                             ;   in Loop: Header=BB6_4475 Depth=2
	s_andn2_saveexec_b64 s[78:79], s[78:79]
; %bb.6136:                             ;   in Loop: Header=BB6_4475 Depth=2
	v_mov_b32_e32 v6, -1
	v_cmp_gt_i16_sdwa vcc, sext(v2), v6 src0_sel:BYTE_0 src1_sel:DWORD
	v_mov_b32_e32 v2, 0xff800000
	v_mov_b32_e32 v6, 0x7f800000
	v_cndmask_b32_e32 v2, v2, v6, vcc
	v_cmp_eq_u32_e32 vcc, 0, v7
	v_mov_b32_e32 v6, 0x7f800001
	v_cndmask_b32_e32 v6, v6, v2, vcc
; %bb.6137:                             ;   in Loop: Header=BB6_4475 Depth=2
	s_or_b64 exec, exec, s[78:79]
.LBB6_6138:                             ;   in Loop: Header=BB6_4475 Depth=2
	s_or_b64 exec, exec, s[76:77]
.LBB6_6139:                             ;   in Loop: Header=BB6_4475 Depth=2
	s_or_b64 exec, exec, s[18:19]
	v_lshrrev_b32_e32 v2, 16, v21
	v_cmp_ne_u16_sdwa s[76:77], v2, v28 src0_sel:BYTE_0 src1_sel:DWORD
	s_and_saveexec_b64 s[18:19], s[76:77]
	s_cbranch_execz .LBB6_6147
; %bb.6140:                             ;   in Loop: Header=BB6_4475 Depth=2
	v_cmp_ne_u16_sdwa s[78:79], v2, s52 src0_sel:BYTE_0 src1_sel:DWORD
	v_bfrev_b32_e32 v3, 1
	s_and_saveexec_b64 s[76:77], s[78:79]
	s_cbranch_execz .LBB6_6146
; %bb.6141:                             ;   in Loop: Header=BB6_4475 Depth=2
	v_and_b32_e32 v3, 0x7c0000, v21
	v_bfe_u32 v7, v21, 16, 2
	v_cmp_ne_u32_e32 vcc, s55, v3
                                        ; implicit-def: $vgpr3
	s_and_saveexec_b64 s[78:79], vcc
	s_xor_b64 s[78:79], exec, s[78:79]
	s_cbranch_execz .LBB6_6143
; %bb.6142:                             ;   in Loop: Header=BB6_4475 Depth=2
	v_ffbh_u32_e32 v3, v7
	v_min_u32_e32 v32, 32, v3
	v_subrev_u32_e32 v3, 29, v32
	v_lshlrev_b64 v[2:3], v3, v[2:3]
	v_bfe_u32 v27, v21, 18, 5
	v_and_b32_e32 v2, 3, v2
	v_cmp_eq_u32_e32 vcc, 0, v27
	v_sub_u32_e32 v3, 30, v32
	v_cndmask_b32_e32 v2, v7, v2, vcc
	v_lshlrev_b32_e32 v7, 8, v21
	v_cndmask_b32_e32 v3, v27, v3, vcc
	v_and_b32_e32 v7, 0x80000000, v7
	v_lshl_add_u32 v3, v3, 23, v7
	v_lshl_or_b32 v2, v2, 21, v3
	v_add_u32_e32 v3, 0x38000000, v2
                                        ; implicit-def: $vgpr7
                                        ; implicit-def: $vgpr2
.LBB6_6143:                             ;   in Loop: Header=BB6_4475 Depth=2
	s_andn2_saveexec_b64 s[78:79], s[78:79]
; %bb.6144:                             ;   in Loop: Header=BB6_4475 Depth=2
	v_mov_b32_e32 v3, -1
	v_cmp_gt_i16_sdwa vcc, sext(v2), v3 src0_sel:BYTE_0 src1_sel:DWORD
	v_mov_b32_e32 v2, 0xff800000
	v_mov_b32_e32 v3, 0x7f800000
	v_cndmask_b32_e32 v2, v2, v3, vcc
	v_cmp_eq_u32_e32 vcc, 0, v7
	v_mov_b32_e32 v3, 0x7f800001
	v_cndmask_b32_e32 v3, v3, v2, vcc
; %bb.6145:                             ;   in Loop: Header=BB6_4475 Depth=2
	s_or_b64 exec, exec, s[78:79]
.LBB6_6146:                             ;   in Loop: Header=BB6_4475 Depth=2
	s_or_b64 exec, exec, s[76:77]
.LBB6_6147:                             ;   in Loop: Header=BB6_4475 Depth=2
	s_or_b64 exec, exec, s[18:19]
	v_mul_f32_e32 v2, v6, v3
	v_and_b32_e32 v6, 0x7f800000, v2
	v_mov_b32_e32 v7, v28
	v_cmp_ne_u64_e32 vcc, s[58:59], v[6:7]
	v_and_b32_e32 v27, 0x7fffff, v2
                                        ; implicit-def: $vgpr6
	s_and_saveexec_b64 s[18:19], vcc
	s_xor_b64 s[76:77], exec, s[18:19]
	s_cbranch_execz .LBB6_6161
; %bb.6148:                             ;   in Loop: Header=BB6_4475 Depth=2
	v_and_b32_e32 v6, 0x7fffffff, v2
	v_mov_b32_e32 v7, v28
	v_cmp_gt_u64_e32 vcc, s[60:61], v[6:7]
	v_and_b32_sdwa v37, v2, s52 dst_sel:DWORD dst_unused:UNUSED_PAD src0_sel:BYTE_3 src1_sel:DWORD
                                        ; implicit-def: $vgpr6
	s_and_saveexec_b64 s[18:19], vcc
	s_xor_b64 s[78:79], exec, s[18:19]
	s_cbranch_execz .LBB6_6158
; %bb.6149:                             ;   in Loop: Header=BB6_4475 Depth=2
	v_mov_b32_e32 v6, 0
	v_cmp_ne_u32_e32 vcc, 0, v2
	s_and_saveexec_b64 s[88:89], vcc
	s_cbranch_execz .LBB6_6157
; %bb.6150:                             ;   in Loop: Header=BB6_4475 Depth=2
	v_bfe_u32 v38, v2, 23, 8
	v_cmp_gt_u32_e64 s[18:19], s53, v38
	v_sub_u32_e32 v2, 0x71, v38
	v_cmp_eq_u32_e32 vcc, 0, v38
	v_cndmask_b32_e64 v2, 0, v2, s[18:19]
	v_mov_b32_e32 v6, 0x70
	v_cndmask_b32_e32 v39, v2, v6, vcc
	v_add_u32_e32 v6, 21, v39
	v_or_b32_e32 v3, 0x800000, v27
	v_lshlrev_b64 v[6:7], v6, -1
	v_cndmask_b32_e32 v2, v3, v27, vcc
	v_mov_b32_e32 v3, v28
	v_add_u32_e32 v27, 20, v39
	v_bfi_b32 v6, v6, 0, v2
	v_lshlrev_b64 v[48:49], v27, 1
	v_lshrrev_b64 v[2:3], v39, v[2:3]
	v_bfi_b32 v7, v7, 0, 0
	v_cmp_eq_u64_e64 s[18:19], v[6:7], v[48:49]
	v_mov_b32_e32 v7, v3
	v_mov_b32_e32 v6, v2
	s_and_saveexec_b64 s[90:91], s[18:19]
; %bb.6151:                             ;   in Loop: Header=BB6_4475 Depth=2
	v_bfe_u32 v3, v2, 21, 1
	v_add_co_u32_e64 v3, s[18:19], v2, v3
	v_add_co_u32_e64 v6, s[18:19], -1, v3
; %bb.6152:                             ;   in Loop: Header=BB6_4475 Depth=2
	s_or_b64 exec, exec, s[90:91]
	v_add_u32_e32 v3, 0xffffff81, v38
	v_mov_b32_e32 v7, 0xffffff82
	v_cndmask_b32_e32 v3, v3, v7, vcc
	v_lshrrev_b32_e32 v7, 23, v2
	v_add3_u32 v38, v39, v3, v7
	v_add_u32_e32 v7, 14, v38
	v_and_b32_e32 v3, 0x1fffff, v6
	v_add_u32_e32 v27, v3, v2
	v_cmp_ne_u32_e32 vcc, 0, v7
                                        ; implicit-def: $vgpr2_vgpr3
                                        ; implicit-def: $vgpr6
	s_and_saveexec_b64 s[18:19], vcc
	s_xor_b64 s[18:19], exec, s[18:19]
; %bb.6153:                             ;   in Loop: Header=BB6_4475 Depth=2
	v_cmp_lt_u64_e32 vcc, s[62:63], v[27:28]
	v_add_u32_e32 v2, 15, v38
	v_cndmask_b32_e32 v6, v7, v2, vcc
	v_cndmask_b32_e64 v2, 0, 1, vcc
	v_lshrrev_b64 v[2:3], v2, v[27:28]
; %bb.6154:                             ;   in Loop: Header=BB6_4475 Depth=2
	s_andn2_saveexec_b64 s[18:19], s[18:19]
; %bb.6155:                             ;   in Loop: Header=BB6_4475 Depth=2
	v_mov_b32_e32 v2, v27
	v_mov_b32_e32 v3, v28
	v_bfe_u32 v6, v27, 23, 1
; %bb.6156:                             ;   in Loop: Header=BB6_4475 Depth=2
	s_or_b64 exec, exec, s[18:19]
	v_lshrrev_b64 v[2:3], 21, v[2:3]
	v_cmp_gt_i32_e32 vcc, 32, v6
	v_cndmask_b32_e32 v3, 0, v3, vcc
	v_cndmask_b32_e32 v2, 3, v2, vcc
	v_cmp_eq_u64_e64 s[18:19], 0, v[2:3]
	v_min_i32_e32 v3, 31, v6
	v_lshlrev_b32_e32 v3, 2, v3
	v_cmp_eq_u32_e32 vcc, 0, v6
	v_and_b32_e32 v3, 0xfc, v3
	v_and_or_b32 v2, v2, 3, v3
	s_and_b64 s[18:19], vcc, s[18:19]
	v_cndmask_b32_e64 v2, v2, 0, s[18:19]
	v_or_b32_e32 v6, v2, v37
.LBB6_6157:                             ;   in Loop: Header=BB6_4475 Depth=2
	s_or_b64 exec, exec, s[88:89]
                                        ; implicit-def: $vgpr37
.LBB6_6158:                             ;   in Loop: Header=BB6_4475 Depth=2
	s_andn2_saveexec_b64 s[18:19], s[78:79]
; %bb.6159:                             ;   in Loop: Header=BB6_4475 Depth=2
	v_or_b32_e32 v6, 0x7b, v37
; %bb.6160:                             ;   in Loop: Header=BB6_4475 Depth=2
	s_or_b64 exec, exec, s[18:19]
                                        ; implicit-def: $vgpr2
.LBB6_6161:                             ;   in Loop: Header=BB6_4475 Depth=2
	s_andn2_saveexec_b64 s[18:19], s[76:77]
	s_cbranch_execz .LBB6_6167
; %bb.6162:                             ;   in Loop: Header=BB6_4475 Depth=2
	v_cmp_ne_u64_e32 vcc, 0, v[27:28]
                                        ; implicit-def: $vgpr6
	s_and_saveexec_b64 s[76:77], vcc
	s_xor_b64 s[76:77], exec, s[76:77]
; %bb.6163:                             ;   in Loop: Header=BB6_4475 Depth=2
	v_or_b32_sdwa v6, v2, s54 dst_sel:DWORD dst_unused:UNUSED_PAD src0_sel:BYTE_3 src1_sel:DWORD
                                        ; implicit-def: $vgpr2
; %bb.6164:                             ;   in Loop: Header=BB6_4475 Depth=2
	s_andn2_saveexec_b64 s[76:77], s[76:77]
; %bb.6165:                             ;   in Loop: Header=BB6_4475 Depth=2
	v_cmp_lt_i32_e32 vcc, -1, v2
	v_bfrev_b32_e32 v2, 0.5
	v_mov_b32_e32 v3, 0x7c
	v_cndmask_b32_e32 v6, v2, v3, vcc
; %bb.6166:                             ;   in Loop: Header=BB6_4475 Depth=2
	s_or_b64 exec, exec, s[76:77]
.LBB6_6167:                             ;   in Loop: Header=BB6_4475 Depth=2
	s_or_b64 exec, exec, s[18:19]
	v_cmp_lt_u64_e32 vcc, s[56:57], v[4:5]
	v_mov_b32_e32 v3, 0
	v_mov_b32_e32 v7, 0
	s_and_saveexec_b64 s[18:19], vcc
	s_cbranch_execz .LBB6_6175
; %bb.6168:                             ;   in Loop: Header=BB6_4475 Depth=2
	v_lshrrev_b32_e32 v2, 24, v5
	v_cmp_ne_u32_e32 vcc, s52, v2
	v_bfrev_b32_e32 v7, 1
	s_and_saveexec_b64 s[76:77], vcc
	s_cbranch_execz .LBB6_6174
; %bb.6169:                             ;   in Loop: Header=BB6_4475 Depth=2
	v_and_b32_e32 v7, 0x7c000000, v5
	v_bfe_u32 v27, v5, 24, 2
	v_cmp_ne_u32_e32 vcc, s64, v7
                                        ; implicit-def: $vgpr7
	s_and_saveexec_b64 s[78:79], vcc
	s_xor_b64 s[78:79], exec, s[78:79]
	s_cbranch_execz .LBB6_6171
; %bb.6170:                             ;   in Loop: Header=BB6_4475 Depth=2
	v_ffbh_u32_e32 v7, v27
	v_min_u32_e32 v7, 32, v7
	v_subrev_u32_e32 v32, 29, v7
	v_bfe_u32 v4, v5, 26, 5
	v_lshlrev_b64 v[37:38], v32, v[2:3]
	v_sub_u32_e32 v2, 30, v7
	v_cmp_eq_u32_e32 vcc, 0, v4
	v_and_b32_e32 v7, 3, v37
	v_cndmask_b32_e32 v2, v4, v2, vcc
	v_and_b32_e32 v5, 0x80000000, v5
	v_cndmask_b32_e32 v4, v27, v7, vcc
	v_lshl_add_u32 v2, v2, 23, v5
	v_lshl_or_b32 v2, v4, 21, v2
	v_add_u32_e32 v7, 0x38000000, v2
                                        ; implicit-def: $vgpr27
                                        ; implicit-def: $vgpr4_vgpr5
.LBB6_6171:                             ;   in Loop: Header=BB6_4475 Depth=2
	s_andn2_saveexec_b64 s[78:79], s[78:79]
; %bb.6172:                             ;   in Loop: Header=BB6_4475 Depth=2
	v_cmp_lt_i64_e32 vcc, -1, v[4:5]
	v_mov_b32_e32 v2, 0xff800000
	v_mov_b32_e32 v4, 0x7f800000
	v_cndmask_b32_e32 v2, v2, v4, vcc
	v_cmp_eq_u32_e32 vcc, 0, v27
	v_mov_b32_e32 v4, 0x7f800001
	v_cndmask_b32_e32 v7, v4, v2, vcc
; %bb.6173:                             ;   in Loop: Header=BB6_4475 Depth=2
	s_or_b64 exec, exec, s[78:79]
.LBB6_6174:                             ;   in Loop: Header=BB6_4475 Depth=2
	s_or_b64 exec, exec, s[76:77]
.LBB6_6175:                             ;   in Loop: Header=BB6_4475 Depth=2
	s_or_b64 exec, exec, s[18:19]
	v_cmp_lt_u64_e32 vcc, s[56:57], v[20:21]
	s_and_saveexec_b64 s[18:19], vcc
	s_cbranch_execz .LBB6_6183
; %bb.6176:                             ;   in Loop: Header=BB6_4475 Depth=2
	v_lshrrev_b32_e32 v2, 24, v21
	v_cmp_ne_u32_e32 vcc, s52, v2
	v_bfrev_b32_e32 v3, 1
	s_and_saveexec_b64 s[76:77], vcc
	s_cbranch_execz .LBB6_6182
; %bb.6177:                             ;   in Loop: Header=BB6_4475 Depth=2
	v_and_b32_e32 v3, 0x7c000000, v21
	v_bfe_u32 v4, v21, 24, 2
	v_cmp_ne_u32_e32 vcc, s64, v3
                                        ; implicit-def: $vgpr3
	s_and_saveexec_b64 s[78:79], vcc
	s_xor_b64 s[78:79], exec, s[78:79]
	s_cbranch_execz .LBB6_6179
; %bb.6178:                             ;   in Loop: Header=BB6_4475 Depth=2
	v_ffbh_u32_e32 v3, v4
	v_min_u32_e32 v20, 32, v3
	v_subrev_u32_e32 v3, 29, v20
	v_lshlrev_b64 v[2:3], v3, v[2:3]
	v_bfe_u32 v5, v21, 26, 5
	v_sub_u32_e32 v3, 30, v20
	v_and_b32_e32 v2, 3, v2
	v_cmp_eq_u32_e32 vcc, 0, v5
	v_cndmask_b32_e32 v3, v5, v3, vcc
	v_cndmask_b32_e32 v2, v4, v2, vcc
	v_and_b32_e32 v4, 0x80000000, v21
	v_lshl_add_u32 v3, v3, 23, v4
	v_lshl_or_b32 v2, v2, 21, v3
	v_add_u32_e32 v3, 0x38000000, v2
                                        ; implicit-def: $vgpr4
                                        ; implicit-def: $vgpr20_vgpr21
.LBB6_6179:                             ;   in Loop: Header=BB6_4475 Depth=2
	s_andn2_saveexec_b64 s[78:79], s[78:79]
; %bb.6180:                             ;   in Loop: Header=BB6_4475 Depth=2
	v_cmp_lt_i64_e32 vcc, -1, v[20:21]
	v_mov_b32_e32 v2, 0xff800000
	v_mov_b32_e32 v3, 0x7f800000
	v_cndmask_b32_e32 v2, v2, v3, vcc
	v_cmp_eq_u32_e32 vcc, 0, v4
	v_mov_b32_e32 v3, 0x7f800001
	v_cndmask_b32_e32 v3, v3, v2, vcc
; %bb.6181:                             ;   in Loop: Header=BB6_4475 Depth=2
	s_or_b64 exec, exec, s[78:79]
.LBB6_6182:                             ;   in Loop: Header=BB6_4475 Depth=2
	s_or_b64 exec, exec, s[76:77]
.LBB6_6183:                             ;   in Loop: Header=BB6_4475 Depth=2
	s_or_b64 exec, exec, s[18:19]
	v_mul_f32_e32 v2, v7, v3
	v_and_b32_e32 v3, 0x7f800000, v2
	v_mov_b32_e32 v4, v28
	v_cmp_ne_u64_e32 vcc, s[58:59], v[3:4]
	v_and_b32_e32 v27, 0x7fffff, v2
                                        ; implicit-def: $vgpr5
	s_and_saveexec_b64 s[18:19], vcc
	s_xor_b64 s[76:77], exec, s[18:19]
	s_cbranch_execz .LBB6_6197
; %bb.6184:                             ;   in Loop: Header=BB6_4475 Depth=2
	v_and_b32_e32 v3, 0x7fffffff, v2
	v_mov_b32_e32 v4, v28
	v_cmp_gt_u64_e32 vcc, s[60:61], v[3:4]
	v_and_b32_sdwa v7, v2, s52 dst_sel:DWORD dst_unused:UNUSED_PAD src0_sel:BYTE_3 src1_sel:DWORD
                                        ; implicit-def: $vgpr5
	s_and_saveexec_b64 s[18:19], vcc
	s_xor_b64 s[78:79], exec, s[18:19]
	s_cbranch_execz .LBB6_6194
; %bb.6185:                             ;   in Loop: Header=BB6_4475 Depth=2
	v_mov_b32_e32 v5, 0
	v_cmp_ne_u32_e32 vcc, 0, v2
	s_and_saveexec_b64 s[88:89], vcc
	s_cbranch_execz .LBB6_6193
; %bb.6186:                             ;   in Loop: Header=BB6_4475 Depth=2
	v_bfe_u32 v5, v2, 23, 8
	v_cmp_gt_u32_e64 s[18:19], s53, v5
	v_sub_u32_e32 v2, 0x71, v5
	v_cmp_eq_u32_e32 vcc, 0, v5
	v_cndmask_b32_e64 v2, 0, v2, s[18:19]
	v_mov_b32_e32 v4, 0x70
	v_cndmask_b32_e32 v20, v2, v4, vcc
	v_add_u32_e32 v4, 21, v20
	v_or_b32_e32 v3, 0x800000, v27
	v_lshlrev_b64 v[37:38], v4, -1
	v_cndmask_b32_e32 v2, v3, v27, vcc
	v_mov_b32_e32 v3, v28
	v_add_u32_e32 v4, 20, v20
	v_bfi_b32 v37, v37, 0, v2
	v_lshlrev_b64 v[48:49], v4, 1
	v_lshrrev_b64 v[2:3], v20, v[2:3]
	v_bfi_b32 v38, v38, 0, 0
	v_cmp_eq_u64_e64 s[18:19], v[37:38], v[48:49]
	v_mov_b32_e32 v4, v3
	v_mov_b32_e32 v3, v2
	s_and_saveexec_b64 s[90:91], s[18:19]
; %bb.6187:                             ;   in Loop: Header=BB6_4475 Depth=2
	v_bfe_u32 v3, v2, 21, 1
	v_add_co_u32_e64 v3, s[18:19], v2, v3
	v_add_co_u32_e64 v3, s[18:19], -1, v3
; %bb.6188:                             ;   in Loop: Header=BB6_4475 Depth=2
	s_or_b64 exec, exec, s[90:91]
	v_add_u32_e32 v4, 0xffffff81, v5
	v_mov_b32_e32 v5, 0xffffff82
	v_cndmask_b32_e32 v4, v4, v5, vcc
	v_lshrrev_b32_e32 v5, 23, v2
	v_add3_u32 v20, v20, v4, v5
	v_add_u32_e32 v5, 14, v20
	v_and_b32_e32 v3, 0x1fffff, v3
	v_add_u32_e32 v27, v3, v2
	v_cmp_ne_u32_e32 vcc, 0, v5
                                        ; implicit-def: $vgpr2_vgpr3
                                        ; implicit-def: $vgpr4
	s_and_saveexec_b64 s[18:19], vcc
	s_xor_b64 s[18:19], exec, s[18:19]
; %bb.6189:                             ;   in Loop: Header=BB6_4475 Depth=2
	v_cmp_lt_u64_e32 vcc, s[62:63], v[27:28]
	v_add_u32_e32 v2, 15, v20
	v_cndmask_b32_e32 v4, v5, v2, vcc
	v_cndmask_b32_e64 v2, 0, 1, vcc
	v_lshrrev_b64 v[2:3], v2, v[27:28]
; %bb.6190:                             ;   in Loop: Header=BB6_4475 Depth=2
	s_andn2_saveexec_b64 s[18:19], s[18:19]
; %bb.6191:                             ;   in Loop: Header=BB6_4475 Depth=2
	v_mov_b32_e32 v2, v27
	v_mov_b32_e32 v3, v28
	v_bfe_u32 v4, v27, 23, 1
; %bb.6192:                             ;   in Loop: Header=BB6_4475 Depth=2
	s_or_b64 exec, exec, s[18:19]
	v_lshrrev_b64 v[2:3], 21, v[2:3]
	v_cmp_gt_i32_e32 vcc, 32, v4
	v_cndmask_b32_e32 v3, 0, v3, vcc
	v_cndmask_b32_e32 v2, 3, v2, vcc
	v_cmp_eq_u64_e64 s[18:19], 0, v[2:3]
	v_min_i32_e32 v3, 31, v4
	v_lshlrev_b32_e32 v3, 2, v3
	v_cmp_eq_u32_e32 vcc, 0, v4
	v_and_b32_e32 v3, 0xfc, v3
	v_and_or_b32 v2, v2, 3, v3
	s_and_b64 s[18:19], vcc, s[18:19]
	v_cndmask_b32_e64 v2, v2, 0, s[18:19]
	v_or_b32_e32 v5, v2, v7
.LBB6_6193:                             ;   in Loop: Header=BB6_4475 Depth=2
	s_or_b64 exec, exec, s[88:89]
                                        ; implicit-def: $vgpr7
.LBB6_6194:                             ;   in Loop: Header=BB6_4475 Depth=2
	s_andn2_saveexec_b64 s[18:19], s[78:79]
; %bb.6195:                             ;   in Loop: Header=BB6_4475 Depth=2
	v_or_b32_e32 v5, 0x7b, v7
; %bb.6196:                             ;   in Loop: Header=BB6_4475 Depth=2
	s_or_b64 exec, exec, s[18:19]
                                        ; implicit-def: $vgpr2
.LBB6_6197:                             ;   in Loop: Header=BB6_4475 Depth=2
	s_andn2_saveexec_b64 s[18:19], s[76:77]
	s_cbranch_execz .LBB6_6203
; %bb.6198:                             ;   in Loop: Header=BB6_4475 Depth=2
	v_cmp_ne_u64_e32 vcc, 0, v[27:28]
                                        ; implicit-def: $vgpr5
	s_and_saveexec_b64 s[76:77], vcc
	s_xor_b64 s[76:77], exec, s[76:77]
; %bb.6199:                             ;   in Loop: Header=BB6_4475 Depth=2
	v_or_b32_sdwa v5, v2, s54 dst_sel:DWORD dst_unused:UNUSED_PAD src0_sel:BYTE_3 src1_sel:DWORD
                                        ; implicit-def: $vgpr2
; %bb.6200:                             ;   in Loop: Header=BB6_4475 Depth=2
	s_andn2_saveexec_b64 s[76:77], s[76:77]
; %bb.6201:                             ;   in Loop: Header=BB6_4475 Depth=2
	v_cmp_lt_i32_e32 vcc, -1, v2
	v_bfrev_b32_e32 v2, 0.5
	v_mov_b32_e32 v3, 0x7c
	v_cndmask_b32_e32 v5, v2, v3, vcc
; %bb.6202:                             ;   in Loop: Header=BB6_4475 Depth=2
	s_or_b64 exec, exec, s[76:77]
.LBB6_6203:                             ;   in Loop: Header=BB6_4475 Depth=2
	s_or_b64 exec, exec, s[18:19]
	v_cmp_ne_u16_sdwa s[76:77], v14, v28 src0_sel:BYTE_0 src1_sel:DWORD
	v_mov_b32_e32 v2, 0
	v_mov_b32_e32 v3, 0
	s_and_saveexec_b64 s[18:19], s[76:77]
	s_cbranch_execz .LBB6_6211
; %bb.6204:                             ;   in Loop: Header=BB6_4475 Depth=2
	v_cmp_ne_u16_sdwa s[78:79], sext(v14), s49 src0_sel:BYTE_0 src1_sel:DWORD
	v_bfrev_b32_e32 v3, 1
	s_and_saveexec_b64 s[76:77], s[78:79]
	s_cbranch_execz .LBB6_6210
; %bb.6205:                             ;   in Loop: Header=BB6_4475 Depth=2
	v_and_b32_e32 v3, 0x7c, v14
	v_and_b32_e32 v4, 3, v14
	v_cmp_ne_u32_e32 vcc, s50, v3
                                        ; implicit-def: $vgpr3
	s_and_saveexec_b64 s[78:79], vcc
	s_xor_b64 s[78:79], exec, s[78:79]
	s_cbranch_execz .LBB6_6207
; %bb.6206:                             ;   in Loop: Header=BB6_4475 Depth=2
	v_ffbh_u32_e32 v7, v4
	v_min_u32_e32 v7, 32, v7
	v_bfe_u32 v3, v14, 2, 5
	v_subrev_u32_e32 v20, 29, v7
	v_lshlrev_b64 v[20:21], v20, v[14:15]
	v_sub_u32_e32 v7, 30, v7
	v_cmp_eq_u32_e32 vcc, 0, v3
	v_cndmask_b32_e32 v3, v3, v7, vcc
	v_lshlrev_b32_e32 v7, 24, v14
	v_and_b32_e32 v20, 3, v20
	v_and_b32_e32 v7, 0x80000000, v7
	v_cndmask_b32_e32 v4, v4, v20, vcc
	v_lshl_add_u32 v3, v3, 23, v7
	v_lshl_or_b32 v3, v4, 21, v3
	v_add_u32_e32 v3, 0x38000000, v3
                                        ; implicit-def: $vgpr4
.LBB6_6207:                             ;   in Loop: Header=BB6_4475 Depth=2
	s_andn2_saveexec_b64 s[78:79], s[78:79]
; %bb.6208:                             ;   in Loop: Header=BB6_4475 Depth=2
	v_mov_b32_e32 v3, -1
	v_cmp_gt_i16_sdwa vcc, sext(v14), v3 src0_sel:BYTE_0 src1_sel:DWORD
	v_mov_b32_e32 v3, 0xff800000
	v_mov_b32_e32 v7, 0x7f800000
	v_cndmask_b32_e32 v3, v3, v7, vcc
	v_cmp_eq_u32_e32 vcc, 0, v4
	v_mov_b32_e32 v4, 0x7f800001
	v_cndmask_b32_e32 v3, v4, v3, vcc
; %bb.6209:                             ;   in Loop: Header=BB6_4475 Depth=2
	s_or_b64 exec, exec, s[78:79]
.LBB6_6210:                             ;   in Loop: Header=BB6_4475 Depth=2
	s_or_b64 exec, exec, s[76:77]
.LBB6_6211:                             ;   in Loop: Header=BB6_4475 Depth=2
	s_or_b64 exec, exec, s[18:19]
	s_waitcnt vmcnt(0)
	v_cmp_ne_u16_sdwa s[76:77], v10, v28 src0_sel:BYTE_0 src1_sel:DWORD
	s_and_saveexec_b64 s[18:19], s[76:77]
	s_cbranch_execz .LBB6_6219
; %bb.6212:                             ;   in Loop: Header=BB6_4475 Depth=2
	v_cmp_ne_u16_sdwa s[78:79], sext(v10), s49 src0_sel:BYTE_0 src1_sel:DWORD
	v_bfrev_b32_e32 v2, 1
	s_and_saveexec_b64 s[76:77], s[78:79]
	s_cbranch_execz .LBB6_6218
; %bb.6213:                             ;   in Loop: Header=BB6_4475 Depth=2
	v_and_b32_e32 v2, 0x7c, v10
	v_and_b32_e32 v4, 3, v10
	v_cmp_ne_u32_e32 vcc, s50, v2
                                        ; implicit-def: $vgpr2
	s_and_saveexec_b64 s[78:79], vcc
	s_xor_b64 s[78:79], exec, s[78:79]
	s_cbranch_execz .LBB6_6215
; %bb.6214:                             ;   in Loop: Header=BB6_4475 Depth=2
	v_ffbh_u32_e32 v7, v4
	v_min_u32_e32 v7, 32, v7
	v_bfe_u32 v2, v10, 2, 5
	v_subrev_u32_e32 v20, 29, v7
	v_lshlrev_b64 v[20:21], v20, v[10:11]
	v_sub_u32_e32 v7, 30, v7
	v_cmp_eq_u32_e32 vcc, 0, v2
	v_cndmask_b32_e32 v2, v2, v7, vcc
	v_lshlrev_b32_e32 v7, 24, v10
	v_and_b32_e32 v20, 3, v20
	v_and_b32_e32 v7, 0x80000000, v7
	v_cndmask_b32_e32 v4, v4, v20, vcc
	v_lshl_add_u32 v2, v2, 23, v7
	v_lshl_or_b32 v2, v4, 21, v2
	v_add_u32_e32 v2, 0x38000000, v2
                                        ; implicit-def: $vgpr4
.LBB6_6215:                             ;   in Loop: Header=BB6_4475 Depth=2
	s_andn2_saveexec_b64 s[78:79], s[78:79]
; %bb.6216:                             ;   in Loop: Header=BB6_4475 Depth=2
	v_mov_b32_e32 v2, -1
	v_cmp_gt_i16_sdwa vcc, sext(v10), v2 src0_sel:BYTE_0 src1_sel:DWORD
	v_mov_b32_e32 v2, 0xff800000
	v_mov_b32_e32 v7, 0x7f800000
	v_cndmask_b32_e32 v2, v2, v7, vcc
	v_cmp_eq_u32_e32 vcc, 0, v4
	v_mov_b32_e32 v4, 0x7f800001
	v_cndmask_b32_e32 v2, v4, v2, vcc
; %bb.6217:                             ;   in Loop: Header=BB6_4475 Depth=2
	s_or_b64 exec, exec, s[78:79]
.LBB6_6218:                             ;   in Loop: Header=BB6_4475 Depth=2
	s_or_b64 exec, exec, s[76:77]
.LBB6_6219:                             ;   in Loop: Header=BB6_4475 Depth=2
	s_or_b64 exec, exec, s[18:19]
	v_mul_f32_e32 v2, v3, v2
	v_and_b32_e32 v3, 0x7f800000, v2
	v_mov_b32_e32 v4, v28
	v_cmp_ne_u64_e32 vcc, s[58:59], v[3:4]
	v_and_b32_e32 v27, 0x7fffff, v2
                                        ; implicit-def: $vgpr7
	s_and_saveexec_b64 s[18:19], vcc
	s_xor_b64 s[76:77], exec, s[18:19]
	s_cbranch_execz .LBB6_6233
; %bb.6220:                             ;   in Loop: Header=BB6_4475 Depth=2
	v_and_b32_e32 v3, 0x7fffffff, v2
	v_mov_b32_e32 v4, v28
	v_cmp_gt_u64_e32 vcc, s[60:61], v[3:4]
	v_and_b32_sdwa v20, v2, s52 dst_sel:DWORD dst_unused:UNUSED_PAD src0_sel:BYTE_3 src1_sel:DWORD
                                        ; implicit-def: $vgpr7
	s_and_saveexec_b64 s[18:19], vcc
	s_xor_b64 s[78:79], exec, s[18:19]
	s_cbranch_execz .LBB6_6230
; %bb.6221:                             ;   in Loop: Header=BB6_4475 Depth=2
	v_mov_b32_e32 v7, 0
	v_cmp_ne_u32_e32 vcc, 0, v2
	s_and_saveexec_b64 s[88:89], vcc
	s_cbranch_execz .LBB6_6229
; %bb.6222:                             ;   in Loop: Header=BB6_4475 Depth=2
	v_bfe_u32 v7, v2, 23, 8
	v_cmp_gt_u32_e64 s[18:19], s53, v7
	v_sub_u32_e32 v2, 0x71, v7
	v_cmp_eq_u32_e32 vcc, 0, v7
	v_cndmask_b32_e64 v2, 0, v2, s[18:19]
	v_mov_b32_e32 v4, 0x70
	v_cndmask_b32_e32 v21, v2, v4, vcc
	v_add_u32_e32 v4, 21, v21
	v_or_b32_e32 v3, 0x800000, v27
	v_lshlrev_b64 v[37:38], v4, -1
	v_cndmask_b32_e32 v2, v3, v27, vcc
	v_mov_b32_e32 v3, v28
	v_add_u32_e32 v4, 20, v21
	v_bfi_b32 v37, v37, 0, v2
	v_lshlrev_b64 v[48:49], v4, 1
	v_lshrrev_b64 v[2:3], v21, v[2:3]
	v_bfi_b32 v38, v38, 0, 0
	v_cmp_eq_u64_e64 s[18:19], v[37:38], v[48:49]
	v_mov_b32_e32 v4, v3
	v_mov_b32_e32 v3, v2
	s_and_saveexec_b64 s[90:91], s[18:19]
; %bb.6223:                             ;   in Loop: Header=BB6_4475 Depth=2
	v_bfe_u32 v3, v2, 21, 1
	v_add_co_u32_e64 v3, s[18:19], v2, v3
	v_add_co_u32_e64 v3, s[18:19], -1, v3
; %bb.6224:                             ;   in Loop: Header=BB6_4475 Depth=2
	s_or_b64 exec, exec, s[90:91]
	v_add_u32_e32 v4, 0xffffff81, v7
	v_mov_b32_e32 v7, 0xffffff82
	v_cndmask_b32_e32 v4, v4, v7, vcc
	v_lshrrev_b32_e32 v7, 23, v2
	v_add3_u32 v21, v21, v4, v7
	v_add_u32_e32 v7, 14, v21
	v_and_b32_e32 v3, 0x1fffff, v3
	v_add_u32_e32 v27, v3, v2
	v_cmp_ne_u32_e32 vcc, 0, v7
                                        ; implicit-def: $vgpr2_vgpr3
                                        ; implicit-def: $vgpr4
	s_and_saveexec_b64 s[18:19], vcc
	s_xor_b64 s[18:19], exec, s[18:19]
; %bb.6225:                             ;   in Loop: Header=BB6_4475 Depth=2
	v_cmp_lt_u64_e32 vcc, s[62:63], v[27:28]
	v_add_u32_e32 v2, 15, v21
	v_cndmask_b32_e32 v4, v7, v2, vcc
	v_cndmask_b32_e64 v2, 0, 1, vcc
	v_lshrrev_b64 v[2:3], v2, v[27:28]
; %bb.6226:                             ;   in Loop: Header=BB6_4475 Depth=2
	s_andn2_saveexec_b64 s[18:19], s[18:19]
; %bb.6227:                             ;   in Loop: Header=BB6_4475 Depth=2
	v_mov_b32_e32 v2, v27
	v_mov_b32_e32 v3, v28
	v_bfe_u32 v4, v27, 23, 1
; %bb.6228:                             ;   in Loop: Header=BB6_4475 Depth=2
	s_or_b64 exec, exec, s[18:19]
	v_lshrrev_b64 v[2:3], 21, v[2:3]
	v_cmp_gt_i32_e32 vcc, 32, v4
	v_cndmask_b32_e32 v3, 0, v3, vcc
	v_cndmask_b32_e32 v2, 3, v2, vcc
	v_cmp_eq_u64_e64 s[18:19], 0, v[2:3]
	v_min_i32_e32 v3, 31, v4
	v_lshlrev_b32_e32 v3, 2, v3
	v_cmp_eq_u32_e32 vcc, 0, v4
	v_and_b32_e32 v3, 0xfc, v3
	v_and_or_b32 v2, v2, 3, v3
	s_and_b64 s[18:19], vcc, s[18:19]
	v_cndmask_b32_e64 v2, v2, 0, s[18:19]
	v_or_b32_e32 v7, v2, v20
.LBB6_6229:                             ;   in Loop: Header=BB6_4475 Depth=2
	s_or_b64 exec, exec, s[88:89]
                                        ; implicit-def: $vgpr20
.LBB6_6230:                             ;   in Loop: Header=BB6_4475 Depth=2
	s_andn2_saveexec_b64 s[18:19], s[78:79]
; %bb.6231:                             ;   in Loop: Header=BB6_4475 Depth=2
	v_or_b32_e32 v7, 0x7b, v20
; %bb.6232:                             ;   in Loop: Header=BB6_4475 Depth=2
	s_or_b64 exec, exec, s[18:19]
                                        ; implicit-def: $vgpr2
.LBB6_6233:                             ;   in Loop: Header=BB6_4475 Depth=2
	s_andn2_saveexec_b64 s[18:19], s[76:77]
	s_cbranch_execz .LBB6_6239
; %bb.6234:                             ;   in Loop: Header=BB6_4475 Depth=2
	v_cmp_ne_u64_e32 vcc, 0, v[27:28]
                                        ; implicit-def: $vgpr7
	s_and_saveexec_b64 s[76:77], vcc
	s_xor_b64 s[76:77], exec, s[76:77]
; %bb.6235:                             ;   in Loop: Header=BB6_4475 Depth=2
	v_or_b32_sdwa v7, v2, s54 dst_sel:DWORD dst_unused:UNUSED_PAD src0_sel:BYTE_3 src1_sel:DWORD
                                        ; implicit-def: $vgpr2
; %bb.6236:                             ;   in Loop: Header=BB6_4475 Depth=2
	s_andn2_saveexec_b64 s[76:77], s[76:77]
; %bb.6237:                             ;   in Loop: Header=BB6_4475 Depth=2
	v_cmp_lt_i32_e32 vcc, -1, v2
	v_bfrev_b32_e32 v2, 0.5
	v_mov_b32_e32 v3, 0x7c
	v_cndmask_b32_e32 v7, v2, v3, vcc
; %bb.6238:                             ;   in Loop: Header=BB6_4475 Depth=2
	s_or_b64 exec, exec, s[76:77]
.LBB6_6239:                             ;   in Loop: Header=BB6_4475 Depth=2
	s_or_b64 exec, exec, s[18:19]
	v_lshrrev_b16_e32 v2, 8, v14
	v_cmp_ne_u16_e32 vcc, 0, v2
	v_mov_b32_e32 v4, 0
	v_mov_b32_e32 v20, 0
	s_and_saveexec_b64 s[18:19], vcc
	s_cbranch_execz .LBB6_6247
; %bb.6240:                             ;   in Loop: Header=BB6_4475 Depth=2
	v_cmp_ne_u16_e32 vcc, s52, v2
	v_bfrev_b32_e32 v20, 1
	s_and_saveexec_b64 s[76:77], vcc
	s_cbranch_execz .LBB6_6246
; %bb.6241:                             ;   in Loop: Header=BB6_4475 Depth=2
	v_and_b32_e32 v3, 0x7c, v2
	v_and_b32_e32 v21, 3, v2
	v_cmp_ne_u32_e32 vcc, s50, v3
                                        ; implicit-def: $vgpr20
	s_and_saveexec_b64 s[78:79], vcc
	s_xor_b64 s[78:79], exec, s[78:79]
	s_cbranch_execz .LBB6_6243
; %bb.6242:                             ;   in Loop: Header=BB6_4475 Depth=2
	v_ffbh_u32_e32 v27, v21
	v_min_u32_e32 v27, 32, v27
	v_mov_b32_e32 v3, v28
	v_subrev_u32_e32 v32, 29, v27
	v_bfe_u32 v20, v2, 2, 5
	v_lshlrev_b64 v[2:3], v32, v[2:3]
	v_sub_u32_e32 v3, 30, v27
	v_cmp_eq_u32_e32 vcc, 0, v20
	v_cndmask_b32_e32 v3, v20, v3, vcc
	v_lshlrev_b32_e32 v20, 16, v14
	v_and_b32_e32 v2, 3, v2
	v_and_b32_e32 v20, 0x80000000, v20
	v_cndmask_b32_e32 v2, v21, v2, vcc
	v_lshl_add_u32 v3, v3, 23, v20
	v_lshl_or_b32 v2, v2, 21, v3
	v_add_u32_e32 v20, 0x38000000, v2
                                        ; implicit-def: $vgpr21
.LBB6_6243:                             ;   in Loop: Header=BB6_4475 Depth=2
	s_andn2_saveexec_b64 s[78:79], s[78:79]
; %bb.6244:                             ;   in Loop: Header=BB6_4475 Depth=2
	v_cmp_lt_i16_e32 vcc, -1, v14
	v_mov_b32_e32 v2, 0xff800000
	v_mov_b32_e32 v3, 0x7f800000
	v_cndmask_b32_e32 v2, v2, v3, vcc
	v_cmp_eq_u32_e32 vcc, 0, v21
	v_mov_b32_e32 v3, 0x7f800001
	v_cndmask_b32_e32 v20, v3, v2, vcc
; %bb.6245:                             ;   in Loop: Header=BB6_4475 Depth=2
	s_or_b64 exec, exec, s[78:79]
.LBB6_6246:                             ;   in Loop: Header=BB6_4475 Depth=2
	s_or_b64 exec, exec, s[76:77]
.LBB6_6247:                             ;   in Loop: Header=BB6_4475 Depth=2
	s_or_b64 exec, exec, s[18:19]
	v_lshrrev_b16_e32 v2, 8, v10
	v_cmp_ne_u16_e32 vcc, 0, v2
	s_and_saveexec_b64 s[18:19], vcc
	s_cbranch_execz .LBB6_6255
; %bb.6248:                             ;   in Loop: Header=BB6_4475 Depth=2
	v_cmp_ne_u16_e32 vcc, s52, v2
	v_bfrev_b32_e32 v4, 1
	s_and_saveexec_b64 s[76:77], vcc
	s_cbranch_execz .LBB6_6254
; %bb.6249:                             ;   in Loop: Header=BB6_4475 Depth=2
	v_and_b32_e32 v3, 0x7c, v2
	v_and_b32_e32 v21, 3, v2
	v_cmp_ne_u32_e32 vcc, s50, v3
                                        ; implicit-def: $vgpr4
	s_and_saveexec_b64 s[78:79], vcc
	s_xor_b64 s[78:79], exec, s[78:79]
	s_cbranch_execz .LBB6_6251
; %bb.6250:                             ;   in Loop: Header=BB6_4475 Depth=2
	v_ffbh_u32_e32 v27, v21
	v_min_u32_e32 v27, 32, v27
	v_mov_b32_e32 v3, v28
	v_subrev_u32_e32 v32, 29, v27
	v_bfe_u32 v4, v2, 2, 5
	v_lshlrev_b64 v[2:3], v32, v[2:3]
	v_sub_u32_e32 v3, 30, v27
	v_cmp_eq_u32_e32 vcc, 0, v4
	v_cndmask_b32_e32 v3, v4, v3, vcc
	v_lshlrev_b32_e32 v4, 16, v10
	v_and_b32_e32 v2, 3, v2
	v_and_b32_e32 v4, 0x80000000, v4
	v_cndmask_b32_e32 v2, v21, v2, vcc
	v_lshl_add_u32 v3, v3, 23, v4
	v_lshl_or_b32 v2, v2, 21, v3
	v_add_u32_e32 v4, 0x38000000, v2
                                        ; implicit-def: $vgpr21
.LBB6_6251:                             ;   in Loop: Header=BB6_4475 Depth=2
	s_andn2_saveexec_b64 s[78:79], s[78:79]
; %bb.6252:                             ;   in Loop: Header=BB6_4475 Depth=2
	v_cmp_lt_i16_e32 vcc, -1, v10
	v_mov_b32_e32 v2, 0xff800000
	v_mov_b32_e32 v3, 0x7f800000
	v_cndmask_b32_e32 v2, v2, v3, vcc
	v_cmp_eq_u32_e32 vcc, 0, v21
	v_mov_b32_e32 v3, 0x7f800001
	v_cndmask_b32_e32 v4, v3, v2, vcc
; %bb.6253:                             ;   in Loop: Header=BB6_4475 Depth=2
	s_or_b64 exec, exec, s[78:79]
.LBB6_6254:                             ;   in Loop: Header=BB6_4475 Depth=2
	s_or_b64 exec, exec, s[76:77]
.LBB6_6255:                             ;   in Loop: Header=BB6_4475 Depth=2
	s_or_b64 exec, exec, s[18:19]
	v_mul_f32_e32 v2, v20, v4
	v_and_b32_e32 v3, 0x7f800000, v2
	v_mov_b32_e32 v4, v28
	v_cmp_ne_u64_e32 vcc, s[58:59], v[3:4]
	v_and_b32_e32 v27, 0x7fffff, v2
                                        ; implicit-def: $vgpr20
	s_and_saveexec_b64 s[18:19], vcc
	s_xor_b64 s[76:77], exec, s[18:19]
	s_cbranch_execz .LBB6_6269
; %bb.6256:                             ;   in Loop: Header=BB6_4475 Depth=2
	v_and_b32_e32 v3, 0x7fffffff, v2
	v_mov_b32_e32 v4, v28
	v_cmp_gt_u64_e32 vcc, s[60:61], v[3:4]
	v_and_b32_sdwa v21, v2, s52 dst_sel:DWORD dst_unused:UNUSED_PAD src0_sel:BYTE_3 src1_sel:DWORD
                                        ; implicit-def: $vgpr20
	s_and_saveexec_b64 s[18:19], vcc
	s_xor_b64 s[78:79], exec, s[18:19]
	s_cbranch_execz .LBB6_6266
; %bb.6257:                             ;   in Loop: Header=BB6_4475 Depth=2
	v_mov_b32_e32 v20, 0
	v_cmp_ne_u32_e32 vcc, 0, v2
	s_and_saveexec_b64 s[88:89], vcc
	s_cbranch_execz .LBB6_6265
; %bb.6258:                             ;   in Loop: Header=BB6_4475 Depth=2
	v_bfe_u32 v20, v2, 23, 8
	v_cmp_gt_u32_e64 s[18:19], s53, v20
	v_sub_u32_e32 v2, 0x71, v20
	v_cmp_eq_u32_e32 vcc, 0, v20
	v_cndmask_b32_e64 v2, 0, v2, s[18:19]
	v_mov_b32_e32 v4, 0x70
	v_cndmask_b32_e32 v37, v2, v4, vcc
	v_add_u32_e32 v4, 21, v37
	v_or_b32_e32 v3, 0x800000, v27
	v_lshlrev_b64 v[38:39], v4, -1
	v_cndmask_b32_e32 v2, v3, v27, vcc
	v_mov_b32_e32 v3, v28
	v_add_u32_e32 v4, 20, v37
	v_bfi_b32 v38, v38, 0, v2
	v_lshlrev_b64 v[48:49], v4, 1
	v_lshrrev_b64 v[2:3], v37, v[2:3]
	v_bfi_b32 v39, v39, 0, 0
	v_cmp_eq_u64_e64 s[18:19], v[38:39], v[48:49]
	v_mov_b32_e32 v4, v3
	v_mov_b32_e32 v3, v2
	s_and_saveexec_b64 s[90:91], s[18:19]
; %bb.6259:                             ;   in Loop: Header=BB6_4475 Depth=2
	v_bfe_u32 v3, v2, 21, 1
	v_add_co_u32_e64 v3, s[18:19], v2, v3
	v_add_co_u32_e64 v3, s[18:19], -1, v3
; %bb.6260:                             ;   in Loop: Header=BB6_4475 Depth=2
	s_or_b64 exec, exec, s[90:91]
	v_add_u32_e32 v4, 0xffffff81, v20
	v_mov_b32_e32 v20, 0xffffff82
	v_cndmask_b32_e32 v4, v4, v20, vcc
	v_lshrrev_b32_e32 v20, 23, v2
	v_add3_u32 v37, v37, v4, v20
	v_add_u32_e32 v20, 14, v37
	v_and_b32_e32 v3, 0x1fffff, v3
	v_add_u32_e32 v27, v3, v2
	v_cmp_ne_u32_e32 vcc, 0, v20
                                        ; implicit-def: $vgpr2_vgpr3
                                        ; implicit-def: $vgpr4
	s_and_saveexec_b64 s[18:19], vcc
	s_xor_b64 s[18:19], exec, s[18:19]
; %bb.6261:                             ;   in Loop: Header=BB6_4475 Depth=2
	v_cmp_lt_u64_e32 vcc, s[62:63], v[27:28]
	v_add_u32_e32 v2, 15, v37
	v_cndmask_b32_e32 v4, v20, v2, vcc
	v_cndmask_b32_e64 v2, 0, 1, vcc
	v_lshrrev_b64 v[2:3], v2, v[27:28]
; %bb.6262:                             ;   in Loop: Header=BB6_4475 Depth=2
	s_andn2_saveexec_b64 s[18:19], s[18:19]
; %bb.6263:                             ;   in Loop: Header=BB6_4475 Depth=2
	v_mov_b32_e32 v2, v27
	v_mov_b32_e32 v3, v28
	v_bfe_u32 v4, v27, 23, 1
; %bb.6264:                             ;   in Loop: Header=BB6_4475 Depth=2
	s_or_b64 exec, exec, s[18:19]
	v_lshrrev_b64 v[2:3], 21, v[2:3]
	v_cmp_gt_i32_e32 vcc, 32, v4
	v_cndmask_b32_e32 v3, 0, v3, vcc
	v_cndmask_b32_e32 v2, 3, v2, vcc
	v_cmp_eq_u64_e64 s[18:19], 0, v[2:3]
	v_min_i32_e32 v3, 31, v4
	v_lshlrev_b32_e32 v3, 2, v3
	v_cmp_eq_u32_e32 vcc, 0, v4
	v_and_b32_e32 v3, 0xfc, v3
	v_and_or_b32 v2, v2, 3, v3
	s_and_b64 s[18:19], vcc, s[18:19]
	v_cndmask_b32_e64 v2, v2, 0, s[18:19]
	v_or_b32_e32 v20, v2, v21
.LBB6_6265:                             ;   in Loop: Header=BB6_4475 Depth=2
	s_or_b64 exec, exec, s[88:89]
                                        ; implicit-def: $vgpr21
.LBB6_6266:                             ;   in Loop: Header=BB6_4475 Depth=2
	s_andn2_saveexec_b64 s[18:19], s[78:79]
; %bb.6267:                             ;   in Loop: Header=BB6_4475 Depth=2
	v_or_b32_e32 v20, 0x7b, v21
; %bb.6268:                             ;   in Loop: Header=BB6_4475 Depth=2
	s_or_b64 exec, exec, s[18:19]
                                        ; implicit-def: $vgpr2
.LBB6_6269:                             ;   in Loop: Header=BB6_4475 Depth=2
	s_andn2_saveexec_b64 s[18:19], s[76:77]
	s_cbranch_execz .LBB6_6275
; %bb.6270:                             ;   in Loop: Header=BB6_4475 Depth=2
	v_cmp_ne_u64_e32 vcc, 0, v[27:28]
                                        ; implicit-def: $vgpr20
	s_and_saveexec_b64 s[76:77], vcc
	s_xor_b64 s[76:77], exec, s[76:77]
; %bb.6271:                             ;   in Loop: Header=BB6_4475 Depth=2
	v_or_b32_sdwa v20, v2, s54 dst_sel:DWORD dst_unused:UNUSED_PAD src0_sel:BYTE_3 src1_sel:DWORD
                                        ; implicit-def: $vgpr2
; %bb.6272:                             ;   in Loop: Header=BB6_4475 Depth=2
	s_andn2_saveexec_b64 s[76:77], s[76:77]
; %bb.6273:                             ;   in Loop: Header=BB6_4475 Depth=2
	v_cmp_lt_i32_e32 vcc, -1, v2
	v_bfrev_b32_e32 v2, 0.5
	v_mov_b32_e32 v3, 0x7c
	v_cndmask_b32_e32 v20, v2, v3, vcc
; %bb.6274:                             ;   in Loop: Header=BB6_4475 Depth=2
	s_or_b64 exec, exec, s[76:77]
.LBB6_6275:                             ;   in Loop: Header=BB6_4475 Depth=2
	s_or_b64 exec, exec, s[18:19]
	v_lshrrev_b32_e32 v2, 16, v14
	v_cmp_ne_u16_sdwa s[76:77], v2, v28 src0_sel:BYTE_0 src1_sel:DWORD
	v_mov_b32_e32 v3, 0
	v_mov_b32_e32 v4, 0
	s_and_saveexec_b64 s[18:19], s[76:77]
	s_cbranch_execz .LBB6_6283
; %bb.6276:                             ;   in Loop: Header=BB6_4475 Depth=2
	v_cmp_ne_u16_sdwa s[78:79], v2, s52 src0_sel:BYTE_0 src1_sel:DWORD
	v_bfrev_b32_e32 v4, 1
	s_and_saveexec_b64 s[76:77], s[78:79]
	s_cbranch_execz .LBB6_6282
; %bb.6277:                             ;   in Loop: Header=BB6_4475 Depth=2
	v_and_b32_e32 v4, 0x7c0000, v14
	v_bfe_u32 v21, v14, 16, 2
	v_cmp_ne_u32_e32 vcc, s55, v4
                                        ; implicit-def: $vgpr4
	s_and_saveexec_b64 s[78:79], vcc
	s_xor_b64 s[78:79], exec, s[78:79]
	s_cbranch_execz .LBB6_6279
; %bb.6278:                             ;   in Loop: Header=BB6_4475 Depth=2
	v_ffbh_u32_e32 v27, v21
	v_min_u32_e32 v27, 32, v27
	v_subrev_u32_e32 v32, 29, v27
	v_lshlrev_b64 v[37:38], v32, v[2:3]
	v_bfe_u32 v4, v14, 18, 5
	v_sub_u32_e32 v2, 30, v27
	v_and_b32_e32 v27, 3, v37
	v_cmp_eq_u32_e32 vcc, 0, v4
	v_cndmask_b32_e32 v2, v4, v2, vcc
	v_cndmask_b32_e32 v4, v21, v27, vcc
	v_lshlrev_b32_e32 v21, 8, v14
	v_and_b32_e32 v21, 0x80000000, v21
	v_lshl_add_u32 v2, v2, 23, v21
	v_lshl_or_b32 v2, v4, 21, v2
	v_add_u32_e32 v4, 0x38000000, v2
                                        ; implicit-def: $vgpr21
                                        ; implicit-def: $vgpr2
.LBB6_6279:                             ;   in Loop: Header=BB6_4475 Depth=2
	s_andn2_saveexec_b64 s[78:79], s[78:79]
; %bb.6280:                             ;   in Loop: Header=BB6_4475 Depth=2
	v_mov_b32_e32 v4, -1
	v_cmp_gt_i16_sdwa vcc, sext(v2), v4 src0_sel:BYTE_0 src1_sel:DWORD
	v_mov_b32_e32 v2, 0xff800000
	v_mov_b32_e32 v4, 0x7f800000
	v_cndmask_b32_e32 v2, v2, v4, vcc
	v_cmp_eq_u32_e32 vcc, 0, v21
	v_mov_b32_e32 v4, 0x7f800001
	v_cndmask_b32_e32 v4, v4, v2, vcc
; %bb.6281:                             ;   in Loop: Header=BB6_4475 Depth=2
	s_or_b64 exec, exec, s[78:79]
.LBB6_6282:                             ;   in Loop: Header=BB6_4475 Depth=2
	s_or_b64 exec, exec, s[76:77]
.LBB6_6283:                             ;   in Loop: Header=BB6_4475 Depth=2
	s_or_b64 exec, exec, s[18:19]
	v_lshrrev_b32_e32 v2, 16, v10
	v_cmp_ne_u16_sdwa s[76:77], v2, v28 src0_sel:BYTE_0 src1_sel:DWORD
	s_and_saveexec_b64 s[18:19], s[76:77]
	s_cbranch_execz .LBB6_6291
; %bb.6284:                             ;   in Loop: Header=BB6_4475 Depth=2
	v_cmp_ne_u16_sdwa s[78:79], v2, s52 src0_sel:BYTE_0 src1_sel:DWORD
	v_bfrev_b32_e32 v3, 1
	s_and_saveexec_b64 s[76:77], s[78:79]
	s_cbranch_execz .LBB6_6290
; %bb.6285:                             ;   in Loop: Header=BB6_4475 Depth=2
	v_and_b32_e32 v3, 0x7c0000, v10
	v_bfe_u32 v21, v10, 16, 2
	v_cmp_ne_u32_e32 vcc, s55, v3
                                        ; implicit-def: $vgpr3
	s_and_saveexec_b64 s[78:79], vcc
	s_xor_b64 s[78:79], exec, s[78:79]
	s_cbranch_execz .LBB6_6287
; %bb.6286:                             ;   in Loop: Header=BB6_4475 Depth=2
	v_ffbh_u32_e32 v3, v21
	v_min_u32_e32 v32, 32, v3
	v_subrev_u32_e32 v3, 29, v32
	v_lshlrev_b64 v[2:3], v3, v[2:3]
	v_bfe_u32 v27, v10, 18, 5
	v_and_b32_e32 v2, 3, v2
	v_cmp_eq_u32_e32 vcc, 0, v27
	v_sub_u32_e32 v3, 30, v32
	v_cndmask_b32_e32 v2, v21, v2, vcc
	v_lshlrev_b32_e32 v21, 8, v10
	v_cndmask_b32_e32 v3, v27, v3, vcc
	v_and_b32_e32 v21, 0x80000000, v21
	v_lshl_add_u32 v3, v3, 23, v21
	v_lshl_or_b32 v2, v2, 21, v3
	v_add_u32_e32 v3, 0x38000000, v2
                                        ; implicit-def: $vgpr21
                                        ; implicit-def: $vgpr2
.LBB6_6287:                             ;   in Loop: Header=BB6_4475 Depth=2
	s_andn2_saveexec_b64 s[78:79], s[78:79]
; %bb.6288:                             ;   in Loop: Header=BB6_4475 Depth=2
	v_mov_b32_e32 v3, -1
	v_cmp_gt_i16_sdwa vcc, sext(v2), v3 src0_sel:BYTE_0 src1_sel:DWORD
	v_mov_b32_e32 v2, 0xff800000
	v_mov_b32_e32 v3, 0x7f800000
	v_cndmask_b32_e32 v2, v2, v3, vcc
	v_cmp_eq_u32_e32 vcc, 0, v21
	v_mov_b32_e32 v3, 0x7f800001
	v_cndmask_b32_e32 v3, v3, v2, vcc
; %bb.6289:                             ;   in Loop: Header=BB6_4475 Depth=2
	s_or_b64 exec, exec, s[78:79]
.LBB6_6290:                             ;   in Loop: Header=BB6_4475 Depth=2
	s_or_b64 exec, exec, s[76:77]
.LBB6_6291:                             ;   in Loop: Header=BB6_4475 Depth=2
	s_or_b64 exec, exec, s[18:19]
	v_mul_f32_e32 v2, v4, v3
	v_and_b32_e32 v3, 0x7f800000, v2
	v_mov_b32_e32 v4, v28
	v_cmp_ne_u64_e32 vcc, s[58:59], v[3:4]
	v_and_b32_e32 v27, 0x7fffff, v2
                                        ; implicit-def: $vgpr21
	s_and_saveexec_b64 s[18:19], vcc
	s_xor_b64 s[76:77], exec, s[18:19]
	s_cbranch_execz .LBB6_6305
; %bb.6292:                             ;   in Loop: Header=BB6_4475 Depth=2
	v_and_b32_e32 v3, 0x7fffffff, v2
	v_mov_b32_e32 v4, v28
	v_cmp_gt_u64_e32 vcc, s[60:61], v[3:4]
	v_and_b32_sdwa v37, v2, s52 dst_sel:DWORD dst_unused:UNUSED_PAD src0_sel:BYTE_3 src1_sel:DWORD
                                        ; implicit-def: $vgpr21
	s_and_saveexec_b64 s[18:19], vcc
	s_xor_b64 s[78:79], exec, s[18:19]
	s_cbranch_execz .LBB6_6302
; %bb.6293:                             ;   in Loop: Header=BB6_4475 Depth=2
	v_mov_b32_e32 v21, 0
	v_cmp_ne_u32_e32 vcc, 0, v2
	s_and_saveexec_b64 s[88:89], vcc
	s_cbranch_execz .LBB6_6301
; %bb.6294:                             ;   in Loop: Header=BB6_4475 Depth=2
	v_bfe_u32 v21, v2, 23, 8
	v_cmp_gt_u32_e64 s[18:19], s53, v21
	v_sub_u32_e32 v2, 0x71, v21
	v_cmp_eq_u32_e32 vcc, 0, v21
	v_cndmask_b32_e64 v2, 0, v2, s[18:19]
	v_mov_b32_e32 v4, 0x70
	v_cndmask_b32_e32 v38, v2, v4, vcc
	v_add_u32_e32 v4, 21, v38
	v_or_b32_e32 v3, 0x800000, v27
	v_lshlrev_b64 v[48:49], v4, -1
	v_cndmask_b32_e32 v2, v3, v27, vcc
	v_mov_b32_e32 v3, v28
	v_add_u32_e32 v4, 20, v38
	v_bfi_b32 v48, v48, 0, v2
	v_lshlrev_b64 v[45:46], v4, 1
	v_lshrrev_b64 v[2:3], v38, v[2:3]
	v_bfi_b32 v49, v49, 0, 0
	v_cmp_eq_u64_e64 s[18:19], v[48:49], v[45:46]
	v_mov_b32_e32 v4, v3
	v_mov_b32_e32 v3, v2
	s_and_saveexec_b64 s[90:91], s[18:19]
; %bb.6295:                             ;   in Loop: Header=BB6_4475 Depth=2
	v_bfe_u32 v3, v2, 21, 1
	v_add_co_u32_e64 v3, s[18:19], v2, v3
	v_add_co_u32_e64 v3, s[18:19], -1, v3
; %bb.6296:                             ;   in Loop: Header=BB6_4475 Depth=2
	s_or_b64 exec, exec, s[90:91]
	v_add_u32_e32 v4, 0xffffff81, v21
	v_mov_b32_e32 v21, 0xffffff82
	v_cndmask_b32_e32 v4, v4, v21, vcc
	v_lshrrev_b32_e32 v21, 23, v2
	v_add3_u32 v38, v38, v4, v21
	v_add_u32_e32 v21, 14, v38
	v_and_b32_e32 v3, 0x1fffff, v3
	v_add_u32_e32 v27, v3, v2
	v_cmp_ne_u32_e32 vcc, 0, v21
                                        ; implicit-def: $vgpr2_vgpr3
                                        ; implicit-def: $vgpr4
	s_and_saveexec_b64 s[18:19], vcc
	s_xor_b64 s[18:19], exec, s[18:19]
; %bb.6297:                             ;   in Loop: Header=BB6_4475 Depth=2
	v_cmp_lt_u64_e32 vcc, s[62:63], v[27:28]
	v_add_u32_e32 v2, 15, v38
	v_cndmask_b32_e32 v4, v21, v2, vcc
	v_cndmask_b32_e64 v2, 0, 1, vcc
	v_lshrrev_b64 v[2:3], v2, v[27:28]
; %bb.6298:                             ;   in Loop: Header=BB6_4475 Depth=2
	s_andn2_saveexec_b64 s[18:19], s[18:19]
; %bb.6299:                             ;   in Loop: Header=BB6_4475 Depth=2
	v_mov_b32_e32 v2, v27
	v_mov_b32_e32 v3, v28
	v_bfe_u32 v4, v27, 23, 1
; %bb.6300:                             ;   in Loop: Header=BB6_4475 Depth=2
	s_or_b64 exec, exec, s[18:19]
	v_lshrrev_b64 v[2:3], 21, v[2:3]
	v_cmp_gt_i32_e32 vcc, 32, v4
	v_cndmask_b32_e32 v3, 0, v3, vcc
	v_cndmask_b32_e32 v2, 3, v2, vcc
	v_cmp_eq_u64_e64 s[18:19], 0, v[2:3]
	v_min_i32_e32 v3, 31, v4
	v_lshlrev_b32_e32 v3, 2, v3
	v_cmp_eq_u32_e32 vcc, 0, v4
	v_and_b32_e32 v3, 0xfc, v3
	v_and_or_b32 v2, v2, 3, v3
	s_and_b64 s[18:19], vcc, s[18:19]
	v_cndmask_b32_e64 v2, v2, 0, s[18:19]
	v_or_b32_e32 v21, v2, v37
.LBB6_6301:                             ;   in Loop: Header=BB6_4475 Depth=2
	s_or_b64 exec, exec, s[88:89]
                                        ; implicit-def: $vgpr37
.LBB6_6302:                             ;   in Loop: Header=BB6_4475 Depth=2
	s_andn2_saveexec_b64 s[18:19], s[78:79]
; %bb.6303:                             ;   in Loop: Header=BB6_4475 Depth=2
	v_or_b32_e32 v21, 0x7b, v37
; %bb.6304:                             ;   in Loop: Header=BB6_4475 Depth=2
	s_or_b64 exec, exec, s[18:19]
                                        ; implicit-def: $vgpr2
.LBB6_6305:                             ;   in Loop: Header=BB6_4475 Depth=2
	s_andn2_saveexec_b64 s[18:19], s[76:77]
	s_cbranch_execz .LBB6_6311
; %bb.6306:                             ;   in Loop: Header=BB6_4475 Depth=2
	v_cmp_ne_u64_e32 vcc, 0, v[27:28]
                                        ; implicit-def: $vgpr21
	s_and_saveexec_b64 s[76:77], vcc
	s_xor_b64 s[76:77], exec, s[76:77]
; %bb.6307:                             ;   in Loop: Header=BB6_4475 Depth=2
	v_or_b32_sdwa v21, v2, s54 dst_sel:DWORD dst_unused:UNUSED_PAD src0_sel:BYTE_3 src1_sel:DWORD
                                        ; implicit-def: $vgpr2
; %bb.6308:                             ;   in Loop: Header=BB6_4475 Depth=2
	s_andn2_saveexec_b64 s[76:77], s[76:77]
; %bb.6309:                             ;   in Loop: Header=BB6_4475 Depth=2
	v_cmp_lt_i32_e32 vcc, -1, v2
	v_bfrev_b32_e32 v2, 0.5
	v_mov_b32_e32 v3, 0x7c
	v_cndmask_b32_e32 v21, v2, v3, vcc
; %bb.6310:                             ;   in Loop: Header=BB6_4475 Depth=2
	s_or_b64 exec, exec, s[76:77]
.LBB6_6311:                             ;   in Loop: Header=BB6_4475 Depth=2
	s_or_b64 exec, exec, s[18:19]
	v_cmp_lt_u32_e32 vcc, s57, v14
	v_mov_b32_e32 v3, 0
	v_mov_b32_e32 v4, 0
	s_and_saveexec_b64 s[18:19], vcc
	s_cbranch_execz .LBB6_6319
; %bb.6312:                             ;   in Loop: Header=BB6_4475 Depth=2
	v_lshrrev_b32_e32 v2, 24, v14
	v_cmp_ne_u32_e32 vcc, s52, v2
	v_bfrev_b32_e32 v4, 1
	s_and_saveexec_b64 s[76:77], vcc
	s_cbranch_execz .LBB6_6318
; %bb.6313:                             ;   in Loop: Header=BB6_4475 Depth=2
	v_and_b32_e32 v4, 0x7c000000, v14
	v_bfe_u32 v27, v14, 24, 2
	v_cmp_ne_u32_e32 vcc, s64, v4
                                        ; implicit-def: $vgpr4
	s_and_saveexec_b64 s[78:79], vcc
	s_xor_b64 s[78:79], exec, s[78:79]
	s_cbranch_execz .LBB6_6315
; %bb.6314:                             ;   in Loop: Header=BB6_4475 Depth=2
	v_ffbh_u32_e32 v32, v27
	v_min_u32_e32 v32, 32, v32
	v_subrev_u32_e32 v33, 29, v32
	v_lshlrev_b64 v[37:38], v33, v[2:3]
	v_bfe_u32 v4, v14, 26, 5
	v_sub_u32_e32 v2, 30, v32
	v_and_b32_e32 v32, 3, v37
	v_cmp_eq_u32_e32 vcc, 0, v4
	v_cndmask_b32_e32 v2, v4, v2, vcc
	v_cndmask_b32_e32 v4, v27, v32, vcc
	v_and_b32_e32 v27, 0x80000000, v14
	v_lshl_add_u32 v2, v2, 23, v27
	v_lshl_or_b32 v2, v4, 21, v2
	v_add_u32_e32 v4, 0x38000000, v2
                                        ; implicit-def: $vgpr27
.LBB6_6315:                             ;   in Loop: Header=BB6_4475 Depth=2
	s_andn2_saveexec_b64 s[78:79], s[78:79]
; %bb.6316:                             ;   in Loop: Header=BB6_4475 Depth=2
	v_cmp_lt_i32_e32 vcc, -1, v14
	v_mov_b32_e32 v2, 0xff800000
	v_mov_b32_e32 v4, 0x7f800000
	v_cndmask_b32_e32 v2, v2, v4, vcc
	v_cmp_eq_u32_e32 vcc, 0, v27
	v_mov_b32_e32 v4, 0x7f800001
	v_cndmask_b32_e32 v4, v4, v2, vcc
; %bb.6317:                             ;   in Loop: Header=BB6_4475 Depth=2
	s_or_b64 exec, exec, s[78:79]
.LBB6_6318:                             ;   in Loop: Header=BB6_4475 Depth=2
	s_or_b64 exec, exec, s[76:77]
.LBB6_6319:                             ;   in Loop: Header=BB6_4475 Depth=2
	s_or_b64 exec, exec, s[18:19]
	v_cmp_lt_u32_e32 vcc, s57, v10
	s_and_saveexec_b64 s[18:19], vcc
	s_cbranch_execz .LBB6_6327
; %bb.6320:                             ;   in Loop: Header=BB6_4475 Depth=2
	v_lshrrev_b32_e32 v2, 24, v10
	v_cmp_ne_u32_e32 vcc, s52, v2
	v_bfrev_b32_e32 v3, 1
	s_and_saveexec_b64 s[76:77], vcc
	s_cbranch_execz .LBB6_6326
; %bb.6321:                             ;   in Loop: Header=BB6_4475 Depth=2
	v_and_b32_e32 v3, 0x7c000000, v10
	v_bfe_u32 v27, v10, 24, 2
	v_cmp_ne_u32_e32 vcc, s64, v3
                                        ; implicit-def: $vgpr3
	s_and_saveexec_b64 s[78:79], vcc
	s_xor_b64 s[78:79], exec, s[78:79]
	s_cbranch_execz .LBB6_6323
; %bb.6322:                             ;   in Loop: Header=BB6_4475 Depth=2
	v_ffbh_u32_e32 v3, v27
	v_min_u32_e32 v33, 32, v3
	v_subrev_u32_e32 v3, 29, v33
	v_lshlrev_b64 v[2:3], v3, v[2:3]
	v_bfe_u32 v32, v10, 26, 5
	v_sub_u32_e32 v3, 30, v33
	v_and_b32_e32 v2, 3, v2
	v_cmp_eq_u32_e32 vcc, 0, v32
	v_cndmask_b32_e32 v3, v32, v3, vcc
	v_cndmask_b32_e32 v2, v27, v2, vcc
	v_and_b32_e32 v27, 0x80000000, v10
	v_lshl_add_u32 v3, v3, 23, v27
	v_lshl_or_b32 v2, v2, 21, v3
	v_add_u32_e32 v3, 0x38000000, v2
                                        ; implicit-def: $vgpr27
.LBB6_6323:                             ;   in Loop: Header=BB6_4475 Depth=2
	s_andn2_saveexec_b64 s[78:79], s[78:79]
; %bb.6324:                             ;   in Loop: Header=BB6_4475 Depth=2
	v_cmp_lt_i32_e32 vcc, -1, v10
	v_mov_b32_e32 v2, 0xff800000
	v_mov_b32_e32 v3, 0x7f800000
	v_cndmask_b32_e32 v2, v2, v3, vcc
	v_cmp_eq_u32_e32 vcc, 0, v27
	v_mov_b32_e32 v3, 0x7f800001
	v_cndmask_b32_e32 v3, v3, v2, vcc
; %bb.6325:                             ;   in Loop: Header=BB6_4475 Depth=2
	s_or_b64 exec, exec, s[78:79]
.LBB6_6326:                             ;   in Loop: Header=BB6_4475 Depth=2
	s_or_b64 exec, exec, s[76:77]
.LBB6_6327:                             ;   in Loop: Header=BB6_4475 Depth=2
	s_or_b64 exec, exec, s[18:19]
	v_mul_f32_e32 v2, v4, v3
	v_and_b32_e32 v3, 0x7f800000, v2
	v_mov_b32_e32 v4, v28
	v_cmp_ne_u64_e32 vcc, s[58:59], v[3:4]
	v_and_b32_e32 v27, 0x7fffff, v2
                                        ; implicit-def: $vgpr37
	s_and_saveexec_b64 s[18:19], vcc
	s_xor_b64 s[76:77], exec, s[18:19]
	s_cbranch_execz .LBB6_6341
; %bb.6328:                             ;   in Loop: Header=BB6_4475 Depth=2
	v_and_b32_e32 v3, 0x7fffffff, v2
	v_mov_b32_e32 v4, v28
	v_cmp_gt_u64_e32 vcc, s[60:61], v[3:4]
	v_and_b32_sdwa v38, v2, s52 dst_sel:DWORD dst_unused:UNUSED_PAD src0_sel:BYTE_3 src1_sel:DWORD
                                        ; implicit-def: $vgpr37
	s_and_saveexec_b64 s[18:19], vcc
	s_xor_b64 s[78:79], exec, s[18:19]
	s_cbranch_execz .LBB6_6338
; %bb.6329:                             ;   in Loop: Header=BB6_4475 Depth=2
	v_mov_b32_e32 v37, 0
	v_cmp_ne_u32_e32 vcc, 0, v2
	s_and_saveexec_b64 s[88:89], vcc
	s_cbranch_execz .LBB6_6337
; %bb.6330:                             ;   in Loop: Header=BB6_4475 Depth=2
	v_bfe_u32 v37, v2, 23, 8
	v_cmp_gt_u32_e64 s[18:19], s53, v37
	v_sub_u32_e32 v2, 0x71, v37
	v_cmp_eq_u32_e32 vcc, 0, v37
	v_cndmask_b32_e64 v2, 0, v2, s[18:19]
	v_mov_b32_e32 v4, 0x70
	v_cndmask_b32_e32 v39, v2, v4, vcc
	v_add_u32_e32 v4, 21, v39
	v_or_b32_e32 v3, 0x800000, v27
	v_lshlrev_b64 v[48:49], v4, -1
	v_cndmask_b32_e32 v2, v3, v27, vcc
	v_mov_b32_e32 v3, v28
	v_add_u32_e32 v4, 20, v39
	v_bfi_b32 v48, v48, 0, v2
	v_lshlrev_b64 v[45:46], v4, 1
	v_lshrrev_b64 v[2:3], v39, v[2:3]
	v_bfi_b32 v49, v49, 0, 0
	v_cmp_eq_u64_e64 s[18:19], v[48:49], v[45:46]
	v_mov_b32_e32 v4, v3
	v_mov_b32_e32 v3, v2
	s_and_saveexec_b64 s[90:91], s[18:19]
; %bb.6331:                             ;   in Loop: Header=BB6_4475 Depth=2
	v_bfe_u32 v3, v2, 21, 1
	v_add_co_u32_e64 v3, s[18:19], v2, v3
	v_add_co_u32_e64 v3, s[18:19], -1, v3
; %bb.6332:                             ;   in Loop: Header=BB6_4475 Depth=2
	s_or_b64 exec, exec, s[90:91]
	v_add_u32_e32 v4, 0xffffff81, v37
	v_mov_b32_e32 v27, 0xffffff82
	v_cndmask_b32_e32 v4, v4, v27, vcc
	v_lshrrev_b32_e32 v27, 23, v2
	v_add3_u32 v39, v39, v4, v27
	v_add_u32_e32 v37, 14, v39
	v_and_b32_e32 v3, 0x1fffff, v3
	v_add_u32_e32 v27, v3, v2
	v_cmp_ne_u32_e32 vcc, 0, v37
                                        ; implicit-def: $vgpr2_vgpr3
                                        ; implicit-def: $vgpr4
	s_and_saveexec_b64 s[18:19], vcc
	s_xor_b64 s[18:19], exec, s[18:19]
; %bb.6333:                             ;   in Loop: Header=BB6_4475 Depth=2
	v_cmp_lt_u64_e32 vcc, s[62:63], v[27:28]
	v_add_u32_e32 v2, 15, v39
	v_cndmask_b32_e32 v4, v37, v2, vcc
	v_cndmask_b32_e64 v2, 0, 1, vcc
	v_lshrrev_b64 v[2:3], v2, v[27:28]
; %bb.6334:                             ;   in Loop: Header=BB6_4475 Depth=2
	s_andn2_saveexec_b64 s[18:19], s[18:19]
; %bb.6335:                             ;   in Loop: Header=BB6_4475 Depth=2
	v_mov_b32_e32 v2, v27
	v_mov_b32_e32 v3, v28
	v_bfe_u32 v4, v27, 23, 1
; %bb.6336:                             ;   in Loop: Header=BB6_4475 Depth=2
	s_or_b64 exec, exec, s[18:19]
	v_lshrrev_b64 v[2:3], 21, v[2:3]
	v_cmp_gt_i32_e32 vcc, 32, v4
	v_cndmask_b32_e32 v3, 0, v3, vcc
	v_cndmask_b32_e32 v2, 3, v2, vcc
	v_cmp_eq_u64_e64 s[18:19], 0, v[2:3]
	v_min_i32_e32 v3, 31, v4
	v_lshlrev_b32_e32 v3, 2, v3
	v_cmp_eq_u32_e32 vcc, 0, v4
	v_and_b32_e32 v3, 0xfc, v3
	v_and_or_b32 v2, v2, 3, v3
	s_and_b64 s[18:19], vcc, s[18:19]
	v_cndmask_b32_e64 v2, v2, 0, s[18:19]
	v_or_b32_e32 v37, v2, v38
.LBB6_6337:                             ;   in Loop: Header=BB6_4475 Depth=2
	s_or_b64 exec, exec, s[88:89]
                                        ; implicit-def: $vgpr38
.LBB6_6338:                             ;   in Loop: Header=BB6_4475 Depth=2
	s_andn2_saveexec_b64 s[18:19], s[78:79]
; %bb.6339:                             ;   in Loop: Header=BB6_4475 Depth=2
	v_or_b32_e32 v37, 0x7b, v38
; %bb.6340:                             ;   in Loop: Header=BB6_4475 Depth=2
	s_or_b64 exec, exec, s[18:19]
                                        ; implicit-def: $vgpr2
.LBB6_6341:                             ;   in Loop: Header=BB6_4475 Depth=2
	s_andn2_saveexec_b64 s[18:19], s[76:77]
	s_cbranch_execz .LBB6_6347
; %bb.6342:                             ;   in Loop: Header=BB6_4475 Depth=2
	v_cmp_ne_u64_e32 vcc, 0, v[27:28]
                                        ; implicit-def: $vgpr37
	s_and_saveexec_b64 s[76:77], vcc
	s_xor_b64 s[76:77], exec, s[76:77]
; %bb.6343:                             ;   in Loop: Header=BB6_4475 Depth=2
	v_or_b32_sdwa v37, v2, s54 dst_sel:DWORD dst_unused:UNUSED_PAD src0_sel:BYTE_3 src1_sel:DWORD
                                        ; implicit-def: $vgpr2
; %bb.6344:                             ;   in Loop: Header=BB6_4475 Depth=2
	s_andn2_saveexec_b64 s[76:77], s[76:77]
; %bb.6345:                             ;   in Loop: Header=BB6_4475 Depth=2
	v_cmp_lt_i32_e32 vcc, -1, v2
	v_bfrev_b32_e32 v2, 0.5
	v_mov_b32_e32 v3, 0x7c
	v_cndmask_b32_e32 v37, v2, v3, vcc
; %bb.6346:                             ;   in Loop: Header=BB6_4475 Depth=2
	s_or_b64 exec, exec, s[76:77]
.LBB6_6347:                             ;   in Loop: Header=BB6_4475 Depth=2
	s_or_b64 exec, exec, s[18:19]
	v_mov_b32_e32 v27, v15
	v_cmp_ne_u16_sdwa s[76:77], v15, v28 src0_sel:BYTE_0 src1_sel:DWORD
	v_mov_b32_e32 v3, 0
	v_mov_b32_e32 v2, 0
	s_and_saveexec_b64 s[18:19], s[76:77]
	s_cbranch_execz .LBB6_6355
; %bb.6348:                             ;   in Loop: Header=BB6_4475 Depth=2
	v_cmp_ne_u16_sdwa s[78:79], v15, s52 src0_sel:BYTE_0 src1_sel:DWORD
	v_bfrev_b32_e32 v2, 1
	s_and_saveexec_b64 s[76:77], s[78:79]
	s_cbranch_execz .LBB6_6354
; %bb.6349:                             ;   in Loop: Header=BB6_4475 Depth=2
	v_and_b32_e32 v2, 0x7c, v15
	v_and_b32_e32 v4, 3, v15
	v_cmp_ne_u32_e32 vcc, s50, v2
                                        ; implicit-def: $vgpr2
	s_and_saveexec_b64 s[78:79], vcc
	s_xor_b64 s[78:79], exec, s[78:79]
	s_cbranch_execz .LBB6_6351
; %bb.6350:                             ;   in Loop: Header=BB6_4475 Depth=2
	v_ffbh_u32_e32 v32, v4
	v_min_u32_e32 v32, 32, v32
	v_bfe_u32 v2, v15, 2, 5
	v_subrev_u32_e32 v33, 29, v32
	v_lshlrev_b64 v[38:39], v33, v[27:28]
	v_sub_u32_e32 v32, 30, v32
	v_cmp_eq_u32_e32 vcc, 0, v2
	v_cndmask_b32_e32 v2, v2, v32, vcc
	v_lshlrev_b32_e32 v32, 24, v15
	v_and_b32_e32 v33, 3, v38
	v_and_b32_e32 v32, 0x80000000, v32
	v_cndmask_b32_e32 v4, v4, v33, vcc
	v_lshl_add_u32 v2, v2, 23, v32
	v_lshl_or_b32 v2, v4, 21, v2
	v_add_u32_e32 v2, 0x38000000, v2
                                        ; implicit-def: $vgpr4
.LBB6_6351:                             ;   in Loop: Header=BB6_4475 Depth=2
	s_andn2_saveexec_b64 s[78:79], s[78:79]
; %bb.6352:                             ;   in Loop: Header=BB6_4475 Depth=2
	v_mov_b32_e32 v2, -1
	v_cmp_gt_i16_sdwa vcc, sext(v15), v2 src0_sel:BYTE_0 src1_sel:DWORD
	v_mov_b32_e32 v2, 0xff800000
	v_mov_b32_e32 v32, 0x7f800000
	v_cndmask_b32_e32 v2, v2, v32, vcc
	v_cmp_eq_u32_e32 vcc, 0, v4
	v_mov_b32_e32 v4, 0x7f800001
	v_cndmask_b32_e32 v2, v4, v2, vcc
; %bb.6353:                             ;   in Loop: Header=BB6_4475 Depth=2
	s_or_b64 exec, exec, s[78:79]
.LBB6_6354:                             ;   in Loop: Header=BB6_4475 Depth=2
	s_or_b64 exec, exec, s[76:77]
.LBB6_6355:                             ;   in Loop: Header=BB6_4475 Depth=2
	s_or_b64 exec, exec, s[18:19]
	v_cmp_ne_u16_sdwa s[76:77], v11, v28 src0_sel:BYTE_0 src1_sel:DWORD
	s_and_saveexec_b64 s[18:19], s[76:77]
	s_cbranch_execz .LBB6_6363
; %bb.6356:                             ;   in Loop: Header=BB6_4475 Depth=2
	v_cmp_ne_u16_sdwa s[78:79], v11, s52 src0_sel:BYTE_0 src1_sel:DWORD
	v_bfrev_b32_e32 v3, 1
	s_and_saveexec_b64 s[76:77], s[78:79]
	s_cbranch_execz .LBB6_6362
; %bb.6357:                             ;   in Loop: Header=BB6_4475 Depth=2
	v_and_b32_e32 v3, 0x7c, v11
	v_and_b32_e32 v4, 3, v11
	v_cmp_ne_u32_e32 vcc, s50, v3
                                        ; implicit-def: $vgpr3
	s_and_saveexec_b64 s[78:79], vcc
	s_xor_b64 s[78:79], exec, s[78:79]
	s_cbranch_execz .LBB6_6359
; %bb.6358:                             ;   in Loop: Header=BB6_4475 Depth=2
	v_ffbh_u32_e32 v32, v4
	v_min_u32_e32 v32, 32, v32
	v_mov_b32_e32 v38, v11
	v_mov_b32_e32 v39, v28
	v_bfe_u32 v3, v11, 2, 5
	v_subrev_u32_e32 v33, 29, v32
	v_lshlrev_b64 v[38:39], v33, v[38:39]
	v_sub_u32_e32 v32, 30, v32
	v_cmp_eq_u32_e32 vcc, 0, v3
	v_cndmask_b32_e32 v3, v3, v32, vcc
	v_lshlrev_b32_e32 v32, 24, v11
	v_and_b32_e32 v33, 3, v38
	v_and_b32_e32 v32, 0x80000000, v32
	v_cndmask_b32_e32 v4, v4, v33, vcc
	v_lshl_add_u32 v3, v3, 23, v32
	v_lshl_or_b32 v3, v4, 21, v3
	v_add_u32_e32 v3, 0x38000000, v3
                                        ; implicit-def: $vgpr4
.LBB6_6359:                             ;   in Loop: Header=BB6_4475 Depth=2
	s_andn2_saveexec_b64 s[78:79], s[78:79]
; %bb.6360:                             ;   in Loop: Header=BB6_4475 Depth=2
	v_mov_b32_e32 v3, -1
	v_cmp_gt_i16_sdwa vcc, sext(v11), v3 src0_sel:BYTE_0 src1_sel:DWORD
	v_mov_b32_e32 v3, 0xff800000
	v_mov_b32_e32 v32, 0x7f800000
	v_cndmask_b32_e32 v3, v3, v32, vcc
	v_cmp_eq_u32_e32 vcc, 0, v4
	v_mov_b32_e32 v4, 0x7f800001
	v_cndmask_b32_e32 v3, v4, v3, vcc
; %bb.6361:                             ;   in Loop: Header=BB6_4475 Depth=2
	s_or_b64 exec, exec, s[78:79]
.LBB6_6362:                             ;   in Loop: Header=BB6_4475 Depth=2
	s_or_b64 exec, exec, s[76:77]
.LBB6_6363:                             ;   in Loop: Header=BB6_4475 Depth=2
	s_or_b64 exec, exec, s[18:19]
	v_mul_f32_e32 v4, v2, v3
	v_and_b32_e32 v38, 0x7f800000, v4
	v_mov_b32_e32 v39, v28
	v_cmp_ne_u64_e32 vcc, s[58:59], v[38:39]
	v_and_b32_e32 v2, 0x7fffff, v4
	v_mov_b32_e32 v3, v28
                                        ; implicit-def: $vgpr48
	s_and_saveexec_b64 s[18:19], vcc
	s_xor_b64 s[76:77], exec, s[18:19]
	s_cbranch_execz .LBB6_6377
; %bb.6364:                             ;   in Loop: Header=BB6_4475 Depth=2
	v_and_b32_e32 v38, 0x7fffffff, v4
	v_mov_b32_e32 v39, v28
	v_cmp_gt_u64_e32 vcc, s[60:61], v[38:39]
	v_and_b32_sdwa v38, v4, s52 dst_sel:DWORD dst_unused:UNUSED_PAD src0_sel:BYTE_3 src1_sel:DWORD
                                        ; implicit-def: $vgpr48
	s_and_saveexec_b64 s[18:19], vcc
	s_xor_b64 s[78:79], exec, s[18:19]
	s_cbranch_execz .LBB6_6374
; %bb.6365:                             ;   in Loop: Header=BB6_4475 Depth=2
	v_mov_b32_e32 v48, 0
	v_cmp_ne_u32_e32 vcc, 0, v4
	s_and_saveexec_b64 s[88:89], vcc
	s_cbranch_execz .LBB6_6373
; %bb.6366:                             ;   in Loop: Header=BB6_4475 Depth=2
	v_bfe_u32 v39, v4, 23, 8
	v_cmp_gt_u32_e64 s[18:19], s53, v39
	v_sub_u32_e32 v4, 0x71, v39
	v_cmp_eq_u32_e32 vcc, 0, v39
	v_cndmask_b32_e64 v4, 0, v4, s[18:19]
	v_mov_b32_e32 v33, 0x70
	v_cndmask_b32_e32 v48, v4, v33, vcc
	v_add_u32_e32 v4, 21, v48
	v_or_b32_e32 v32, 0x800000, v2
	v_lshlrev_b64 v[49:50], v4, -1
	v_cndmask_b32_e32 v2, v32, v2, vcc
	v_add_u32_e32 v4, 20, v48
	v_bfi_b32 v49, v49, 0, v2
	v_lshlrev_b64 v[45:46], v4, 1
	v_lshrrev_b64 v[2:3], v48, v[2:3]
	v_bfi_b32 v50, v50, 0, 0
	v_cmp_eq_u64_e64 s[18:19], v[49:50], v[45:46]
	v_mov_b32_e32 v4, v3
	v_mov_b32_e32 v3, v2
	s_and_saveexec_b64 s[90:91], s[18:19]
; %bb.6367:                             ;   in Loop: Header=BB6_4475 Depth=2
	v_bfe_u32 v3, v2, 21, 1
	v_add_co_u32_e64 v3, s[18:19], v2, v3
	v_add_co_u32_e64 v3, s[18:19], -1, v3
; %bb.6368:                             ;   in Loop: Header=BB6_4475 Depth=2
	s_or_b64 exec, exec, s[90:91]
	v_add_u32_e32 v4, 0xffffff81, v39
	v_mov_b32_e32 v32, 0xffffff82
	v_cndmask_b32_e32 v4, v4, v32, vcc
	v_lshrrev_b32_e32 v32, 23, v2
	v_add3_u32 v48, v48, v4, v32
	v_add_u32_e32 v39, 14, v48
	v_and_b32_e32 v3, 0x1fffff, v3
	v_add_u32_e32 v2, v3, v2
	v_mov_b32_e32 v3, v28
	v_cmp_ne_u32_e32 vcc, 0, v39
                                        ; implicit-def: $vgpr4
	s_and_saveexec_b64 s[18:19], vcc
	s_xor_b64 s[18:19], exec, s[18:19]
; %bb.6369:                             ;   in Loop: Header=BB6_4475 Depth=2
	v_cmp_lt_u64_e32 vcc, s[62:63], v[2:3]
	v_add_u32_e32 v4, 15, v48
	v_cndmask_b32_e64 v32, 0, 1, vcc
	v_lshrrev_b64 v[2:3], v32, v[2:3]
	v_cndmask_b32_e32 v4, v39, v4, vcc
; %bb.6370:                             ;   in Loop: Header=BB6_4475 Depth=2
	s_andn2_saveexec_b64 s[18:19], s[18:19]
; %bb.6371:                             ;   in Loop: Header=BB6_4475 Depth=2
	v_bfe_u32 v4, v2, 23, 1
; %bb.6372:                             ;   in Loop: Header=BB6_4475 Depth=2
	s_or_b64 exec, exec, s[18:19]
	v_lshrrev_b64 v[2:3], 21, v[2:3]
	v_cmp_gt_i32_e32 vcc, 32, v4
	v_cndmask_b32_e32 v3, 0, v3, vcc
	v_cndmask_b32_e32 v2, 3, v2, vcc
	v_cmp_eq_u64_e64 s[18:19], 0, v[2:3]
	v_min_i32_e32 v3, 31, v4
	v_lshlrev_b32_e32 v3, 2, v3
	v_cmp_eq_u32_e32 vcc, 0, v4
	v_and_b32_e32 v3, 0xfc, v3
	v_and_or_b32 v2, v2, 3, v3
	s_and_b64 s[18:19], vcc, s[18:19]
	v_cndmask_b32_e64 v2, v2, 0, s[18:19]
	v_or_b32_e32 v48, v2, v38
.LBB6_6373:                             ;   in Loop: Header=BB6_4475 Depth=2
	s_or_b64 exec, exec, s[88:89]
                                        ; implicit-def: $vgpr38
.LBB6_6374:                             ;   in Loop: Header=BB6_4475 Depth=2
	s_andn2_saveexec_b64 s[18:19], s[78:79]
; %bb.6375:                             ;   in Loop: Header=BB6_4475 Depth=2
	v_or_b32_e32 v48, 0x7b, v38
; %bb.6376:                             ;   in Loop: Header=BB6_4475 Depth=2
	s_or_b64 exec, exec, s[18:19]
                                        ; implicit-def: $vgpr4
                                        ; implicit-def: $vgpr2_vgpr3
.LBB6_6377:                             ;   in Loop: Header=BB6_4475 Depth=2
	s_andn2_saveexec_b64 s[18:19], s[76:77]
	s_cbranch_execz .LBB6_6383
; %bb.6378:                             ;   in Loop: Header=BB6_4475 Depth=2
	v_cmp_ne_u64_e32 vcc, 0, v[2:3]
                                        ; implicit-def: $vgpr48
	s_and_saveexec_b64 s[76:77], vcc
	s_xor_b64 s[76:77], exec, s[76:77]
; %bb.6379:                             ;   in Loop: Header=BB6_4475 Depth=2
	v_or_b32_sdwa v48, v4, s54 dst_sel:DWORD dst_unused:UNUSED_PAD src0_sel:BYTE_3 src1_sel:DWORD
                                        ; implicit-def: $vgpr4
; %bb.6380:                             ;   in Loop: Header=BB6_4475 Depth=2
	s_andn2_saveexec_b64 s[76:77], s[76:77]
; %bb.6381:                             ;   in Loop: Header=BB6_4475 Depth=2
	v_cmp_lt_i32_e32 vcc, -1, v4
	v_bfrev_b32_e32 v2, 0.5
	v_mov_b32_e32 v3, 0x7c
	v_cndmask_b32_e32 v48, v2, v3, vcc
; %bb.6382:                             ;   in Loop: Header=BB6_4475 Depth=2
	s_or_b64 exec, exec, s[76:77]
.LBB6_6383:                             ;   in Loop: Header=BB6_4475 Depth=2
	s_or_b64 exec, exec, s[18:19]
	v_lshrrev_b16_e32 v2, 8, v27
	v_cmp_ne_u16_e32 vcc, 0, v2
	v_mov_b32_e32 v4, 0
	v_mov_b32_e32 v38, 0
	s_and_saveexec_b64 s[18:19], vcc
	s_cbranch_execz .LBB6_6391
; %bb.6384:                             ;   in Loop: Header=BB6_4475 Depth=2
	v_cmp_ne_u16_e32 vcc, s52, v2
	v_bfrev_b32_e32 v38, 1
	s_and_saveexec_b64 s[76:77], vcc
	s_cbranch_execz .LBB6_6390
; %bb.6385:                             ;   in Loop: Header=BB6_4475 Depth=2
	v_and_b32_e32 v3, 0x7c, v2
	v_and_b32_e32 v39, 3, v2
	v_cmp_ne_u32_e32 vcc, s50, v3
                                        ; implicit-def: $vgpr38
	s_and_saveexec_b64 s[78:79], vcc
	s_xor_b64 s[78:79], exec, s[78:79]
	s_cbranch_execz .LBB6_6387
; %bb.6386:                             ;   in Loop: Header=BB6_4475 Depth=2
	v_ffbh_u32_e32 v33, v39
	v_min_u32_e32 v33, 32, v33
	v_mov_b32_e32 v3, v28
	v_subrev_u32_e32 v38, 29, v33
	v_bfe_u32 v32, v2, 2, 5
	v_lshlrev_b64 v[2:3], v38, v[2:3]
	v_sub_u32_e32 v3, 30, v33
	v_cmp_eq_u32_e32 vcc, 0, v32
	v_lshlrev_b32_e32 v27, 16, v27
	v_and_b32_e32 v2, 3, v2
	v_cndmask_b32_e32 v3, v32, v3, vcc
	v_and_b32_e32 v27, 0x80000000, v27
	v_cndmask_b32_e32 v2, v39, v2, vcc
	v_lshl_add_u32 v3, v3, 23, v27
	v_lshl_or_b32 v2, v2, 21, v3
	v_add_u32_e32 v38, 0x38000000, v2
                                        ; implicit-def: $vgpr39
.LBB6_6387:                             ;   in Loop: Header=BB6_4475 Depth=2
	s_andn2_saveexec_b64 s[78:79], s[78:79]
; %bb.6388:                             ;   in Loop: Header=BB6_4475 Depth=2
	v_cmp_lt_i16_e32 vcc, -1, v27
	v_mov_b32_e32 v2, 0xff800000
	v_mov_b32_e32 v3, 0x7f800000
	v_cndmask_b32_e32 v2, v2, v3, vcc
	v_cmp_eq_u32_e32 vcc, 0, v39
	v_mov_b32_e32 v3, 0x7f800001
	v_cndmask_b32_e32 v38, v3, v2, vcc
; %bb.6389:                             ;   in Loop: Header=BB6_4475 Depth=2
	s_or_b64 exec, exec, s[78:79]
.LBB6_6390:                             ;   in Loop: Header=BB6_4475 Depth=2
	s_or_b64 exec, exec, s[76:77]
.LBB6_6391:                             ;   in Loop: Header=BB6_4475 Depth=2
	s_or_b64 exec, exec, s[18:19]
	v_lshrrev_b16_e32 v2, 8, v11
	v_cmp_ne_u16_e32 vcc, 0, v2
	s_and_saveexec_b64 s[18:19], vcc
	s_cbranch_execz .LBB6_6399
; %bb.6392:                             ;   in Loop: Header=BB6_4475 Depth=2
	v_cmp_ne_u16_e32 vcc, s52, v2
	v_bfrev_b32_e32 v4, 1
	s_and_saveexec_b64 s[76:77], vcc
	s_cbranch_execz .LBB6_6398
; %bb.6393:                             ;   in Loop: Header=BB6_4475 Depth=2
	v_and_b32_e32 v3, 0x7c, v2
	v_and_b32_e32 v27, 3, v2
	v_cmp_ne_u32_e32 vcc, s50, v3
                                        ; implicit-def: $vgpr4
	s_and_saveexec_b64 s[78:79], vcc
	s_xor_b64 s[78:79], exec, s[78:79]
	s_cbranch_execz .LBB6_6395
; %bb.6394:                             ;   in Loop: Header=BB6_4475 Depth=2
	v_ffbh_u32_e32 v32, v27
	v_min_u32_e32 v32, 32, v32
	v_mov_b32_e32 v3, v28
	v_subrev_u32_e32 v33, 29, v32
	v_bfe_u32 v4, v2, 2, 5
	v_lshlrev_b64 v[2:3], v33, v[2:3]
	v_sub_u32_e32 v3, 30, v32
	v_cmp_eq_u32_e32 vcc, 0, v4
	v_cndmask_b32_e32 v3, v4, v3, vcc
	v_lshlrev_b32_e32 v4, 16, v11
	v_and_b32_e32 v2, 3, v2
	v_and_b32_e32 v4, 0x80000000, v4
	v_cndmask_b32_e32 v2, v27, v2, vcc
	v_lshl_add_u32 v3, v3, 23, v4
	v_lshl_or_b32 v2, v2, 21, v3
	v_add_u32_e32 v4, 0x38000000, v2
                                        ; implicit-def: $vgpr27
.LBB6_6395:                             ;   in Loop: Header=BB6_4475 Depth=2
	s_andn2_saveexec_b64 s[78:79], s[78:79]
; %bb.6396:                             ;   in Loop: Header=BB6_4475 Depth=2
	v_cmp_lt_i16_e32 vcc, -1, v11
	v_mov_b32_e32 v2, 0xff800000
	v_mov_b32_e32 v3, 0x7f800000
	v_cndmask_b32_e32 v2, v2, v3, vcc
	v_cmp_eq_u32_e32 vcc, 0, v27
	v_mov_b32_e32 v3, 0x7f800001
	v_cndmask_b32_e32 v4, v3, v2, vcc
; %bb.6397:                             ;   in Loop: Header=BB6_4475 Depth=2
	s_or_b64 exec, exec, s[78:79]
.LBB6_6398:                             ;   in Loop: Header=BB6_4475 Depth=2
	s_or_b64 exec, exec, s[76:77]
.LBB6_6399:                             ;   in Loop: Header=BB6_4475 Depth=2
	s_or_b64 exec, exec, s[18:19]
	v_mul_f32_e32 v2, v38, v4
	v_and_b32_e32 v3, 0x7f800000, v2
	v_mov_b32_e32 v4, v28
	v_cmp_ne_u64_e32 vcc, s[58:59], v[3:4]
	v_and_b32_e32 v27, 0x7fffff, v2
                                        ; implicit-def: $vgpr49
	s_and_saveexec_b64 s[18:19], vcc
	s_xor_b64 s[76:77], exec, s[18:19]
	s_cbranch_execz .LBB6_6413
; %bb.6400:                             ;   in Loop: Header=BB6_4475 Depth=2
	v_and_b32_e32 v3, 0x7fffffff, v2
	v_mov_b32_e32 v4, v28
	v_cmp_gt_u64_e32 vcc, s[60:61], v[3:4]
	v_and_b32_sdwa v38, v2, s52 dst_sel:DWORD dst_unused:UNUSED_PAD src0_sel:BYTE_3 src1_sel:DWORD
                                        ; implicit-def: $vgpr49
	s_and_saveexec_b64 s[18:19], vcc
	s_xor_b64 s[78:79], exec, s[18:19]
	s_cbranch_execz .LBB6_6410
; %bb.6401:                             ;   in Loop: Header=BB6_4475 Depth=2
	v_mov_b32_e32 v49, 0
	v_cmp_ne_u32_e32 vcc, 0, v2
	s_and_saveexec_b64 s[88:89], vcc
	s_cbranch_execz .LBB6_6409
; %bb.6402:                             ;   in Loop: Header=BB6_4475 Depth=2
	v_bfe_u32 v39, v2, 23, 8
	v_cmp_gt_u32_e64 s[18:19], s53, v39
	v_sub_u32_e32 v2, 0x71, v39
	v_cmp_eq_u32_e32 vcc, 0, v39
	v_cndmask_b32_e64 v2, 0, v2, s[18:19]
	v_mov_b32_e32 v4, 0x70
	v_cndmask_b32_e32 v49, v2, v4, vcc
	v_add_u32_e32 v4, 21, v49
	v_or_b32_e32 v3, 0x800000, v27
	v_lshlrev_b64 v[45:46], v4, -1
	v_cndmask_b32_e32 v2, v3, v27, vcc
	v_mov_b32_e32 v3, v28
	v_add_u32_e32 v4, 20, v49
	v_bfi_b32 v45, v45, 0, v2
	v_lshlrev_b64 v[50:51], v4, 1
	v_lshrrev_b64 v[2:3], v49, v[2:3]
	v_bfi_b32 v46, v46, 0, 0
	v_cmp_eq_u64_e64 s[18:19], v[45:46], v[50:51]
	v_mov_b32_e32 v4, v3
	v_mov_b32_e32 v3, v2
	s_and_saveexec_b64 s[90:91], s[18:19]
; %bb.6403:                             ;   in Loop: Header=BB6_4475 Depth=2
	v_bfe_u32 v3, v2, 21, 1
	v_add_co_u32_e64 v3, s[18:19], v2, v3
	v_add_co_u32_e64 v3, s[18:19], -1, v3
; %bb.6404:                             ;   in Loop: Header=BB6_4475 Depth=2
	s_or_b64 exec, exec, s[90:91]
	v_add_u32_e32 v4, 0xffffff81, v39
	v_mov_b32_e32 v27, 0xffffff82
	v_cndmask_b32_e32 v4, v4, v27, vcc
	v_lshrrev_b32_e32 v27, 23, v2
	v_add3_u32 v49, v49, v4, v27
	v_add_u32_e32 v39, 14, v49
	v_and_b32_e32 v3, 0x1fffff, v3
	v_add_u32_e32 v27, v3, v2
	v_cmp_ne_u32_e32 vcc, 0, v39
                                        ; implicit-def: $vgpr2_vgpr3
                                        ; implicit-def: $vgpr4
	s_and_saveexec_b64 s[18:19], vcc
	s_xor_b64 s[18:19], exec, s[18:19]
; %bb.6405:                             ;   in Loop: Header=BB6_4475 Depth=2
	v_cmp_lt_u64_e32 vcc, s[62:63], v[27:28]
	v_add_u32_e32 v2, 15, v49
	v_cndmask_b32_e32 v4, v39, v2, vcc
	v_cndmask_b32_e64 v2, 0, 1, vcc
	v_lshrrev_b64 v[2:3], v2, v[27:28]
; %bb.6406:                             ;   in Loop: Header=BB6_4475 Depth=2
	s_andn2_saveexec_b64 s[18:19], s[18:19]
; %bb.6407:                             ;   in Loop: Header=BB6_4475 Depth=2
	v_mov_b32_e32 v2, v27
	v_mov_b32_e32 v3, v28
	v_bfe_u32 v4, v27, 23, 1
; %bb.6408:                             ;   in Loop: Header=BB6_4475 Depth=2
	s_or_b64 exec, exec, s[18:19]
	v_lshrrev_b64 v[2:3], 21, v[2:3]
	v_cmp_gt_i32_e32 vcc, 32, v4
	v_cndmask_b32_e32 v3, 0, v3, vcc
	v_cndmask_b32_e32 v2, 3, v2, vcc
	v_cmp_eq_u64_e64 s[18:19], 0, v[2:3]
	v_min_i32_e32 v3, 31, v4
	v_lshlrev_b32_e32 v3, 2, v3
	v_cmp_eq_u32_e32 vcc, 0, v4
	v_and_b32_e32 v3, 0xfc, v3
	v_and_or_b32 v2, v2, 3, v3
	s_and_b64 s[18:19], vcc, s[18:19]
	v_cndmask_b32_e64 v2, v2, 0, s[18:19]
	v_or_b32_e32 v49, v2, v38
.LBB6_6409:                             ;   in Loop: Header=BB6_4475 Depth=2
	s_or_b64 exec, exec, s[88:89]
                                        ; implicit-def: $vgpr38
.LBB6_6410:                             ;   in Loop: Header=BB6_4475 Depth=2
	s_andn2_saveexec_b64 s[18:19], s[78:79]
; %bb.6411:                             ;   in Loop: Header=BB6_4475 Depth=2
	v_or_b32_e32 v49, 0x7b, v38
; %bb.6412:                             ;   in Loop: Header=BB6_4475 Depth=2
	s_or_b64 exec, exec, s[18:19]
                                        ; implicit-def: $vgpr2
.LBB6_6413:                             ;   in Loop: Header=BB6_4475 Depth=2
	s_andn2_saveexec_b64 s[18:19], s[76:77]
	s_cbranch_execz .LBB6_6419
; %bb.6414:                             ;   in Loop: Header=BB6_4475 Depth=2
	v_cmp_ne_u64_e32 vcc, 0, v[27:28]
                                        ; implicit-def: $vgpr49
	s_and_saveexec_b64 s[76:77], vcc
	s_xor_b64 s[76:77], exec, s[76:77]
; %bb.6415:                             ;   in Loop: Header=BB6_4475 Depth=2
	v_or_b32_sdwa v49, v2, s54 dst_sel:DWORD dst_unused:UNUSED_PAD src0_sel:BYTE_3 src1_sel:DWORD
                                        ; implicit-def: $vgpr2
; %bb.6416:                             ;   in Loop: Header=BB6_4475 Depth=2
	s_andn2_saveexec_b64 s[76:77], s[76:77]
; %bb.6417:                             ;   in Loop: Header=BB6_4475 Depth=2
	v_cmp_lt_i32_e32 vcc, -1, v2
	v_bfrev_b32_e32 v2, 0.5
	v_mov_b32_e32 v3, 0x7c
	v_cndmask_b32_e32 v49, v2, v3, vcc
; %bb.6418:                             ;   in Loop: Header=BB6_4475 Depth=2
	s_or_b64 exec, exec, s[76:77]
.LBB6_6419:                             ;   in Loop: Header=BB6_4475 Depth=2
	s_or_b64 exec, exec, s[18:19]
	v_lshrrev_b32_e32 v2, 16, v15
	v_cmp_ne_u16_sdwa s[76:77], v2, v28 src0_sel:BYTE_0 src1_sel:DWORD
	v_mov_b32_e32 v3, 0
	v_mov_b32_e32 v4, 0
	s_and_saveexec_b64 s[18:19], s[76:77]
	s_cbranch_execz .LBB6_6427
; %bb.6420:                             ;   in Loop: Header=BB6_4475 Depth=2
	v_cmp_ne_u16_sdwa s[78:79], v2, s52 src0_sel:BYTE_0 src1_sel:DWORD
	v_bfrev_b32_e32 v4, 1
	s_and_saveexec_b64 s[76:77], s[78:79]
	s_cbranch_execz .LBB6_6426
; %bb.6421:                             ;   in Loop: Header=BB6_4475 Depth=2
	v_and_b32_e32 v4, 0x7c0000, v15
	v_bfe_u32 v27, v15, 16, 2
	v_cmp_ne_u32_e32 vcc, s55, v4
                                        ; implicit-def: $vgpr4
	s_and_saveexec_b64 s[78:79], vcc
	s_xor_b64 s[78:79], exec, s[78:79]
	s_cbranch_execz .LBB6_6423
; %bb.6422:                             ;   in Loop: Header=BB6_4475 Depth=2
	v_ffbh_u32_e32 v32, v27
	v_min_u32_e32 v32, 32, v32
	v_subrev_u32_e32 v33, 29, v32
	v_lshlrev_b64 v[38:39], v33, v[2:3]
	v_bfe_u32 v4, v15, 18, 5
	v_sub_u32_e32 v2, 30, v32
	v_and_b32_e32 v32, 3, v38
	v_cmp_eq_u32_e32 vcc, 0, v4
	v_cndmask_b32_e32 v2, v4, v2, vcc
	v_cndmask_b32_e32 v4, v27, v32, vcc
	v_lshlrev_b32_e32 v27, 8, v15
	v_and_b32_e32 v27, 0x80000000, v27
	v_lshl_add_u32 v2, v2, 23, v27
	v_lshl_or_b32 v2, v4, 21, v2
	v_add_u32_e32 v4, 0x38000000, v2
                                        ; implicit-def: $vgpr27
                                        ; implicit-def: $vgpr2
.LBB6_6423:                             ;   in Loop: Header=BB6_4475 Depth=2
	s_andn2_saveexec_b64 s[78:79], s[78:79]
; %bb.6424:                             ;   in Loop: Header=BB6_4475 Depth=2
	v_mov_b32_e32 v4, -1
	v_cmp_gt_i16_sdwa vcc, sext(v2), v4 src0_sel:BYTE_0 src1_sel:DWORD
	v_mov_b32_e32 v2, 0xff800000
	v_mov_b32_e32 v4, 0x7f800000
	v_cndmask_b32_e32 v2, v2, v4, vcc
	v_cmp_eq_u32_e32 vcc, 0, v27
	v_mov_b32_e32 v4, 0x7f800001
	v_cndmask_b32_e32 v4, v4, v2, vcc
; %bb.6425:                             ;   in Loop: Header=BB6_4475 Depth=2
	s_or_b64 exec, exec, s[78:79]
.LBB6_6426:                             ;   in Loop: Header=BB6_4475 Depth=2
	s_or_b64 exec, exec, s[76:77]
.LBB6_6427:                             ;   in Loop: Header=BB6_4475 Depth=2
	s_or_b64 exec, exec, s[18:19]
	v_lshrrev_b32_e32 v2, 16, v11
	v_cmp_ne_u16_sdwa s[76:77], v2, v28 src0_sel:BYTE_0 src1_sel:DWORD
	s_and_saveexec_b64 s[18:19], s[76:77]
	s_cbranch_execz .LBB6_6435
; %bb.6428:                             ;   in Loop: Header=BB6_4475 Depth=2
	v_cmp_ne_u16_sdwa s[78:79], v2, s52 src0_sel:BYTE_0 src1_sel:DWORD
	v_bfrev_b32_e32 v3, 1
	s_and_saveexec_b64 s[76:77], s[78:79]
	s_cbranch_execz .LBB6_6434
; %bb.6429:                             ;   in Loop: Header=BB6_4475 Depth=2
	v_and_b32_e32 v3, 0x7c0000, v11
	v_bfe_u32 v27, v11, 16, 2
	v_cmp_ne_u32_e32 vcc, s55, v3
                                        ; implicit-def: $vgpr3
	s_and_saveexec_b64 s[78:79], vcc
	s_xor_b64 s[78:79], exec, s[78:79]
	s_cbranch_execz .LBB6_6431
; %bb.6430:                             ;   in Loop: Header=BB6_4475 Depth=2
	v_ffbh_u32_e32 v3, v27
	v_min_u32_e32 v33, 32, v3
	v_subrev_u32_e32 v3, 29, v33
	v_lshlrev_b64 v[2:3], v3, v[2:3]
	v_bfe_u32 v32, v11, 18, 5
	v_and_b32_e32 v2, 3, v2
	v_cmp_eq_u32_e32 vcc, 0, v32
	v_sub_u32_e32 v3, 30, v33
	v_cndmask_b32_e32 v2, v27, v2, vcc
	v_lshlrev_b32_e32 v27, 8, v11
	v_cndmask_b32_e32 v3, v32, v3, vcc
	v_and_b32_e32 v27, 0x80000000, v27
	v_lshl_add_u32 v3, v3, 23, v27
	v_lshl_or_b32 v2, v2, 21, v3
	v_add_u32_e32 v3, 0x38000000, v2
                                        ; implicit-def: $vgpr27
                                        ; implicit-def: $vgpr2
.LBB6_6431:                             ;   in Loop: Header=BB6_4475 Depth=2
	s_andn2_saveexec_b64 s[78:79], s[78:79]
; %bb.6432:                             ;   in Loop: Header=BB6_4475 Depth=2
	v_mov_b32_e32 v3, -1
	v_cmp_gt_i16_sdwa vcc, sext(v2), v3 src0_sel:BYTE_0 src1_sel:DWORD
	v_mov_b32_e32 v2, 0xff800000
	v_mov_b32_e32 v3, 0x7f800000
	v_cndmask_b32_e32 v2, v2, v3, vcc
	v_cmp_eq_u32_e32 vcc, 0, v27
	v_mov_b32_e32 v3, 0x7f800001
	v_cndmask_b32_e32 v3, v3, v2, vcc
; %bb.6433:                             ;   in Loop: Header=BB6_4475 Depth=2
	s_or_b64 exec, exec, s[78:79]
.LBB6_6434:                             ;   in Loop: Header=BB6_4475 Depth=2
	s_or_b64 exec, exec, s[76:77]
.LBB6_6435:                             ;   in Loop: Header=BB6_4475 Depth=2
	s_or_b64 exec, exec, s[18:19]
	v_mul_f32_e32 v2, v4, v3
	v_and_b32_e32 v3, 0x7f800000, v2
	v_mov_b32_e32 v4, v28
	v_cmp_ne_u64_e32 vcc, s[58:59], v[3:4]
	v_and_b32_e32 v27, 0x7fffff, v2
                                        ; implicit-def: $vgpr45
	s_and_saveexec_b64 s[18:19], vcc
	s_xor_b64 s[76:77], exec, s[18:19]
	s_cbranch_execz .LBB6_6449
; %bb.6436:                             ;   in Loop: Header=BB6_4475 Depth=2
	v_and_b32_e32 v3, 0x7fffffff, v2
	v_mov_b32_e32 v4, v28
	v_cmp_gt_u64_e32 vcc, s[60:61], v[3:4]
	v_and_b32_sdwa v38, v2, s52 dst_sel:DWORD dst_unused:UNUSED_PAD src0_sel:BYTE_3 src1_sel:DWORD
                                        ; implicit-def: $vgpr45
	s_and_saveexec_b64 s[18:19], vcc
	s_xor_b64 s[78:79], exec, s[18:19]
	s_cbranch_execz .LBB6_6446
; %bb.6437:                             ;   in Loop: Header=BB6_4475 Depth=2
	v_mov_b32_e32 v45, 0
	v_cmp_ne_u32_e32 vcc, 0, v2
	s_and_saveexec_b64 s[88:89], vcc
	s_cbranch_execz .LBB6_6445
; %bb.6438:                             ;   in Loop: Header=BB6_4475 Depth=2
	v_bfe_u32 v39, v2, 23, 8
	v_cmp_gt_u32_e64 s[18:19], s53, v39
	v_sub_u32_e32 v2, 0x71, v39
	v_cmp_eq_u32_e32 vcc, 0, v39
	v_cndmask_b32_e64 v2, 0, v2, s[18:19]
	v_mov_b32_e32 v4, 0x70
	v_cndmask_b32_e32 v45, v2, v4, vcc
	v_add_u32_e32 v4, 21, v45
	v_or_b32_e32 v3, 0x800000, v27
	v_lshlrev_b64 v[50:51], v4, -1
	v_cndmask_b32_e32 v2, v3, v27, vcc
	v_mov_b32_e32 v3, v28
	v_add_u32_e32 v4, 20, v45
	v_bfi_b32 v50, v50, 0, v2
	v_lshlrev_b64 v[46:47], v4, 1
	v_lshrrev_b64 v[2:3], v45, v[2:3]
	v_bfi_b32 v51, v51, 0, 0
	v_cmp_eq_u64_e64 s[18:19], v[50:51], v[46:47]
	v_mov_b32_e32 v4, v3
	v_mov_b32_e32 v3, v2
	s_and_saveexec_b64 s[90:91], s[18:19]
; %bb.6439:                             ;   in Loop: Header=BB6_4475 Depth=2
	v_bfe_u32 v3, v2, 21, 1
	v_add_co_u32_e64 v3, s[18:19], v2, v3
	v_add_co_u32_e64 v3, s[18:19], -1, v3
; %bb.6440:                             ;   in Loop: Header=BB6_4475 Depth=2
	s_or_b64 exec, exec, s[90:91]
	v_add_u32_e32 v4, 0xffffff81, v39
	v_mov_b32_e32 v27, 0xffffff82
	v_cndmask_b32_e32 v4, v4, v27, vcc
	v_lshrrev_b32_e32 v27, 23, v2
	v_add3_u32 v50, v45, v4, v27
	v_add_u32_e32 v39, 14, v50
	v_and_b32_e32 v3, 0x1fffff, v3
	v_add_u32_e32 v27, v3, v2
	v_cmp_ne_u32_e32 vcc, 0, v39
                                        ; implicit-def: $vgpr2_vgpr3
                                        ; implicit-def: $vgpr4
	s_and_saveexec_b64 s[18:19], vcc
	s_xor_b64 s[18:19], exec, s[18:19]
; %bb.6441:                             ;   in Loop: Header=BB6_4475 Depth=2
	v_cmp_lt_u64_e32 vcc, s[62:63], v[27:28]
	v_add_u32_e32 v2, 15, v50
	v_cndmask_b32_e32 v4, v39, v2, vcc
	v_cndmask_b32_e64 v2, 0, 1, vcc
	v_lshrrev_b64 v[2:3], v2, v[27:28]
; %bb.6442:                             ;   in Loop: Header=BB6_4475 Depth=2
	s_andn2_saveexec_b64 s[18:19], s[18:19]
; %bb.6443:                             ;   in Loop: Header=BB6_4475 Depth=2
	v_mov_b32_e32 v2, v27
	v_mov_b32_e32 v3, v28
	v_bfe_u32 v4, v27, 23, 1
; %bb.6444:                             ;   in Loop: Header=BB6_4475 Depth=2
	s_or_b64 exec, exec, s[18:19]
	v_lshrrev_b64 v[2:3], 21, v[2:3]
	v_cmp_gt_i32_e32 vcc, 32, v4
	v_cndmask_b32_e32 v3, 0, v3, vcc
	v_cndmask_b32_e32 v2, 3, v2, vcc
	v_cmp_eq_u64_e64 s[18:19], 0, v[2:3]
	v_min_i32_e32 v3, 31, v4
	v_lshlrev_b32_e32 v3, 2, v3
	v_cmp_eq_u32_e32 vcc, 0, v4
	v_and_b32_e32 v3, 0xfc, v3
	v_and_or_b32 v2, v2, 3, v3
	s_and_b64 s[18:19], vcc, s[18:19]
	v_cndmask_b32_e64 v2, v2, 0, s[18:19]
	v_or_b32_e32 v45, v2, v38
.LBB6_6445:                             ;   in Loop: Header=BB6_4475 Depth=2
	s_or_b64 exec, exec, s[88:89]
                                        ; implicit-def: $vgpr38
.LBB6_6446:                             ;   in Loop: Header=BB6_4475 Depth=2
	s_andn2_saveexec_b64 s[18:19], s[78:79]
; %bb.6447:                             ;   in Loop: Header=BB6_4475 Depth=2
	v_or_b32_e32 v45, 0x7b, v38
; %bb.6448:                             ;   in Loop: Header=BB6_4475 Depth=2
	s_or_b64 exec, exec, s[18:19]
                                        ; implicit-def: $vgpr2
.LBB6_6449:                             ;   in Loop: Header=BB6_4475 Depth=2
	s_andn2_saveexec_b64 s[18:19], s[76:77]
	s_cbranch_execz .LBB6_6455
; %bb.6450:                             ;   in Loop: Header=BB6_4475 Depth=2
	v_cmp_ne_u64_e32 vcc, 0, v[27:28]
                                        ; implicit-def: $vgpr45
	s_and_saveexec_b64 s[76:77], vcc
	s_xor_b64 s[76:77], exec, s[76:77]
; %bb.6451:                             ;   in Loop: Header=BB6_4475 Depth=2
	v_or_b32_sdwa v45, v2, s54 dst_sel:DWORD dst_unused:UNUSED_PAD src0_sel:BYTE_3 src1_sel:DWORD
                                        ; implicit-def: $vgpr2
; %bb.6452:                             ;   in Loop: Header=BB6_4475 Depth=2
	s_andn2_saveexec_b64 s[76:77], s[76:77]
; %bb.6453:                             ;   in Loop: Header=BB6_4475 Depth=2
	v_cmp_lt_i32_e32 vcc, -1, v2
	v_bfrev_b32_e32 v2, 0.5
	v_mov_b32_e32 v3, 0x7c
	v_cndmask_b32_e32 v45, v2, v3, vcc
; %bb.6454:                             ;   in Loop: Header=BB6_4475 Depth=2
	s_or_b64 exec, exec, s[76:77]
.LBB6_6455:                             ;   in Loop: Header=BB6_4475 Depth=2
	s_or_b64 exec, exec, s[18:19]
	v_cmp_lt_u64_e32 vcc, s[56:57], v[14:15]
	v_mov_b32_e32 v3, 0
	v_mov_b32_e32 v4, 0
	s_and_saveexec_b64 s[18:19], vcc
	s_cbranch_execz .LBB6_6463
; %bb.6456:                             ;   in Loop: Header=BB6_4475 Depth=2
	v_lshrrev_b32_e32 v2, 24, v15
	v_cmp_ne_u32_e32 vcc, s52, v2
	v_bfrev_b32_e32 v4, 1
	s_and_saveexec_b64 s[76:77], vcc
	s_cbranch_execz .LBB6_6462
; %bb.6457:                             ;   in Loop: Header=BB6_4475 Depth=2
	v_and_b32_e32 v4, 0x7c000000, v15
	v_bfe_u32 v27, v15, 24, 2
	v_cmp_ne_u32_e32 vcc, s64, v4
                                        ; implicit-def: $vgpr4
	s_and_saveexec_b64 s[78:79], vcc
	s_xor_b64 s[78:79], exec, s[78:79]
	s_cbranch_execz .LBB6_6459
; %bb.6458:                             ;   in Loop: Header=BB6_4475 Depth=2
	v_ffbh_u32_e32 v32, v27
	v_min_u32_e32 v32, 32, v32
	v_subrev_u32_e32 v33, 29, v32
	v_lshlrev_b64 v[38:39], v33, v[2:3]
	v_bfe_u32 v4, v15, 26, 5
	v_sub_u32_e32 v2, 30, v32
	v_and_b32_e32 v32, 3, v38
	v_cmp_eq_u32_e32 vcc, 0, v4
	v_cndmask_b32_e32 v2, v4, v2, vcc
	v_cndmask_b32_e32 v4, v27, v32, vcc
	v_and_b32_e32 v27, 0x80000000, v15
	v_lshl_add_u32 v2, v2, 23, v27
	v_lshl_or_b32 v2, v4, 21, v2
	v_add_u32_e32 v4, 0x38000000, v2
                                        ; implicit-def: $vgpr27
.LBB6_6459:                             ;   in Loop: Header=BB6_4475 Depth=2
	s_andn2_saveexec_b64 s[78:79], s[78:79]
; %bb.6460:                             ;   in Loop: Header=BB6_4475 Depth=2
	v_cmp_lt_i64_e32 vcc, -1, v[14:15]
	v_mov_b32_e32 v2, 0xff800000
	v_mov_b32_e32 v4, 0x7f800000
	v_cndmask_b32_e32 v2, v2, v4, vcc
	v_cmp_eq_u32_e32 vcc, 0, v27
	v_mov_b32_e32 v4, 0x7f800001
	v_cndmask_b32_e32 v4, v4, v2, vcc
; %bb.6461:                             ;   in Loop: Header=BB6_4475 Depth=2
	s_or_b64 exec, exec, s[78:79]
.LBB6_6462:                             ;   in Loop: Header=BB6_4475 Depth=2
	s_or_b64 exec, exec, s[76:77]
.LBB6_6463:                             ;   in Loop: Header=BB6_4475 Depth=2
	s_or_b64 exec, exec, s[18:19]
	v_cmp_lt_u64_e32 vcc, s[56:57], v[10:11]
	s_and_saveexec_b64 s[18:19], vcc
	s_cbranch_execz .LBB6_6471
; %bb.6464:                             ;   in Loop: Header=BB6_4475 Depth=2
	v_lshrrev_b32_e32 v2, 24, v11
	v_cmp_ne_u32_e32 vcc, s52, v2
	v_bfrev_b32_e32 v3, 1
	s_and_saveexec_b64 s[76:77], vcc
	s_cbranch_execz .LBB6_6470
; %bb.6465:                             ;   in Loop: Header=BB6_4475 Depth=2
	v_and_b32_e32 v3, 0x7c000000, v11
	v_bfe_u32 v14, v11, 24, 2
	v_cmp_ne_u32_e32 vcc, s64, v3
                                        ; implicit-def: $vgpr3
	s_and_saveexec_b64 s[78:79], vcc
	s_xor_b64 s[78:79], exec, s[78:79]
	s_cbranch_execz .LBB6_6467
; %bb.6466:                             ;   in Loop: Header=BB6_4475 Depth=2
	v_ffbh_u32_e32 v3, v14
	v_min_u32_e32 v27, 32, v3
	v_subrev_u32_e32 v3, 29, v27
	v_lshlrev_b64 v[2:3], v3, v[2:3]
	v_bfe_u32 v15, v11, 26, 5
	v_sub_u32_e32 v3, 30, v27
	v_and_b32_e32 v2, 3, v2
	v_cmp_eq_u32_e32 vcc, 0, v15
	v_cndmask_b32_e32 v3, v15, v3, vcc
	v_cndmask_b32_e32 v2, v14, v2, vcc
	v_and_b32_e32 v14, 0x80000000, v11
	v_lshl_add_u32 v3, v3, 23, v14
	v_lshl_or_b32 v2, v2, 21, v3
	v_add_u32_e32 v3, 0x38000000, v2
                                        ; implicit-def: $vgpr14
.LBB6_6467:                             ;   in Loop: Header=BB6_4475 Depth=2
	s_andn2_saveexec_b64 s[78:79], s[78:79]
; %bb.6468:                             ;   in Loop: Header=BB6_4475 Depth=2
	v_cmp_lt_i64_e32 vcc, -1, v[10:11]
	v_mov_b32_e32 v2, 0xff800000
	v_mov_b32_e32 v3, 0x7f800000
	v_cndmask_b32_e32 v2, v2, v3, vcc
	v_cmp_eq_u32_e32 vcc, 0, v14
	v_mov_b32_e32 v3, 0x7f800001
	v_cndmask_b32_e32 v3, v3, v2, vcc
; %bb.6469:                             ;   in Loop: Header=BB6_4475 Depth=2
	s_or_b64 exec, exec, s[78:79]
.LBB6_6470:                             ;   in Loop: Header=BB6_4475 Depth=2
	s_or_b64 exec, exec, s[76:77]
.LBB6_6471:                             ;   in Loop: Header=BB6_4475 Depth=2
	s_or_b64 exec, exec, s[18:19]
	v_mul_f32_e32 v2, v4, v3
	v_and_b32_e32 v3, 0x7f800000, v2
	v_mov_b32_e32 v4, v28
	v_cmp_ne_u64_e32 vcc, s[58:59], v[3:4]
	v_and_b32_e32 v27, 0x7fffff, v2
                                        ; implicit-def: $vgpr10
	s_and_saveexec_b64 s[18:19], vcc
	s_xor_b64 s[76:77], exec, s[18:19]
	s_cbranch_execz .LBB6_6485
; %bb.6472:                             ;   in Loop: Header=BB6_4475 Depth=2
	v_and_b32_e32 v3, 0x7fffffff, v2
	v_mov_b32_e32 v4, v28
	v_cmp_gt_u64_e32 vcc, s[60:61], v[3:4]
	v_and_b32_sdwa v11, v2, s52 dst_sel:DWORD dst_unused:UNUSED_PAD src0_sel:BYTE_3 src1_sel:DWORD
                                        ; implicit-def: $vgpr10
	s_and_saveexec_b64 s[18:19], vcc
	s_xor_b64 s[78:79], exec, s[18:19]
	s_cbranch_execz .LBB6_6482
; %bb.6473:                             ;   in Loop: Header=BB6_4475 Depth=2
	v_mov_b32_e32 v10, 0
	v_cmp_ne_u32_e32 vcc, 0, v2
	s_and_saveexec_b64 s[88:89], vcc
	s_cbranch_execz .LBB6_6481
; %bb.6474:                             ;   in Loop: Header=BB6_4475 Depth=2
	v_bfe_u32 v10, v2, 23, 8
	v_cmp_gt_u32_e64 s[18:19], s53, v10
	v_sub_u32_e32 v2, 0x71, v10
	v_cmp_eq_u32_e32 vcc, 0, v10
	v_cndmask_b32_e64 v2, 0, v2, s[18:19]
	v_mov_b32_e32 v4, 0x70
	v_cndmask_b32_e32 v14, v2, v4, vcc
	v_add_u32_e32 v4, 21, v14
	v_or_b32_e32 v3, 0x800000, v27
	v_lshlrev_b64 v[38:39], v4, -1
	v_cndmask_b32_e32 v2, v3, v27, vcc
	v_mov_b32_e32 v3, v28
	v_add_u32_e32 v4, 20, v14
	v_bfi_b32 v38, v38, 0, v2
	v_lshlrev_b64 v[50:51], v4, 1
	v_lshrrev_b64 v[2:3], v14, v[2:3]
	v_bfi_b32 v39, v39, 0, 0
	v_cmp_eq_u64_e64 s[18:19], v[38:39], v[50:51]
	v_mov_b32_e32 v4, v3
	v_mov_b32_e32 v3, v2
	s_and_saveexec_b64 s[90:91], s[18:19]
; %bb.6475:                             ;   in Loop: Header=BB6_4475 Depth=2
	v_bfe_u32 v3, v2, 21, 1
	v_add_co_u32_e64 v3, s[18:19], v2, v3
	v_add_co_u32_e64 v3, s[18:19], -1, v3
; %bb.6476:                             ;   in Loop: Header=BB6_4475 Depth=2
	s_or_b64 exec, exec, s[90:91]
	v_add_u32_e32 v4, 0xffffff81, v10
	v_mov_b32_e32 v10, 0xffffff82
	v_cndmask_b32_e32 v4, v4, v10, vcc
	v_lshrrev_b32_e32 v10, 23, v2
	v_add3_u32 v14, v14, v4, v10
	v_add_u32_e32 v10, 14, v14
	v_and_b32_e32 v3, 0x1fffff, v3
	v_add_u32_e32 v27, v3, v2
	v_cmp_ne_u32_e32 vcc, 0, v10
                                        ; implicit-def: $vgpr2_vgpr3
                                        ; implicit-def: $vgpr4
	s_and_saveexec_b64 s[18:19], vcc
	s_xor_b64 s[18:19], exec, s[18:19]
; %bb.6477:                             ;   in Loop: Header=BB6_4475 Depth=2
	v_cmp_lt_u64_e32 vcc, s[62:63], v[27:28]
	v_add_u32_e32 v2, 15, v14
	v_cndmask_b32_e32 v4, v10, v2, vcc
	v_cndmask_b32_e64 v2, 0, 1, vcc
	v_lshrrev_b64 v[2:3], v2, v[27:28]
; %bb.6478:                             ;   in Loop: Header=BB6_4475 Depth=2
	s_andn2_saveexec_b64 s[18:19], s[18:19]
; %bb.6479:                             ;   in Loop: Header=BB6_4475 Depth=2
	v_mov_b32_e32 v2, v27
	v_mov_b32_e32 v3, v28
	v_bfe_u32 v4, v27, 23, 1
; %bb.6480:                             ;   in Loop: Header=BB6_4475 Depth=2
	s_or_b64 exec, exec, s[18:19]
	v_lshrrev_b64 v[2:3], 21, v[2:3]
	v_cmp_gt_i32_e32 vcc, 32, v4
	v_cndmask_b32_e32 v3, 0, v3, vcc
	v_cndmask_b32_e32 v2, 3, v2, vcc
	v_cmp_eq_u64_e64 s[18:19], 0, v[2:3]
	v_min_i32_e32 v3, 31, v4
	v_lshlrev_b32_e32 v3, 2, v3
	v_cmp_eq_u32_e32 vcc, 0, v4
	v_and_b32_e32 v3, 0xfc, v3
	v_and_or_b32 v2, v2, 3, v3
	s_and_b64 s[18:19], vcc, s[18:19]
	v_cndmask_b32_e64 v2, v2, 0, s[18:19]
	v_or_b32_e32 v10, v2, v11
.LBB6_6481:                             ;   in Loop: Header=BB6_4475 Depth=2
	s_or_b64 exec, exec, s[88:89]
                                        ; implicit-def: $vgpr11
.LBB6_6482:                             ;   in Loop: Header=BB6_4475 Depth=2
	s_andn2_saveexec_b64 s[18:19], s[78:79]
; %bb.6483:                             ;   in Loop: Header=BB6_4475 Depth=2
	v_or_b32_e32 v10, 0x7b, v11
; %bb.6484:                             ;   in Loop: Header=BB6_4475 Depth=2
	s_or_b64 exec, exec, s[18:19]
                                        ; implicit-def: $vgpr2
.LBB6_6485:                             ;   in Loop: Header=BB6_4475 Depth=2
	s_andn2_saveexec_b64 s[18:19], s[76:77]
	s_cbranch_execz .LBB6_6491
; %bb.6486:                             ;   in Loop: Header=BB6_4475 Depth=2
	v_cmp_ne_u64_e32 vcc, 0, v[27:28]
                                        ; implicit-def: $vgpr10
	s_and_saveexec_b64 s[76:77], vcc
	s_xor_b64 s[76:77], exec, s[76:77]
; %bb.6487:                             ;   in Loop: Header=BB6_4475 Depth=2
	v_or_b32_sdwa v10, v2, s54 dst_sel:DWORD dst_unused:UNUSED_PAD src0_sel:BYTE_3 src1_sel:DWORD
                                        ; implicit-def: $vgpr2
; %bb.6488:                             ;   in Loop: Header=BB6_4475 Depth=2
	s_andn2_saveexec_b64 s[76:77], s[76:77]
; %bb.6489:                             ;   in Loop: Header=BB6_4475 Depth=2
	v_cmp_lt_i32_e32 vcc, -1, v2
	v_bfrev_b32_e32 v2, 0.5
	v_mov_b32_e32 v3, 0x7c
	v_cndmask_b32_e32 v10, v2, v3, vcc
; %bb.6490:                             ;   in Loop: Header=BB6_4475 Depth=2
	s_or_b64 exec, exec, s[76:77]
.LBB6_6491:                             ;   in Loop: Header=BB6_4475 Depth=2
	s_or_b64 exec, exec, s[18:19]
	v_cmp_ne_u16_sdwa s[76:77], v16, v28 src0_sel:BYTE_0 src1_sel:DWORD
	v_mov_b32_e32 v2, 0
	v_mov_b32_e32 v3, 0
	s_and_saveexec_b64 s[18:19], s[76:77]
	s_cbranch_execz .LBB6_6499
; %bb.6492:                             ;   in Loop: Header=BB6_4475 Depth=2
	v_cmp_ne_u16_sdwa s[78:79], sext(v16), s49 src0_sel:BYTE_0 src1_sel:DWORD
	v_bfrev_b32_e32 v3, 1
	s_and_saveexec_b64 s[76:77], s[78:79]
	s_cbranch_execz .LBB6_6498
; %bb.6493:                             ;   in Loop: Header=BB6_4475 Depth=2
	v_and_b32_e32 v3, 0x7c, v16
	v_and_b32_e32 v4, 3, v16
	v_cmp_ne_u32_e32 vcc, s50, v3
                                        ; implicit-def: $vgpr3
	s_and_saveexec_b64 s[78:79], vcc
	s_xor_b64 s[78:79], exec, s[78:79]
	s_cbranch_execz .LBB6_6495
; %bb.6494:                             ;   in Loop: Header=BB6_4475 Depth=2
	v_ffbh_u32_e32 v11, v4
	v_min_u32_e32 v11, 32, v11
	v_bfe_u32 v3, v16, 2, 5
	v_subrev_u32_e32 v14, 29, v11
	v_lshlrev_b64 v[14:15], v14, v[16:17]
	v_sub_u32_e32 v11, 30, v11
	v_cmp_eq_u32_e32 vcc, 0, v3
	v_cndmask_b32_e32 v3, v3, v11, vcc
	v_lshlrev_b32_e32 v11, 24, v16
	v_and_b32_e32 v14, 3, v14
	v_and_b32_e32 v11, 0x80000000, v11
	v_cndmask_b32_e32 v4, v4, v14, vcc
	v_lshl_add_u32 v3, v3, 23, v11
	v_lshl_or_b32 v3, v4, 21, v3
	v_add_u32_e32 v3, 0x38000000, v3
                                        ; implicit-def: $vgpr4
.LBB6_6495:                             ;   in Loop: Header=BB6_4475 Depth=2
	s_andn2_saveexec_b64 s[78:79], s[78:79]
; %bb.6496:                             ;   in Loop: Header=BB6_4475 Depth=2
	v_mov_b32_e32 v3, -1
	v_cmp_gt_i16_sdwa vcc, sext(v16), v3 src0_sel:BYTE_0 src1_sel:DWORD
	v_mov_b32_e32 v3, 0xff800000
	v_mov_b32_e32 v11, 0x7f800000
	v_cndmask_b32_e32 v3, v3, v11, vcc
	v_cmp_eq_u32_e32 vcc, 0, v4
	v_mov_b32_e32 v4, 0x7f800001
	v_cndmask_b32_e32 v3, v4, v3, vcc
; %bb.6497:                             ;   in Loop: Header=BB6_4475 Depth=2
	s_or_b64 exec, exec, s[78:79]
.LBB6_6498:                             ;   in Loop: Header=BB6_4475 Depth=2
	s_or_b64 exec, exec, s[76:77]
.LBB6_6499:                             ;   in Loop: Header=BB6_4475 Depth=2
	s_or_b64 exec, exec, s[18:19]
	v_cmp_ne_u16_sdwa s[76:77], v12, v28 src0_sel:BYTE_0 src1_sel:DWORD
	s_and_saveexec_b64 s[18:19], s[76:77]
	s_cbranch_execz .LBB6_6507
; %bb.6500:                             ;   in Loop: Header=BB6_4475 Depth=2
	v_cmp_ne_u16_sdwa s[78:79], sext(v12), s49 src0_sel:BYTE_0 src1_sel:DWORD
	v_bfrev_b32_e32 v2, 1
	s_and_saveexec_b64 s[76:77], s[78:79]
	s_cbranch_execz .LBB6_6506
; %bb.6501:                             ;   in Loop: Header=BB6_4475 Depth=2
	v_and_b32_e32 v2, 0x7c, v12
	v_and_b32_e32 v4, 3, v12
	v_cmp_ne_u32_e32 vcc, s50, v2
                                        ; implicit-def: $vgpr2
	s_and_saveexec_b64 s[78:79], vcc
	s_xor_b64 s[78:79], exec, s[78:79]
	s_cbranch_execz .LBB6_6503
; %bb.6502:                             ;   in Loop: Header=BB6_4475 Depth=2
	v_ffbh_u32_e32 v11, v4
	v_min_u32_e32 v11, 32, v11
	v_bfe_u32 v2, v12, 2, 5
	v_subrev_u32_e32 v14, 29, v11
	v_lshlrev_b64 v[14:15], v14, v[12:13]
	v_sub_u32_e32 v11, 30, v11
	v_cmp_eq_u32_e32 vcc, 0, v2
	v_cndmask_b32_e32 v2, v2, v11, vcc
	v_lshlrev_b32_e32 v11, 24, v12
	v_and_b32_e32 v14, 3, v14
	v_and_b32_e32 v11, 0x80000000, v11
	v_cndmask_b32_e32 v4, v4, v14, vcc
	v_lshl_add_u32 v2, v2, 23, v11
	v_lshl_or_b32 v2, v4, 21, v2
	v_add_u32_e32 v2, 0x38000000, v2
                                        ; implicit-def: $vgpr4
.LBB6_6503:                             ;   in Loop: Header=BB6_4475 Depth=2
	s_andn2_saveexec_b64 s[78:79], s[78:79]
; %bb.6504:                             ;   in Loop: Header=BB6_4475 Depth=2
	v_mov_b32_e32 v2, -1
	v_cmp_gt_i16_sdwa vcc, sext(v12), v2 src0_sel:BYTE_0 src1_sel:DWORD
	v_mov_b32_e32 v2, 0xff800000
	v_mov_b32_e32 v11, 0x7f800000
	v_cndmask_b32_e32 v2, v2, v11, vcc
	v_cmp_eq_u32_e32 vcc, 0, v4
	v_mov_b32_e32 v4, 0x7f800001
	v_cndmask_b32_e32 v2, v4, v2, vcc
; %bb.6505:                             ;   in Loop: Header=BB6_4475 Depth=2
	s_or_b64 exec, exec, s[78:79]
.LBB6_6506:                             ;   in Loop: Header=BB6_4475 Depth=2
	s_or_b64 exec, exec, s[76:77]
.LBB6_6507:                             ;   in Loop: Header=BB6_4475 Depth=2
	s_or_b64 exec, exec, s[18:19]
	v_mul_f32_e32 v2, v3, v2
	v_and_b32_e32 v3, 0x7f800000, v2
	v_mov_b32_e32 v4, v28
	v_cmp_ne_u64_e32 vcc, s[58:59], v[3:4]
	v_and_b32_e32 v27, 0x7fffff, v2
                                        ; implicit-def: $vgpr11
	s_and_saveexec_b64 s[18:19], vcc
	s_xor_b64 s[76:77], exec, s[18:19]
	s_cbranch_execz .LBB6_6521
; %bb.6508:                             ;   in Loop: Header=BB6_4475 Depth=2
	v_and_b32_e32 v3, 0x7fffffff, v2
	v_mov_b32_e32 v4, v28
	v_cmp_gt_u64_e32 vcc, s[60:61], v[3:4]
	v_and_b32_sdwa v14, v2, s52 dst_sel:DWORD dst_unused:UNUSED_PAD src0_sel:BYTE_3 src1_sel:DWORD
                                        ; implicit-def: $vgpr11
	s_and_saveexec_b64 s[18:19], vcc
	s_xor_b64 s[78:79], exec, s[18:19]
	s_cbranch_execz .LBB6_6518
; %bb.6509:                             ;   in Loop: Header=BB6_4475 Depth=2
	v_mov_b32_e32 v11, 0
	v_cmp_ne_u32_e32 vcc, 0, v2
	s_and_saveexec_b64 s[88:89], vcc
	s_cbranch_execz .LBB6_6517
; %bb.6510:                             ;   in Loop: Header=BB6_4475 Depth=2
	v_bfe_u32 v11, v2, 23, 8
	v_cmp_gt_u32_e64 s[18:19], s53, v11
	v_sub_u32_e32 v2, 0x71, v11
	v_cmp_eq_u32_e32 vcc, 0, v11
	v_cndmask_b32_e64 v2, 0, v2, s[18:19]
	v_mov_b32_e32 v4, 0x70
	v_cndmask_b32_e32 v15, v2, v4, vcc
	v_add_u32_e32 v4, 21, v15
	v_or_b32_e32 v3, 0x800000, v27
	v_lshlrev_b64 v[38:39], v4, -1
	v_cndmask_b32_e32 v2, v3, v27, vcc
	v_mov_b32_e32 v3, v28
	v_add_u32_e32 v4, 20, v15
	v_bfi_b32 v38, v38, 0, v2
	v_lshlrev_b64 v[50:51], v4, 1
	v_lshrrev_b64 v[2:3], v15, v[2:3]
	v_bfi_b32 v39, v39, 0, 0
	v_cmp_eq_u64_e64 s[18:19], v[38:39], v[50:51]
	v_mov_b32_e32 v4, v3
	v_mov_b32_e32 v3, v2
	s_and_saveexec_b64 s[90:91], s[18:19]
; %bb.6511:                             ;   in Loop: Header=BB6_4475 Depth=2
	v_bfe_u32 v3, v2, 21, 1
	v_add_co_u32_e64 v3, s[18:19], v2, v3
	v_add_co_u32_e64 v3, s[18:19], -1, v3
; %bb.6512:                             ;   in Loop: Header=BB6_4475 Depth=2
	s_or_b64 exec, exec, s[90:91]
	v_add_u32_e32 v4, 0xffffff81, v11
	v_mov_b32_e32 v11, 0xffffff82
	v_cndmask_b32_e32 v4, v4, v11, vcc
	v_lshrrev_b32_e32 v11, 23, v2
	v_add3_u32 v15, v15, v4, v11
	v_add_u32_e32 v11, 14, v15
	v_and_b32_e32 v3, 0x1fffff, v3
	v_add_u32_e32 v27, v3, v2
	v_cmp_ne_u32_e32 vcc, 0, v11
                                        ; implicit-def: $vgpr2_vgpr3
                                        ; implicit-def: $vgpr4
	s_and_saveexec_b64 s[18:19], vcc
	s_xor_b64 s[18:19], exec, s[18:19]
; %bb.6513:                             ;   in Loop: Header=BB6_4475 Depth=2
	v_cmp_lt_u64_e32 vcc, s[62:63], v[27:28]
	v_add_u32_e32 v2, 15, v15
	v_cndmask_b32_e32 v4, v11, v2, vcc
	v_cndmask_b32_e64 v2, 0, 1, vcc
	v_lshrrev_b64 v[2:3], v2, v[27:28]
; %bb.6514:                             ;   in Loop: Header=BB6_4475 Depth=2
	s_andn2_saveexec_b64 s[18:19], s[18:19]
; %bb.6515:                             ;   in Loop: Header=BB6_4475 Depth=2
	v_mov_b32_e32 v2, v27
	v_mov_b32_e32 v3, v28
	v_bfe_u32 v4, v27, 23, 1
; %bb.6516:                             ;   in Loop: Header=BB6_4475 Depth=2
	s_or_b64 exec, exec, s[18:19]
	v_lshrrev_b64 v[2:3], 21, v[2:3]
	v_cmp_gt_i32_e32 vcc, 32, v4
	v_cndmask_b32_e32 v3, 0, v3, vcc
	v_cndmask_b32_e32 v2, 3, v2, vcc
	v_cmp_eq_u64_e64 s[18:19], 0, v[2:3]
	v_min_i32_e32 v3, 31, v4
	v_lshlrev_b32_e32 v3, 2, v3
	v_cmp_eq_u32_e32 vcc, 0, v4
	v_and_b32_e32 v3, 0xfc, v3
	v_and_or_b32 v2, v2, 3, v3
	s_and_b64 s[18:19], vcc, s[18:19]
	v_cndmask_b32_e64 v2, v2, 0, s[18:19]
	v_or_b32_e32 v11, v2, v14
.LBB6_6517:                             ;   in Loop: Header=BB6_4475 Depth=2
	s_or_b64 exec, exec, s[88:89]
                                        ; implicit-def: $vgpr14
.LBB6_6518:                             ;   in Loop: Header=BB6_4475 Depth=2
	s_andn2_saveexec_b64 s[18:19], s[78:79]
; %bb.6519:                             ;   in Loop: Header=BB6_4475 Depth=2
	v_or_b32_e32 v11, 0x7b, v14
; %bb.6520:                             ;   in Loop: Header=BB6_4475 Depth=2
	s_or_b64 exec, exec, s[18:19]
                                        ; implicit-def: $vgpr2
.LBB6_6521:                             ;   in Loop: Header=BB6_4475 Depth=2
	s_andn2_saveexec_b64 s[18:19], s[76:77]
	s_cbranch_execz .LBB6_6527
; %bb.6522:                             ;   in Loop: Header=BB6_4475 Depth=2
	v_cmp_ne_u64_e32 vcc, 0, v[27:28]
                                        ; implicit-def: $vgpr11
	s_and_saveexec_b64 s[76:77], vcc
	s_xor_b64 s[76:77], exec, s[76:77]
; %bb.6523:                             ;   in Loop: Header=BB6_4475 Depth=2
	v_or_b32_sdwa v11, v2, s54 dst_sel:DWORD dst_unused:UNUSED_PAD src0_sel:BYTE_3 src1_sel:DWORD
                                        ; implicit-def: $vgpr2
; %bb.6524:                             ;   in Loop: Header=BB6_4475 Depth=2
	s_andn2_saveexec_b64 s[76:77], s[76:77]
; %bb.6525:                             ;   in Loop: Header=BB6_4475 Depth=2
	v_cmp_lt_i32_e32 vcc, -1, v2
	v_bfrev_b32_e32 v2, 0.5
	v_mov_b32_e32 v3, 0x7c
	v_cndmask_b32_e32 v11, v2, v3, vcc
; %bb.6526:                             ;   in Loop: Header=BB6_4475 Depth=2
	s_or_b64 exec, exec, s[76:77]
.LBB6_6527:                             ;   in Loop: Header=BB6_4475 Depth=2
	s_or_b64 exec, exec, s[18:19]
	v_lshrrev_b16_e32 v2, 8, v16
	v_cmp_ne_u16_e32 vcc, 0, v2
	v_mov_b32_e32 v4, 0
	v_mov_b32_e32 v14, 0
	s_and_saveexec_b64 s[18:19], vcc
	s_cbranch_execz .LBB6_6535
; %bb.6528:                             ;   in Loop: Header=BB6_4475 Depth=2
	v_cmp_ne_u16_e32 vcc, s52, v2
	v_bfrev_b32_e32 v14, 1
	s_and_saveexec_b64 s[76:77], vcc
	s_cbranch_execz .LBB6_6534
; %bb.6529:                             ;   in Loop: Header=BB6_4475 Depth=2
	v_and_b32_e32 v3, 0x7c, v2
	v_and_b32_e32 v15, 3, v2
	v_cmp_ne_u32_e32 vcc, s50, v3
                                        ; implicit-def: $vgpr14
	s_and_saveexec_b64 s[78:79], vcc
	s_xor_b64 s[78:79], exec, s[78:79]
	s_cbranch_execz .LBB6_6531
; %bb.6530:                             ;   in Loop: Header=BB6_4475 Depth=2
	v_ffbh_u32_e32 v27, v15
	v_min_u32_e32 v27, 32, v27
	v_mov_b32_e32 v3, v28
	v_subrev_u32_e32 v32, 29, v27
	v_bfe_u32 v14, v2, 2, 5
	v_lshlrev_b64 v[2:3], v32, v[2:3]
	v_sub_u32_e32 v3, 30, v27
	v_cmp_eq_u32_e32 vcc, 0, v14
	v_cndmask_b32_e32 v3, v14, v3, vcc
	v_lshlrev_b32_e32 v14, 16, v16
	v_and_b32_e32 v2, 3, v2
	v_and_b32_e32 v14, 0x80000000, v14
	v_cndmask_b32_e32 v2, v15, v2, vcc
	v_lshl_add_u32 v3, v3, 23, v14
	v_lshl_or_b32 v2, v2, 21, v3
	v_add_u32_e32 v14, 0x38000000, v2
                                        ; implicit-def: $vgpr15
.LBB6_6531:                             ;   in Loop: Header=BB6_4475 Depth=2
	s_andn2_saveexec_b64 s[78:79], s[78:79]
; %bb.6532:                             ;   in Loop: Header=BB6_4475 Depth=2
	v_cmp_lt_i16_e32 vcc, -1, v16
	v_mov_b32_e32 v2, 0xff800000
	v_mov_b32_e32 v3, 0x7f800000
	v_cndmask_b32_e32 v2, v2, v3, vcc
	v_cmp_eq_u32_e32 vcc, 0, v15
	v_mov_b32_e32 v3, 0x7f800001
	v_cndmask_b32_e32 v14, v3, v2, vcc
; %bb.6533:                             ;   in Loop: Header=BB6_4475 Depth=2
	s_or_b64 exec, exec, s[78:79]
.LBB6_6534:                             ;   in Loop: Header=BB6_4475 Depth=2
	s_or_b64 exec, exec, s[76:77]
.LBB6_6535:                             ;   in Loop: Header=BB6_4475 Depth=2
	s_or_b64 exec, exec, s[18:19]
	v_lshrrev_b16_e32 v2, 8, v12
	v_cmp_ne_u16_e32 vcc, 0, v2
	s_and_saveexec_b64 s[18:19], vcc
	s_cbranch_execz .LBB6_6543
; %bb.6536:                             ;   in Loop: Header=BB6_4475 Depth=2
	v_cmp_ne_u16_e32 vcc, s52, v2
	v_bfrev_b32_e32 v4, 1
	s_and_saveexec_b64 s[76:77], vcc
	s_cbranch_execz .LBB6_6542
; %bb.6537:                             ;   in Loop: Header=BB6_4475 Depth=2
	v_and_b32_e32 v3, 0x7c, v2
	v_and_b32_e32 v15, 3, v2
	v_cmp_ne_u32_e32 vcc, s50, v3
                                        ; implicit-def: $vgpr4
	s_and_saveexec_b64 s[78:79], vcc
	s_xor_b64 s[78:79], exec, s[78:79]
	s_cbranch_execz .LBB6_6539
; %bb.6538:                             ;   in Loop: Header=BB6_4475 Depth=2
	v_ffbh_u32_e32 v27, v15
	v_min_u32_e32 v27, 32, v27
	v_mov_b32_e32 v3, v28
	v_subrev_u32_e32 v32, 29, v27
	v_bfe_u32 v4, v2, 2, 5
	v_lshlrev_b64 v[2:3], v32, v[2:3]
	v_sub_u32_e32 v3, 30, v27
	v_cmp_eq_u32_e32 vcc, 0, v4
	v_cndmask_b32_e32 v3, v4, v3, vcc
	v_lshlrev_b32_e32 v4, 16, v12
	v_and_b32_e32 v2, 3, v2
	v_and_b32_e32 v4, 0x80000000, v4
	v_cndmask_b32_e32 v2, v15, v2, vcc
	v_lshl_add_u32 v3, v3, 23, v4
	v_lshl_or_b32 v2, v2, 21, v3
	v_add_u32_e32 v4, 0x38000000, v2
                                        ; implicit-def: $vgpr15
.LBB6_6539:                             ;   in Loop: Header=BB6_4475 Depth=2
	s_andn2_saveexec_b64 s[78:79], s[78:79]
; %bb.6540:                             ;   in Loop: Header=BB6_4475 Depth=2
	v_cmp_lt_i16_e32 vcc, -1, v12
	v_mov_b32_e32 v2, 0xff800000
	v_mov_b32_e32 v3, 0x7f800000
	v_cndmask_b32_e32 v2, v2, v3, vcc
	v_cmp_eq_u32_e32 vcc, 0, v15
	v_mov_b32_e32 v3, 0x7f800001
	v_cndmask_b32_e32 v4, v3, v2, vcc
; %bb.6541:                             ;   in Loop: Header=BB6_4475 Depth=2
	s_or_b64 exec, exec, s[78:79]
.LBB6_6542:                             ;   in Loop: Header=BB6_4475 Depth=2
	s_or_b64 exec, exec, s[76:77]
.LBB6_6543:                             ;   in Loop: Header=BB6_4475 Depth=2
	s_or_b64 exec, exec, s[18:19]
	v_mul_f32_e32 v2, v14, v4
	v_and_b32_e32 v3, 0x7f800000, v2
	v_mov_b32_e32 v4, v28
	v_cmp_ne_u64_e32 vcc, s[58:59], v[3:4]
	v_and_b32_e32 v27, 0x7fffff, v2
                                        ; implicit-def: $vgpr14
	s_and_saveexec_b64 s[18:19], vcc
	s_xor_b64 s[76:77], exec, s[18:19]
	s_cbranch_execz .LBB6_6557
; %bb.6544:                             ;   in Loop: Header=BB6_4475 Depth=2
	v_and_b32_e32 v3, 0x7fffffff, v2
	v_mov_b32_e32 v4, v28
	v_cmp_gt_u64_e32 vcc, s[60:61], v[3:4]
	v_and_b32_sdwa v15, v2, s52 dst_sel:DWORD dst_unused:UNUSED_PAD src0_sel:BYTE_3 src1_sel:DWORD
                                        ; implicit-def: $vgpr14
	s_and_saveexec_b64 s[18:19], vcc
	s_xor_b64 s[78:79], exec, s[18:19]
	s_cbranch_execz .LBB6_6554
; %bb.6545:                             ;   in Loop: Header=BB6_4475 Depth=2
	v_mov_b32_e32 v14, 0
	v_cmp_ne_u32_e32 vcc, 0, v2
	s_and_saveexec_b64 s[88:89], vcc
	s_cbranch_execz .LBB6_6553
; %bb.6546:                             ;   in Loop: Header=BB6_4475 Depth=2
	v_bfe_u32 v14, v2, 23, 8
	v_cmp_gt_u32_e64 s[18:19], s53, v14
	v_sub_u32_e32 v2, 0x71, v14
	v_cmp_eq_u32_e32 vcc, 0, v14
	v_cndmask_b32_e64 v2, 0, v2, s[18:19]
	v_mov_b32_e32 v4, 0x70
	v_cndmask_b32_e32 v38, v2, v4, vcc
	v_add_u32_e32 v4, 21, v38
	v_or_b32_e32 v3, 0x800000, v27
	v_lshlrev_b64 v[50:51], v4, -1
	v_cndmask_b32_e32 v2, v3, v27, vcc
	v_mov_b32_e32 v3, v28
	v_add_u32_e32 v4, 20, v38
	v_bfi_b32 v50, v50, 0, v2
	v_lshlrev_b64 v[46:47], v4, 1
	v_lshrrev_b64 v[2:3], v38, v[2:3]
	v_bfi_b32 v51, v51, 0, 0
	v_cmp_eq_u64_e64 s[18:19], v[50:51], v[46:47]
	v_mov_b32_e32 v4, v3
	v_mov_b32_e32 v3, v2
	s_and_saveexec_b64 s[90:91], s[18:19]
; %bb.6547:                             ;   in Loop: Header=BB6_4475 Depth=2
	v_bfe_u32 v3, v2, 21, 1
	v_add_co_u32_e64 v3, s[18:19], v2, v3
	v_add_co_u32_e64 v3, s[18:19], -1, v3
; %bb.6548:                             ;   in Loop: Header=BB6_4475 Depth=2
	s_or_b64 exec, exec, s[90:91]
	v_add_u32_e32 v4, 0xffffff81, v14
	v_mov_b32_e32 v14, 0xffffff82
	v_cndmask_b32_e32 v4, v4, v14, vcc
	v_lshrrev_b32_e32 v14, 23, v2
	v_add3_u32 v38, v38, v4, v14
	v_add_u32_e32 v14, 14, v38
	v_and_b32_e32 v3, 0x1fffff, v3
	v_add_u32_e32 v27, v3, v2
	v_cmp_ne_u32_e32 vcc, 0, v14
                                        ; implicit-def: $vgpr2_vgpr3
                                        ; implicit-def: $vgpr4
	s_and_saveexec_b64 s[18:19], vcc
	s_xor_b64 s[18:19], exec, s[18:19]
; %bb.6549:                             ;   in Loop: Header=BB6_4475 Depth=2
	v_cmp_lt_u64_e32 vcc, s[62:63], v[27:28]
	v_add_u32_e32 v2, 15, v38
	v_cndmask_b32_e32 v4, v14, v2, vcc
	v_cndmask_b32_e64 v2, 0, 1, vcc
	v_lshrrev_b64 v[2:3], v2, v[27:28]
; %bb.6550:                             ;   in Loop: Header=BB6_4475 Depth=2
	s_andn2_saveexec_b64 s[18:19], s[18:19]
; %bb.6551:                             ;   in Loop: Header=BB6_4475 Depth=2
	v_mov_b32_e32 v2, v27
	v_mov_b32_e32 v3, v28
	v_bfe_u32 v4, v27, 23, 1
; %bb.6552:                             ;   in Loop: Header=BB6_4475 Depth=2
	s_or_b64 exec, exec, s[18:19]
	v_lshrrev_b64 v[2:3], 21, v[2:3]
	v_cmp_gt_i32_e32 vcc, 32, v4
	v_cndmask_b32_e32 v3, 0, v3, vcc
	v_cndmask_b32_e32 v2, 3, v2, vcc
	v_cmp_eq_u64_e64 s[18:19], 0, v[2:3]
	v_min_i32_e32 v3, 31, v4
	v_lshlrev_b32_e32 v3, 2, v3
	v_cmp_eq_u32_e32 vcc, 0, v4
	v_and_b32_e32 v3, 0xfc, v3
	v_and_or_b32 v2, v2, 3, v3
	s_and_b64 s[18:19], vcc, s[18:19]
	v_cndmask_b32_e64 v2, v2, 0, s[18:19]
	v_or_b32_e32 v14, v2, v15
.LBB6_6553:                             ;   in Loop: Header=BB6_4475 Depth=2
	s_or_b64 exec, exec, s[88:89]
                                        ; implicit-def: $vgpr15
.LBB6_6554:                             ;   in Loop: Header=BB6_4475 Depth=2
	s_andn2_saveexec_b64 s[18:19], s[78:79]
; %bb.6555:                             ;   in Loop: Header=BB6_4475 Depth=2
	v_or_b32_e32 v14, 0x7b, v15
; %bb.6556:                             ;   in Loop: Header=BB6_4475 Depth=2
	s_or_b64 exec, exec, s[18:19]
                                        ; implicit-def: $vgpr2
.LBB6_6557:                             ;   in Loop: Header=BB6_4475 Depth=2
	s_andn2_saveexec_b64 s[18:19], s[76:77]
	s_cbranch_execz .LBB6_6563
; %bb.6558:                             ;   in Loop: Header=BB6_4475 Depth=2
	v_cmp_ne_u64_e32 vcc, 0, v[27:28]
                                        ; implicit-def: $vgpr14
	s_and_saveexec_b64 s[76:77], vcc
	s_xor_b64 s[76:77], exec, s[76:77]
; %bb.6559:                             ;   in Loop: Header=BB6_4475 Depth=2
	v_or_b32_sdwa v14, v2, s54 dst_sel:DWORD dst_unused:UNUSED_PAD src0_sel:BYTE_3 src1_sel:DWORD
                                        ; implicit-def: $vgpr2
; %bb.6560:                             ;   in Loop: Header=BB6_4475 Depth=2
	s_andn2_saveexec_b64 s[76:77], s[76:77]
; %bb.6561:                             ;   in Loop: Header=BB6_4475 Depth=2
	v_cmp_lt_i32_e32 vcc, -1, v2
	v_bfrev_b32_e32 v2, 0.5
	v_mov_b32_e32 v3, 0x7c
	v_cndmask_b32_e32 v14, v2, v3, vcc
; %bb.6562:                             ;   in Loop: Header=BB6_4475 Depth=2
	s_or_b64 exec, exec, s[76:77]
.LBB6_6563:                             ;   in Loop: Header=BB6_4475 Depth=2
	s_or_b64 exec, exec, s[18:19]
	v_lshrrev_b32_e32 v2, 16, v16
	v_cmp_ne_u16_sdwa s[76:77], v2, v28 src0_sel:BYTE_0 src1_sel:DWORD
	v_mov_b32_e32 v3, 0
	v_mov_b32_e32 v4, 0
	s_and_saveexec_b64 s[18:19], s[76:77]
	s_cbranch_execz .LBB6_6571
; %bb.6564:                             ;   in Loop: Header=BB6_4475 Depth=2
	v_cmp_ne_u16_sdwa s[78:79], v2, s52 src0_sel:BYTE_0 src1_sel:DWORD
	v_bfrev_b32_e32 v4, 1
	s_and_saveexec_b64 s[76:77], s[78:79]
	s_cbranch_execz .LBB6_6570
; %bb.6565:                             ;   in Loop: Header=BB6_4475 Depth=2
	v_and_b32_e32 v4, 0x7c0000, v16
	v_bfe_u32 v15, v16, 16, 2
	v_cmp_ne_u32_e32 vcc, s55, v4
                                        ; implicit-def: $vgpr4
	s_and_saveexec_b64 s[78:79], vcc
	s_xor_b64 s[78:79], exec, s[78:79]
	s_cbranch_execz .LBB6_6567
; %bb.6566:                             ;   in Loop: Header=BB6_4475 Depth=2
	v_ffbh_u32_e32 v27, v15
	v_min_u32_e32 v27, 32, v27
	v_subrev_u32_e32 v32, 29, v27
	v_lshlrev_b64 v[38:39], v32, v[2:3]
	v_bfe_u32 v4, v16, 18, 5
	v_sub_u32_e32 v2, 30, v27
	v_and_b32_e32 v27, 3, v38
	v_cmp_eq_u32_e32 vcc, 0, v4
	v_cndmask_b32_e32 v2, v4, v2, vcc
	v_cndmask_b32_e32 v4, v15, v27, vcc
	v_lshlrev_b32_e32 v15, 8, v16
	v_and_b32_e32 v15, 0x80000000, v15
	v_lshl_add_u32 v2, v2, 23, v15
	v_lshl_or_b32 v2, v4, 21, v2
	v_add_u32_e32 v4, 0x38000000, v2
                                        ; implicit-def: $vgpr15
                                        ; implicit-def: $vgpr2
.LBB6_6567:                             ;   in Loop: Header=BB6_4475 Depth=2
	s_andn2_saveexec_b64 s[78:79], s[78:79]
; %bb.6568:                             ;   in Loop: Header=BB6_4475 Depth=2
	v_mov_b32_e32 v4, -1
	v_cmp_gt_i16_sdwa vcc, sext(v2), v4 src0_sel:BYTE_0 src1_sel:DWORD
	v_mov_b32_e32 v2, 0xff800000
	v_mov_b32_e32 v4, 0x7f800000
	v_cndmask_b32_e32 v2, v2, v4, vcc
	v_cmp_eq_u32_e32 vcc, 0, v15
	v_mov_b32_e32 v4, 0x7f800001
	v_cndmask_b32_e32 v4, v4, v2, vcc
; %bb.6569:                             ;   in Loop: Header=BB6_4475 Depth=2
	s_or_b64 exec, exec, s[78:79]
.LBB6_6570:                             ;   in Loop: Header=BB6_4475 Depth=2
	s_or_b64 exec, exec, s[76:77]
.LBB6_6571:                             ;   in Loop: Header=BB6_4475 Depth=2
	s_or_b64 exec, exec, s[18:19]
	v_lshrrev_b32_e32 v2, 16, v12
	v_cmp_ne_u16_sdwa s[76:77], v2, v28 src0_sel:BYTE_0 src1_sel:DWORD
	s_and_saveexec_b64 s[18:19], s[76:77]
	s_cbranch_execz .LBB6_6579
; %bb.6572:                             ;   in Loop: Header=BB6_4475 Depth=2
	v_cmp_ne_u16_sdwa s[78:79], v2, s52 src0_sel:BYTE_0 src1_sel:DWORD
	v_bfrev_b32_e32 v3, 1
	s_and_saveexec_b64 s[76:77], s[78:79]
	s_cbranch_execz .LBB6_6578
; %bb.6573:                             ;   in Loop: Header=BB6_4475 Depth=2
	v_and_b32_e32 v3, 0x7c0000, v12
	v_bfe_u32 v15, v12, 16, 2
	v_cmp_ne_u32_e32 vcc, s55, v3
                                        ; implicit-def: $vgpr3
	s_and_saveexec_b64 s[78:79], vcc
	s_xor_b64 s[78:79], exec, s[78:79]
	s_cbranch_execz .LBB6_6575
; %bb.6574:                             ;   in Loop: Header=BB6_4475 Depth=2
	v_ffbh_u32_e32 v3, v15
	v_min_u32_e32 v32, 32, v3
	v_subrev_u32_e32 v3, 29, v32
	v_lshlrev_b64 v[2:3], v3, v[2:3]
	v_bfe_u32 v27, v12, 18, 5
	v_and_b32_e32 v2, 3, v2
	v_cmp_eq_u32_e32 vcc, 0, v27
	v_sub_u32_e32 v3, 30, v32
	v_cndmask_b32_e32 v2, v15, v2, vcc
	v_lshlrev_b32_e32 v15, 8, v12
	v_cndmask_b32_e32 v3, v27, v3, vcc
	v_and_b32_e32 v15, 0x80000000, v15
	v_lshl_add_u32 v3, v3, 23, v15
	v_lshl_or_b32 v2, v2, 21, v3
	v_add_u32_e32 v3, 0x38000000, v2
                                        ; implicit-def: $vgpr15
                                        ; implicit-def: $vgpr2
.LBB6_6575:                             ;   in Loop: Header=BB6_4475 Depth=2
	s_andn2_saveexec_b64 s[78:79], s[78:79]
; %bb.6576:                             ;   in Loop: Header=BB6_4475 Depth=2
	v_mov_b32_e32 v3, -1
	v_cmp_gt_i16_sdwa vcc, sext(v2), v3 src0_sel:BYTE_0 src1_sel:DWORD
	v_mov_b32_e32 v2, 0xff800000
	v_mov_b32_e32 v3, 0x7f800000
	v_cndmask_b32_e32 v2, v2, v3, vcc
	v_cmp_eq_u32_e32 vcc, 0, v15
	v_mov_b32_e32 v3, 0x7f800001
	v_cndmask_b32_e32 v3, v3, v2, vcc
; %bb.6577:                             ;   in Loop: Header=BB6_4475 Depth=2
	s_or_b64 exec, exec, s[78:79]
.LBB6_6578:                             ;   in Loop: Header=BB6_4475 Depth=2
	s_or_b64 exec, exec, s[76:77]
.LBB6_6579:                             ;   in Loop: Header=BB6_4475 Depth=2
	s_or_b64 exec, exec, s[18:19]
	v_mul_f32_e32 v2, v4, v3
	v_and_b32_e32 v3, 0x7f800000, v2
	v_mov_b32_e32 v4, v28
	v_cmp_ne_u64_e32 vcc, s[58:59], v[3:4]
	v_and_b32_e32 v27, 0x7fffff, v2
                                        ; implicit-def: $vgpr15
	s_and_saveexec_b64 s[18:19], vcc
	s_xor_b64 s[76:77], exec, s[18:19]
	s_cbranch_execz .LBB6_6593
; %bb.6580:                             ;   in Loop: Header=BB6_4475 Depth=2
	v_and_b32_e32 v3, 0x7fffffff, v2
	v_mov_b32_e32 v4, v28
	v_cmp_gt_u64_e32 vcc, s[60:61], v[3:4]
	v_and_b32_sdwa v38, v2, s52 dst_sel:DWORD dst_unused:UNUSED_PAD src0_sel:BYTE_3 src1_sel:DWORD
                                        ; implicit-def: $vgpr15
	s_and_saveexec_b64 s[18:19], vcc
	s_xor_b64 s[78:79], exec, s[18:19]
	s_cbranch_execz .LBB6_6590
; %bb.6581:                             ;   in Loop: Header=BB6_4475 Depth=2
	v_mov_b32_e32 v15, 0
	v_cmp_ne_u32_e32 vcc, 0, v2
	s_and_saveexec_b64 s[88:89], vcc
	s_cbranch_execz .LBB6_6589
; %bb.6582:                             ;   in Loop: Header=BB6_4475 Depth=2
	v_bfe_u32 v15, v2, 23, 8
	v_cmp_gt_u32_e64 s[18:19], s53, v15
	v_sub_u32_e32 v2, 0x71, v15
	v_cmp_eq_u32_e32 vcc, 0, v15
	v_cndmask_b32_e64 v2, 0, v2, s[18:19]
	v_mov_b32_e32 v4, 0x70
	v_cndmask_b32_e32 v39, v2, v4, vcc
	v_add_u32_e32 v4, 21, v39
	v_or_b32_e32 v3, 0x800000, v27
	v_lshlrev_b64 v[50:51], v4, -1
	v_cndmask_b32_e32 v2, v3, v27, vcc
	v_mov_b32_e32 v3, v28
	v_add_u32_e32 v4, 20, v39
	v_bfi_b32 v50, v50, 0, v2
	v_lshlrev_b64 v[46:47], v4, 1
	v_lshrrev_b64 v[2:3], v39, v[2:3]
	v_bfi_b32 v51, v51, 0, 0
	v_cmp_eq_u64_e64 s[18:19], v[50:51], v[46:47]
	v_mov_b32_e32 v4, v3
	v_mov_b32_e32 v3, v2
	s_and_saveexec_b64 s[90:91], s[18:19]
; %bb.6583:                             ;   in Loop: Header=BB6_4475 Depth=2
	v_bfe_u32 v3, v2, 21, 1
	v_add_co_u32_e64 v3, s[18:19], v2, v3
	v_add_co_u32_e64 v3, s[18:19], -1, v3
; %bb.6584:                             ;   in Loop: Header=BB6_4475 Depth=2
	s_or_b64 exec, exec, s[90:91]
	v_add_u32_e32 v4, 0xffffff81, v15
	v_mov_b32_e32 v15, 0xffffff82
	v_cndmask_b32_e32 v4, v4, v15, vcc
	v_lshrrev_b32_e32 v15, 23, v2
	v_add3_u32 v39, v39, v4, v15
	v_add_u32_e32 v15, 14, v39
	v_and_b32_e32 v3, 0x1fffff, v3
	v_add_u32_e32 v27, v3, v2
	v_cmp_ne_u32_e32 vcc, 0, v15
                                        ; implicit-def: $vgpr2_vgpr3
                                        ; implicit-def: $vgpr4
	s_and_saveexec_b64 s[18:19], vcc
	s_xor_b64 s[18:19], exec, s[18:19]
; %bb.6585:                             ;   in Loop: Header=BB6_4475 Depth=2
	v_cmp_lt_u64_e32 vcc, s[62:63], v[27:28]
	v_add_u32_e32 v2, 15, v39
	v_cndmask_b32_e32 v4, v15, v2, vcc
	v_cndmask_b32_e64 v2, 0, 1, vcc
	v_lshrrev_b64 v[2:3], v2, v[27:28]
; %bb.6586:                             ;   in Loop: Header=BB6_4475 Depth=2
	s_andn2_saveexec_b64 s[18:19], s[18:19]
; %bb.6587:                             ;   in Loop: Header=BB6_4475 Depth=2
	v_mov_b32_e32 v2, v27
	v_mov_b32_e32 v3, v28
	v_bfe_u32 v4, v27, 23, 1
; %bb.6588:                             ;   in Loop: Header=BB6_4475 Depth=2
	s_or_b64 exec, exec, s[18:19]
	v_lshrrev_b64 v[2:3], 21, v[2:3]
	v_cmp_gt_i32_e32 vcc, 32, v4
	v_cndmask_b32_e32 v3, 0, v3, vcc
	v_cndmask_b32_e32 v2, 3, v2, vcc
	v_cmp_eq_u64_e64 s[18:19], 0, v[2:3]
	v_min_i32_e32 v3, 31, v4
	v_lshlrev_b32_e32 v3, 2, v3
	v_cmp_eq_u32_e32 vcc, 0, v4
	v_and_b32_e32 v3, 0xfc, v3
	v_and_or_b32 v2, v2, 3, v3
	s_and_b64 s[18:19], vcc, s[18:19]
	v_cndmask_b32_e64 v2, v2, 0, s[18:19]
	v_or_b32_e32 v15, v2, v38
.LBB6_6589:                             ;   in Loop: Header=BB6_4475 Depth=2
	s_or_b64 exec, exec, s[88:89]
                                        ; implicit-def: $vgpr38
.LBB6_6590:                             ;   in Loop: Header=BB6_4475 Depth=2
	s_andn2_saveexec_b64 s[18:19], s[78:79]
; %bb.6591:                             ;   in Loop: Header=BB6_4475 Depth=2
	v_or_b32_e32 v15, 0x7b, v38
; %bb.6592:                             ;   in Loop: Header=BB6_4475 Depth=2
	s_or_b64 exec, exec, s[18:19]
                                        ; implicit-def: $vgpr2
.LBB6_6593:                             ;   in Loop: Header=BB6_4475 Depth=2
	s_andn2_saveexec_b64 s[18:19], s[76:77]
	s_cbranch_execz .LBB6_6599
; %bb.6594:                             ;   in Loop: Header=BB6_4475 Depth=2
	v_cmp_ne_u64_e32 vcc, 0, v[27:28]
                                        ; implicit-def: $vgpr15
	s_and_saveexec_b64 s[76:77], vcc
	s_xor_b64 s[76:77], exec, s[76:77]
; %bb.6595:                             ;   in Loop: Header=BB6_4475 Depth=2
	v_or_b32_sdwa v15, v2, s54 dst_sel:DWORD dst_unused:UNUSED_PAD src0_sel:BYTE_3 src1_sel:DWORD
                                        ; implicit-def: $vgpr2
; %bb.6596:                             ;   in Loop: Header=BB6_4475 Depth=2
	s_andn2_saveexec_b64 s[76:77], s[76:77]
; %bb.6597:                             ;   in Loop: Header=BB6_4475 Depth=2
	v_cmp_lt_i32_e32 vcc, -1, v2
	v_bfrev_b32_e32 v2, 0.5
	v_mov_b32_e32 v3, 0x7c
	v_cndmask_b32_e32 v15, v2, v3, vcc
; %bb.6598:                             ;   in Loop: Header=BB6_4475 Depth=2
	s_or_b64 exec, exec, s[76:77]
.LBB6_6599:                             ;   in Loop: Header=BB6_4475 Depth=2
	s_or_b64 exec, exec, s[18:19]
	v_cmp_lt_u32_e32 vcc, s57, v16
	v_mov_b32_e32 v3, 0
	v_mov_b32_e32 v4, 0
	s_and_saveexec_b64 s[18:19], vcc
	s_cbranch_execz .LBB6_6607
; %bb.6600:                             ;   in Loop: Header=BB6_4475 Depth=2
	v_lshrrev_b32_e32 v2, 24, v16
	v_cmp_ne_u32_e32 vcc, s52, v2
	v_bfrev_b32_e32 v4, 1
	s_and_saveexec_b64 s[76:77], vcc
	s_cbranch_execz .LBB6_6606
; %bb.6601:                             ;   in Loop: Header=BB6_4475 Depth=2
	v_and_b32_e32 v4, 0x7c000000, v16
	v_bfe_u32 v27, v16, 24, 2
	v_cmp_ne_u32_e32 vcc, s64, v4
                                        ; implicit-def: $vgpr4
	s_and_saveexec_b64 s[78:79], vcc
	s_xor_b64 s[78:79], exec, s[78:79]
	s_cbranch_execz .LBB6_6603
; %bb.6602:                             ;   in Loop: Header=BB6_4475 Depth=2
	v_ffbh_u32_e32 v32, v27
	v_min_u32_e32 v32, 32, v32
	v_subrev_u32_e32 v33, 29, v32
	v_lshlrev_b64 v[38:39], v33, v[2:3]
	v_bfe_u32 v4, v16, 26, 5
	v_sub_u32_e32 v2, 30, v32
	v_and_b32_e32 v32, 3, v38
	v_cmp_eq_u32_e32 vcc, 0, v4
	v_cndmask_b32_e32 v2, v4, v2, vcc
	v_cndmask_b32_e32 v4, v27, v32, vcc
	v_and_b32_e32 v27, 0x80000000, v16
	v_lshl_add_u32 v2, v2, 23, v27
	v_lshl_or_b32 v2, v4, 21, v2
	v_add_u32_e32 v4, 0x38000000, v2
                                        ; implicit-def: $vgpr27
.LBB6_6603:                             ;   in Loop: Header=BB6_4475 Depth=2
	s_andn2_saveexec_b64 s[78:79], s[78:79]
; %bb.6604:                             ;   in Loop: Header=BB6_4475 Depth=2
	v_cmp_lt_i32_e32 vcc, -1, v16
	v_mov_b32_e32 v2, 0xff800000
	v_mov_b32_e32 v4, 0x7f800000
	v_cndmask_b32_e32 v2, v2, v4, vcc
	v_cmp_eq_u32_e32 vcc, 0, v27
	v_mov_b32_e32 v4, 0x7f800001
	v_cndmask_b32_e32 v4, v4, v2, vcc
; %bb.6605:                             ;   in Loop: Header=BB6_4475 Depth=2
	s_or_b64 exec, exec, s[78:79]
.LBB6_6606:                             ;   in Loop: Header=BB6_4475 Depth=2
	s_or_b64 exec, exec, s[76:77]
.LBB6_6607:                             ;   in Loop: Header=BB6_4475 Depth=2
	s_or_b64 exec, exec, s[18:19]
	v_cmp_lt_u32_e32 vcc, s57, v12
	s_and_saveexec_b64 s[18:19], vcc
	s_cbranch_execz .LBB6_6615
; %bb.6608:                             ;   in Loop: Header=BB6_4475 Depth=2
	v_lshrrev_b32_e32 v2, 24, v12
	v_cmp_ne_u32_e32 vcc, s52, v2
	v_bfrev_b32_e32 v3, 1
	s_and_saveexec_b64 s[76:77], vcc
	s_cbranch_execz .LBB6_6614
; %bb.6609:                             ;   in Loop: Header=BB6_4475 Depth=2
	v_and_b32_e32 v3, 0x7c000000, v12
	v_bfe_u32 v27, v12, 24, 2
	v_cmp_ne_u32_e32 vcc, s64, v3
                                        ; implicit-def: $vgpr3
	s_and_saveexec_b64 s[78:79], vcc
	s_xor_b64 s[78:79], exec, s[78:79]
	s_cbranch_execz .LBB6_6611
; %bb.6610:                             ;   in Loop: Header=BB6_4475 Depth=2
	v_ffbh_u32_e32 v3, v27
	v_min_u32_e32 v33, 32, v3
	v_subrev_u32_e32 v3, 29, v33
	v_lshlrev_b64 v[2:3], v3, v[2:3]
	v_bfe_u32 v32, v12, 26, 5
	v_sub_u32_e32 v3, 30, v33
	v_and_b32_e32 v2, 3, v2
	v_cmp_eq_u32_e32 vcc, 0, v32
	v_cndmask_b32_e32 v3, v32, v3, vcc
	v_cndmask_b32_e32 v2, v27, v2, vcc
	v_and_b32_e32 v27, 0x80000000, v12
	v_lshl_add_u32 v3, v3, 23, v27
	v_lshl_or_b32 v2, v2, 21, v3
	v_add_u32_e32 v3, 0x38000000, v2
                                        ; implicit-def: $vgpr27
.LBB6_6611:                             ;   in Loop: Header=BB6_4475 Depth=2
	s_andn2_saveexec_b64 s[78:79], s[78:79]
; %bb.6612:                             ;   in Loop: Header=BB6_4475 Depth=2
	v_cmp_lt_i32_e32 vcc, -1, v12
	v_mov_b32_e32 v2, 0xff800000
	v_mov_b32_e32 v3, 0x7f800000
	v_cndmask_b32_e32 v2, v2, v3, vcc
	v_cmp_eq_u32_e32 vcc, 0, v27
	v_mov_b32_e32 v3, 0x7f800001
	v_cndmask_b32_e32 v3, v3, v2, vcc
; %bb.6613:                             ;   in Loop: Header=BB6_4475 Depth=2
	s_or_b64 exec, exec, s[78:79]
.LBB6_6614:                             ;   in Loop: Header=BB6_4475 Depth=2
	s_or_b64 exec, exec, s[76:77]
.LBB6_6615:                             ;   in Loop: Header=BB6_4475 Depth=2
	s_or_b64 exec, exec, s[18:19]
	v_mul_f32_e32 v2, v4, v3
	v_and_b32_e32 v3, 0x7f800000, v2
	v_mov_b32_e32 v4, v28
	v_cmp_ne_u64_e32 vcc, s[58:59], v[3:4]
	v_and_b32_e32 v27, 0x7fffff, v2
                                        ; implicit-def: $vgpr46
	s_and_saveexec_b64 s[18:19], vcc
	s_xor_b64 s[76:77], exec, s[18:19]
	s_cbranch_execz .LBB6_6629
; %bb.6616:                             ;   in Loop: Header=BB6_4475 Depth=2
	v_and_b32_e32 v3, 0x7fffffff, v2
	v_mov_b32_e32 v4, v28
	v_cmp_gt_u64_e32 vcc, s[60:61], v[3:4]
	v_and_b32_sdwa v38, v2, s52 dst_sel:DWORD dst_unused:UNUSED_PAD src0_sel:BYTE_3 src1_sel:DWORD
                                        ; implicit-def: $vgpr46
	s_and_saveexec_b64 s[18:19], vcc
	s_xor_b64 s[78:79], exec, s[18:19]
	s_cbranch_execz .LBB6_6626
; %bb.6617:                             ;   in Loop: Header=BB6_4475 Depth=2
	v_mov_b32_e32 v46, 0
	v_cmp_ne_u32_e32 vcc, 0, v2
	s_and_saveexec_b64 s[88:89], vcc
	s_cbranch_execz .LBB6_6625
; %bb.6618:                             ;   in Loop: Header=BB6_4475 Depth=2
	v_bfe_u32 v39, v2, 23, 8
	v_cmp_gt_u32_e64 s[18:19], s53, v39
	v_sub_u32_e32 v2, 0x71, v39
	v_cmp_eq_u32_e32 vcc, 0, v39
	v_cndmask_b32_e64 v2, 0, v2, s[18:19]
	v_mov_b32_e32 v4, 0x70
	v_cndmask_b32_e32 v46, v2, v4, vcc
	v_add_u32_e32 v4, 21, v46
	v_or_b32_e32 v3, 0x800000, v27
	v_lshlrev_b64 v[50:51], v4, -1
	v_cndmask_b32_e32 v2, v3, v27, vcc
	v_mov_b32_e32 v3, v28
	v_add_u32_e32 v4, 20, v46
	v_bfi_b32 v50, v50, 0, v2
	v_lshlrev_b64 v[56:57], v4, 1
	v_lshrrev_b64 v[2:3], v46, v[2:3]
	v_bfi_b32 v51, v51, 0, 0
	v_cmp_eq_u64_e64 s[18:19], v[50:51], v[56:57]
	v_mov_b32_e32 v4, v3
	v_mov_b32_e32 v3, v2
	s_and_saveexec_b64 s[90:91], s[18:19]
; %bb.6619:                             ;   in Loop: Header=BB6_4475 Depth=2
	v_bfe_u32 v3, v2, 21, 1
	v_add_co_u32_e64 v3, s[18:19], v2, v3
	v_add_co_u32_e64 v3, s[18:19], -1, v3
; %bb.6620:                             ;   in Loop: Header=BB6_4475 Depth=2
	s_or_b64 exec, exec, s[90:91]
	v_add_u32_e32 v4, 0xffffff81, v39
	v_mov_b32_e32 v27, 0xffffff82
	v_cndmask_b32_e32 v4, v4, v27, vcc
	v_lshrrev_b32_e32 v27, 23, v2
	v_add3_u32 v50, v46, v4, v27
	v_add_u32_e32 v39, 14, v50
	v_and_b32_e32 v3, 0x1fffff, v3
	v_add_u32_e32 v27, v3, v2
	v_cmp_ne_u32_e32 vcc, 0, v39
                                        ; implicit-def: $vgpr2_vgpr3
                                        ; implicit-def: $vgpr4
	s_and_saveexec_b64 s[18:19], vcc
	s_xor_b64 s[18:19], exec, s[18:19]
; %bb.6621:                             ;   in Loop: Header=BB6_4475 Depth=2
	v_cmp_lt_u64_e32 vcc, s[62:63], v[27:28]
	v_add_u32_e32 v2, 15, v50
	v_cndmask_b32_e32 v4, v39, v2, vcc
	v_cndmask_b32_e64 v2, 0, 1, vcc
	v_lshrrev_b64 v[2:3], v2, v[27:28]
; %bb.6622:                             ;   in Loop: Header=BB6_4475 Depth=2
	s_or_saveexec_b64 s[18:19], s[18:19]
	buffer_load_dword v57, off, s[0:3], s33 offset:296 ; 4-byte Folded Reload
	buffer_load_dword v58, off, s[0:3], s33 offset:300 ; 4-byte Folded Reload
	s_xor_b64 exec, exec, s[18:19]
; %bb.6623:                             ;   in Loop: Header=BB6_4475 Depth=2
	v_mov_b32_e32 v2, v27
	v_mov_b32_e32 v3, v28
	v_bfe_u32 v4, v27, 23, 1
; %bb.6624:                             ;   in Loop: Header=BB6_4475 Depth=2
	s_or_b64 exec, exec, s[18:19]
	v_lshrrev_b64 v[2:3], 21, v[2:3]
	v_cmp_gt_i32_e32 vcc, 32, v4
	v_cndmask_b32_e32 v3, 0, v3, vcc
	v_cndmask_b32_e32 v2, 3, v2, vcc
	v_cmp_eq_u64_e64 s[18:19], 0, v[2:3]
	v_min_i32_e32 v3, 31, v4
	v_lshlrev_b32_e32 v3, 2, v3
	v_cmp_eq_u32_e32 vcc, 0, v4
	v_and_b32_e32 v3, 0xfc, v3
	v_and_or_b32 v2, v2, 3, v3
	s_and_b64 s[18:19], vcc, s[18:19]
	v_cndmask_b32_e64 v2, v2, 0, s[18:19]
	v_or_b32_e32 v46, v2, v38
.LBB6_6625:                             ;   in Loop: Header=BB6_4475 Depth=2
	s_or_b64 exec, exec, s[88:89]
                                        ; implicit-def: $vgpr38
.LBB6_6626:                             ;   in Loop: Header=BB6_4475 Depth=2
	s_andn2_saveexec_b64 s[18:19], s[78:79]
; %bb.6627:                             ;   in Loop: Header=BB6_4475 Depth=2
	v_or_b32_e32 v46, 0x7b, v38
; %bb.6628:                             ;   in Loop: Header=BB6_4475 Depth=2
	s_or_b64 exec, exec, s[18:19]
                                        ; implicit-def: $vgpr2
.LBB6_6629:                             ;   in Loop: Header=BB6_4475 Depth=2
	s_andn2_saveexec_b64 s[18:19], s[76:77]
	s_cbranch_execz .LBB6_6635
; %bb.6630:                             ;   in Loop: Header=BB6_4475 Depth=2
	v_cmp_ne_u64_e32 vcc, 0, v[27:28]
                                        ; implicit-def: $vgpr46
	s_and_saveexec_b64 s[76:77], vcc
	s_xor_b64 s[76:77], exec, s[76:77]
; %bb.6631:                             ;   in Loop: Header=BB6_4475 Depth=2
	v_or_b32_sdwa v46, v2, s54 dst_sel:DWORD dst_unused:UNUSED_PAD src0_sel:BYTE_3 src1_sel:DWORD
                                        ; implicit-def: $vgpr2
; %bb.6632:                             ;   in Loop: Header=BB6_4475 Depth=2
	s_andn2_saveexec_b64 s[76:77], s[76:77]
; %bb.6633:                             ;   in Loop: Header=BB6_4475 Depth=2
	v_cmp_lt_i32_e32 vcc, -1, v2
	v_bfrev_b32_e32 v2, 0.5
	v_mov_b32_e32 v3, 0x7c
	v_cndmask_b32_e32 v46, v2, v3, vcc
; %bb.6634:                             ;   in Loop: Header=BB6_4475 Depth=2
	s_or_b64 exec, exec, s[76:77]
.LBB6_6635:                             ;   in Loop: Header=BB6_4475 Depth=2
	s_or_b64 exec, exec, s[18:19]
	v_mov_b32_e32 v27, v17
	v_cmp_ne_u16_sdwa s[76:77], v17, v28 src0_sel:BYTE_0 src1_sel:DWORD
	v_mov_b32_e32 v3, 0
	v_mov_b32_e32 v2, 0
	s_and_saveexec_b64 s[18:19], s[76:77]
	s_cbranch_execz .LBB6_6643
; %bb.6636:                             ;   in Loop: Header=BB6_4475 Depth=2
	v_cmp_ne_u16_sdwa s[78:79], v17, s52 src0_sel:BYTE_0 src1_sel:DWORD
	v_bfrev_b32_e32 v2, 1
	s_and_saveexec_b64 s[76:77], s[78:79]
	s_cbranch_execz .LBB6_6642
; %bb.6637:                             ;   in Loop: Header=BB6_4475 Depth=2
	v_and_b32_e32 v2, 0x7c, v17
	v_and_b32_e32 v4, 3, v17
	v_cmp_ne_u32_e32 vcc, s50, v2
                                        ; implicit-def: $vgpr2
	s_and_saveexec_b64 s[78:79], vcc
	s_xor_b64 s[78:79], exec, s[78:79]
	s_cbranch_execz .LBB6_6639
; %bb.6638:                             ;   in Loop: Header=BB6_4475 Depth=2
	v_ffbh_u32_e32 v32, v4
	v_min_u32_e32 v32, 32, v32
	v_bfe_u32 v2, v17, 2, 5
	v_subrev_u32_e32 v33, 29, v32
	v_lshlrev_b64 v[38:39], v33, v[27:28]
	v_sub_u32_e32 v32, 30, v32
	v_cmp_eq_u32_e32 vcc, 0, v2
	v_cndmask_b32_e32 v2, v2, v32, vcc
	v_lshlrev_b32_e32 v32, 24, v17
	v_and_b32_e32 v33, 3, v38
	v_and_b32_e32 v32, 0x80000000, v32
	v_cndmask_b32_e32 v4, v4, v33, vcc
	v_lshl_add_u32 v2, v2, 23, v32
	v_lshl_or_b32 v2, v4, 21, v2
	v_add_u32_e32 v2, 0x38000000, v2
                                        ; implicit-def: $vgpr4
.LBB6_6639:                             ;   in Loop: Header=BB6_4475 Depth=2
	s_andn2_saveexec_b64 s[78:79], s[78:79]
; %bb.6640:                             ;   in Loop: Header=BB6_4475 Depth=2
	v_mov_b32_e32 v2, -1
	v_cmp_gt_i16_sdwa vcc, sext(v17), v2 src0_sel:BYTE_0 src1_sel:DWORD
	v_mov_b32_e32 v2, 0xff800000
	v_mov_b32_e32 v32, 0x7f800000
	v_cndmask_b32_e32 v2, v2, v32, vcc
	v_cmp_eq_u32_e32 vcc, 0, v4
	v_mov_b32_e32 v4, 0x7f800001
	v_cndmask_b32_e32 v2, v4, v2, vcc
; %bb.6641:                             ;   in Loop: Header=BB6_4475 Depth=2
	s_or_b64 exec, exec, s[78:79]
.LBB6_6642:                             ;   in Loop: Header=BB6_4475 Depth=2
	s_or_b64 exec, exec, s[76:77]
.LBB6_6643:                             ;   in Loop: Header=BB6_4475 Depth=2
	s_or_b64 exec, exec, s[18:19]
	v_cmp_ne_u16_sdwa s[76:77], v13, v28 src0_sel:BYTE_0 src1_sel:DWORD
	s_and_saveexec_b64 s[18:19], s[76:77]
	s_cbranch_execz .LBB6_6651
; %bb.6644:                             ;   in Loop: Header=BB6_4475 Depth=2
	v_cmp_ne_u16_sdwa s[78:79], v13, s52 src0_sel:BYTE_0 src1_sel:DWORD
	v_bfrev_b32_e32 v3, 1
	s_and_saveexec_b64 s[76:77], s[78:79]
	s_cbranch_execz .LBB6_6650
; %bb.6645:                             ;   in Loop: Header=BB6_4475 Depth=2
	v_and_b32_e32 v3, 0x7c, v13
	v_and_b32_e32 v4, 3, v13
	v_cmp_ne_u32_e32 vcc, s50, v3
                                        ; implicit-def: $vgpr3
	s_and_saveexec_b64 s[78:79], vcc
	s_xor_b64 s[78:79], exec, s[78:79]
	s_cbranch_execz .LBB6_6647
; %bb.6646:                             ;   in Loop: Header=BB6_4475 Depth=2
	v_ffbh_u32_e32 v32, v4
	v_min_u32_e32 v32, 32, v32
	v_mov_b32_e32 v38, v13
	v_mov_b32_e32 v39, v28
	v_bfe_u32 v3, v13, 2, 5
	v_subrev_u32_e32 v33, 29, v32
	v_lshlrev_b64 v[38:39], v33, v[38:39]
	v_sub_u32_e32 v32, 30, v32
	v_cmp_eq_u32_e32 vcc, 0, v3
	v_cndmask_b32_e32 v3, v3, v32, vcc
	v_lshlrev_b32_e32 v32, 24, v13
	v_and_b32_e32 v33, 3, v38
	v_and_b32_e32 v32, 0x80000000, v32
	v_cndmask_b32_e32 v4, v4, v33, vcc
	v_lshl_add_u32 v3, v3, 23, v32
	v_lshl_or_b32 v3, v4, 21, v3
	v_add_u32_e32 v3, 0x38000000, v3
                                        ; implicit-def: $vgpr4
.LBB6_6647:                             ;   in Loop: Header=BB6_4475 Depth=2
	s_andn2_saveexec_b64 s[78:79], s[78:79]
; %bb.6648:                             ;   in Loop: Header=BB6_4475 Depth=2
	v_mov_b32_e32 v3, -1
	v_cmp_gt_i16_sdwa vcc, sext(v13), v3 src0_sel:BYTE_0 src1_sel:DWORD
	v_mov_b32_e32 v3, 0xff800000
	v_mov_b32_e32 v32, 0x7f800000
	v_cndmask_b32_e32 v3, v3, v32, vcc
	v_cmp_eq_u32_e32 vcc, 0, v4
	v_mov_b32_e32 v4, 0x7f800001
	v_cndmask_b32_e32 v3, v4, v3, vcc
; %bb.6649:                             ;   in Loop: Header=BB6_4475 Depth=2
	s_or_b64 exec, exec, s[78:79]
.LBB6_6650:                             ;   in Loop: Header=BB6_4475 Depth=2
	s_or_b64 exec, exec, s[76:77]
.LBB6_6651:                             ;   in Loop: Header=BB6_4475 Depth=2
	s_or_b64 exec, exec, s[18:19]
	v_mul_f32_e32 v4, v2, v3
	v_and_b32_e32 v38, 0x7f800000, v4
	v_mov_b32_e32 v39, v28
	v_cmp_ne_u64_e32 vcc, s[58:59], v[38:39]
	v_and_b32_e32 v2, 0x7fffff, v4
	v_mov_b32_e32 v3, v28
                                        ; implicit-def: $vgpr47
	s_and_saveexec_b64 s[18:19], vcc
	s_xor_b64 s[76:77], exec, s[18:19]
	s_cbranch_execz .LBB6_6665
; %bb.6652:                             ;   in Loop: Header=BB6_4475 Depth=2
	v_and_b32_e32 v38, 0x7fffffff, v4
	v_mov_b32_e32 v39, v28
	v_cmp_gt_u64_e32 vcc, s[60:61], v[38:39]
	v_and_b32_sdwa v38, v4, s52 dst_sel:DWORD dst_unused:UNUSED_PAD src0_sel:BYTE_3 src1_sel:DWORD
                                        ; implicit-def: $vgpr47
	s_and_saveexec_b64 s[18:19], vcc
	s_xor_b64 s[78:79], exec, s[18:19]
	s_cbranch_execz .LBB6_6662
; %bb.6653:                             ;   in Loop: Header=BB6_4475 Depth=2
	v_mov_b32_e32 v47, 0
	v_cmp_ne_u32_e32 vcc, 0, v4
	s_and_saveexec_b64 s[88:89], vcc
	s_cbranch_execz .LBB6_6661
; %bb.6654:                             ;   in Loop: Header=BB6_4475 Depth=2
	v_bfe_u32 v39, v4, 23, 8
	v_cmp_gt_u32_e64 s[18:19], s53, v39
	v_sub_u32_e32 v4, 0x71, v39
	v_cmp_eq_u32_e32 vcc, 0, v39
	v_cndmask_b32_e64 v4, 0, v4, s[18:19]
	v_mov_b32_e32 v33, 0x70
	v_cndmask_b32_e32 v47, v4, v33, vcc
	v_add_u32_e32 v4, 21, v47
	v_or_b32_e32 v32, 0x800000, v2
	v_lshlrev_b64 v[50:51], v4, -1
	v_cndmask_b32_e32 v2, v32, v2, vcc
	v_add_u32_e32 v4, 20, v47
	v_bfi_b32 v50, v50, 0, v2
	s_waitcnt vmcnt(1)
	v_lshlrev_b64 v[56:57], v4, 1
	v_lshrrev_b64 v[2:3], v47, v[2:3]
	v_bfi_b32 v51, v51, 0, 0
	v_cmp_eq_u64_e64 s[18:19], v[50:51], v[56:57]
	v_mov_b32_e32 v4, v3
	v_mov_b32_e32 v3, v2
	s_and_saveexec_b64 s[90:91], s[18:19]
; %bb.6655:                             ;   in Loop: Header=BB6_4475 Depth=2
	v_bfe_u32 v3, v2, 21, 1
	v_add_co_u32_e64 v3, s[18:19], v2, v3
	v_add_co_u32_e64 v3, s[18:19], -1, v3
; %bb.6656:                             ;   in Loop: Header=BB6_4475 Depth=2
	s_or_b64 exec, exec, s[90:91]
	v_add_u32_e32 v4, 0xffffff81, v39
	v_mov_b32_e32 v32, 0xffffff82
	v_cndmask_b32_e32 v4, v4, v32, vcc
	v_lshrrev_b32_e32 v32, 23, v2
	v_add3_u32 v50, v47, v4, v32
	v_add_u32_e32 v39, 14, v50
	v_and_b32_e32 v3, 0x1fffff, v3
	v_add_u32_e32 v2, v3, v2
	v_mov_b32_e32 v3, v28
	v_cmp_ne_u32_e32 vcc, 0, v39
                                        ; implicit-def: $vgpr4
	s_and_saveexec_b64 s[18:19], vcc
	s_xor_b64 s[18:19], exec, s[18:19]
; %bb.6657:                             ;   in Loop: Header=BB6_4475 Depth=2
	v_cmp_lt_u64_e32 vcc, s[62:63], v[2:3]
	v_add_u32_e32 v4, 15, v50
	v_cndmask_b32_e64 v32, 0, 1, vcc
	v_lshrrev_b64 v[2:3], v32, v[2:3]
	v_cndmask_b32_e32 v4, v39, v4, vcc
; %bb.6658:                             ;   in Loop: Header=BB6_4475 Depth=2
	s_or_saveexec_b64 s[18:19], s[18:19]
	buffer_load_dword v57, off, s[0:3], s33 offset:296 ; 4-byte Folded Reload
	buffer_load_dword v58, off, s[0:3], s33 offset:300 ; 4-byte Folded Reload
	s_xor_b64 exec, exec, s[18:19]
; %bb.6659:                             ;   in Loop: Header=BB6_4475 Depth=2
	v_bfe_u32 v4, v2, 23, 1
; %bb.6660:                             ;   in Loop: Header=BB6_4475 Depth=2
	s_or_b64 exec, exec, s[18:19]
	v_lshrrev_b64 v[2:3], 21, v[2:3]
	v_cmp_gt_i32_e32 vcc, 32, v4
	v_cndmask_b32_e32 v3, 0, v3, vcc
	v_cndmask_b32_e32 v2, 3, v2, vcc
	v_cmp_eq_u64_e64 s[18:19], 0, v[2:3]
	v_min_i32_e32 v3, 31, v4
	v_lshlrev_b32_e32 v3, 2, v3
	v_cmp_eq_u32_e32 vcc, 0, v4
	v_and_b32_e32 v3, 0xfc, v3
	v_and_or_b32 v2, v2, 3, v3
	s_and_b64 s[18:19], vcc, s[18:19]
	v_cndmask_b32_e64 v2, v2, 0, s[18:19]
	v_or_b32_e32 v47, v2, v38
.LBB6_6661:                             ;   in Loop: Header=BB6_4475 Depth=2
	s_or_b64 exec, exec, s[88:89]
                                        ; implicit-def: $vgpr38
.LBB6_6662:                             ;   in Loop: Header=BB6_4475 Depth=2
	s_andn2_saveexec_b64 s[18:19], s[78:79]
; %bb.6663:                             ;   in Loop: Header=BB6_4475 Depth=2
	v_or_b32_e32 v47, 0x7b, v38
; %bb.6664:                             ;   in Loop: Header=BB6_4475 Depth=2
	s_or_b64 exec, exec, s[18:19]
                                        ; implicit-def: $vgpr4
                                        ; implicit-def: $vgpr2_vgpr3
.LBB6_6665:                             ;   in Loop: Header=BB6_4475 Depth=2
	s_andn2_saveexec_b64 s[18:19], s[76:77]
	s_cbranch_execz .LBB6_6671
; %bb.6666:                             ;   in Loop: Header=BB6_4475 Depth=2
	v_cmp_ne_u64_e32 vcc, 0, v[2:3]
                                        ; implicit-def: $vgpr47
	s_and_saveexec_b64 s[76:77], vcc
	s_xor_b64 s[76:77], exec, s[76:77]
; %bb.6667:                             ;   in Loop: Header=BB6_4475 Depth=2
	v_or_b32_sdwa v47, v4, s54 dst_sel:DWORD dst_unused:UNUSED_PAD src0_sel:BYTE_3 src1_sel:DWORD
                                        ; implicit-def: $vgpr4
; %bb.6668:                             ;   in Loop: Header=BB6_4475 Depth=2
	s_andn2_saveexec_b64 s[76:77], s[76:77]
; %bb.6669:                             ;   in Loop: Header=BB6_4475 Depth=2
	v_cmp_lt_i32_e32 vcc, -1, v4
	v_bfrev_b32_e32 v2, 0.5
	v_mov_b32_e32 v3, 0x7c
	v_cndmask_b32_e32 v47, v2, v3, vcc
; %bb.6670:                             ;   in Loop: Header=BB6_4475 Depth=2
	s_or_b64 exec, exec, s[76:77]
.LBB6_6671:                             ;   in Loop: Header=BB6_4475 Depth=2
	s_or_b64 exec, exec, s[18:19]
	v_lshrrev_b16_e32 v2, 8, v27
	v_cmp_ne_u16_e32 vcc, 0, v2
	v_mov_b32_e32 v4, 0
	v_mov_b32_e32 v38, 0
	s_and_saveexec_b64 s[18:19], vcc
	s_cbranch_execz .LBB6_6679
; %bb.6672:                             ;   in Loop: Header=BB6_4475 Depth=2
	v_cmp_ne_u16_e32 vcc, s52, v2
	v_bfrev_b32_e32 v38, 1
	s_and_saveexec_b64 s[76:77], vcc
	s_cbranch_execz .LBB6_6678
; %bb.6673:                             ;   in Loop: Header=BB6_4475 Depth=2
	v_and_b32_e32 v3, 0x7c, v2
	v_and_b32_e32 v39, 3, v2
	v_cmp_ne_u32_e32 vcc, s50, v3
                                        ; implicit-def: $vgpr38
	s_and_saveexec_b64 s[78:79], vcc
	s_xor_b64 s[78:79], exec, s[78:79]
	s_cbranch_execz .LBB6_6675
; %bb.6674:                             ;   in Loop: Header=BB6_4475 Depth=2
	v_ffbh_u32_e32 v33, v39
	v_min_u32_e32 v33, 32, v33
	v_mov_b32_e32 v3, v28
	v_subrev_u32_e32 v38, 29, v33
	v_bfe_u32 v32, v2, 2, 5
	v_lshlrev_b64 v[2:3], v38, v[2:3]
	v_sub_u32_e32 v3, 30, v33
	v_cmp_eq_u32_e32 vcc, 0, v32
	v_lshlrev_b32_e32 v27, 16, v27
	v_and_b32_e32 v2, 3, v2
	v_cndmask_b32_e32 v3, v32, v3, vcc
	v_and_b32_e32 v27, 0x80000000, v27
	v_cndmask_b32_e32 v2, v39, v2, vcc
	v_lshl_add_u32 v3, v3, 23, v27
	v_lshl_or_b32 v2, v2, 21, v3
	v_add_u32_e32 v38, 0x38000000, v2
                                        ; implicit-def: $vgpr39
.LBB6_6675:                             ;   in Loop: Header=BB6_4475 Depth=2
	s_andn2_saveexec_b64 s[78:79], s[78:79]
; %bb.6676:                             ;   in Loop: Header=BB6_4475 Depth=2
	v_cmp_lt_i16_e32 vcc, -1, v27
	v_mov_b32_e32 v2, 0xff800000
	v_mov_b32_e32 v3, 0x7f800000
	v_cndmask_b32_e32 v2, v2, v3, vcc
	v_cmp_eq_u32_e32 vcc, 0, v39
	v_mov_b32_e32 v3, 0x7f800001
	v_cndmask_b32_e32 v38, v3, v2, vcc
; %bb.6677:                             ;   in Loop: Header=BB6_4475 Depth=2
	s_or_b64 exec, exec, s[78:79]
.LBB6_6678:                             ;   in Loop: Header=BB6_4475 Depth=2
	s_or_b64 exec, exec, s[76:77]
.LBB6_6679:                             ;   in Loop: Header=BB6_4475 Depth=2
	s_or_b64 exec, exec, s[18:19]
	v_lshrrev_b16_e32 v2, 8, v13
	v_cmp_ne_u16_e32 vcc, 0, v2
	s_and_saveexec_b64 s[18:19], vcc
	s_cbranch_execz .LBB6_6687
; %bb.6680:                             ;   in Loop: Header=BB6_4475 Depth=2
	v_cmp_ne_u16_e32 vcc, s52, v2
	v_bfrev_b32_e32 v4, 1
	s_and_saveexec_b64 s[76:77], vcc
	s_cbranch_execz .LBB6_6686
; %bb.6681:                             ;   in Loop: Header=BB6_4475 Depth=2
	v_and_b32_e32 v3, 0x7c, v2
	v_and_b32_e32 v27, 3, v2
	v_cmp_ne_u32_e32 vcc, s50, v3
                                        ; implicit-def: $vgpr4
	s_and_saveexec_b64 s[78:79], vcc
	s_xor_b64 s[78:79], exec, s[78:79]
	s_cbranch_execz .LBB6_6683
; %bb.6682:                             ;   in Loop: Header=BB6_4475 Depth=2
	v_ffbh_u32_e32 v32, v27
	v_min_u32_e32 v32, 32, v32
	v_mov_b32_e32 v3, v28
	v_subrev_u32_e32 v33, 29, v32
	v_bfe_u32 v4, v2, 2, 5
	v_lshlrev_b64 v[2:3], v33, v[2:3]
	v_sub_u32_e32 v3, 30, v32
	v_cmp_eq_u32_e32 vcc, 0, v4
	v_cndmask_b32_e32 v3, v4, v3, vcc
	v_lshlrev_b32_e32 v4, 16, v13
	v_and_b32_e32 v2, 3, v2
	v_and_b32_e32 v4, 0x80000000, v4
	v_cndmask_b32_e32 v2, v27, v2, vcc
	v_lshl_add_u32 v3, v3, 23, v4
	v_lshl_or_b32 v2, v2, 21, v3
	v_add_u32_e32 v4, 0x38000000, v2
                                        ; implicit-def: $vgpr27
.LBB6_6683:                             ;   in Loop: Header=BB6_4475 Depth=2
	s_andn2_saveexec_b64 s[78:79], s[78:79]
; %bb.6684:                             ;   in Loop: Header=BB6_4475 Depth=2
	v_cmp_lt_i16_e32 vcc, -1, v13
	v_mov_b32_e32 v2, 0xff800000
	v_mov_b32_e32 v3, 0x7f800000
	v_cndmask_b32_e32 v2, v2, v3, vcc
	v_cmp_eq_u32_e32 vcc, 0, v27
	v_mov_b32_e32 v3, 0x7f800001
	v_cndmask_b32_e32 v4, v3, v2, vcc
; %bb.6685:                             ;   in Loop: Header=BB6_4475 Depth=2
	s_or_b64 exec, exec, s[78:79]
.LBB6_6686:                             ;   in Loop: Header=BB6_4475 Depth=2
	s_or_b64 exec, exec, s[76:77]
.LBB6_6687:                             ;   in Loop: Header=BB6_4475 Depth=2
	s_or_b64 exec, exec, s[18:19]
	v_mul_f32_e32 v2, v38, v4
	v_and_b32_e32 v3, 0x7f800000, v2
	v_mov_b32_e32 v4, v28
	v_cmp_ne_u64_e32 vcc, s[58:59], v[3:4]
	v_and_b32_e32 v27, 0x7fffff, v2
                                        ; implicit-def: $vgpr56
	s_and_saveexec_b64 s[18:19], vcc
	s_xor_b64 s[76:77], exec, s[18:19]
	s_cbranch_execz .LBB6_6701
; %bb.6688:                             ;   in Loop: Header=BB6_4475 Depth=2
	v_and_b32_e32 v3, 0x7fffffff, v2
	v_mov_b32_e32 v4, v28
	v_cmp_gt_u64_e32 vcc, s[60:61], v[3:4]
	v_and_b32_sdwa v38, v2, s52 dst_sel:DWORD dst_unused:UNUSED_PAD src0_sel:BYTE_3 src1_sel:DWORD
                                        ; implicit-def: $vgpr56
	s_and_saveexec_b64 s[18:19], vcc
	s_xor_b64 s[78:79], exec, s[18:19]
	s_cbranch_execz .LBB6_6698
; %bb.6689:                             ;   in Loop: Header=BB6_4475 Depth=2
	v_mov_b32_e32 v56, 0
	v_cmp_ne_u32_e32 vcc, 0, v2
	s_and_saveexec_b64 s[88:89], vcc
	s_cbranch_execz .LBB6_6697
; %bb.6690:                             ;   in Loop: Header=BB6_4475 Depth=2
	v_bfe_u32 v39, v2, 23, 8
	v_cmp_gt_u32_e64 s[18:19], s53, v39
	v_sub_u32_e32 v2, 0x71, v39
	v_cmp_eq_u32_e32 vcc, 0, v39
	v_cndmask_b32_e64 v2, 0, v2, s[18:19]
	v_mov_b32_e32 v4, 0x70
	v_cndmask_b32_e32 v56, v2, v4, vcc
	v_add_u32_e32 v4, 21, v56
	v_or_b32_e32 v3, 0x800000, v27
	v_lshlrev_b64 v[50:51], v4, -1
	v_cndmask_b32_e32 v2, v3, v27, vcc
	v_mov_b32_e32 v3, v28
	v_add_u32_e32 v4, 20, v56
	v_bfi_b32 v50, v50, 0, v2
	s_waitcnt vmcnt(0)
	v_lshlrev_b64 v[57:58], v4, 1
	v_lshrrev_b64 v[2:3], v56, v[2:3]
	v_bfi_b32 v51, v51, 0, 0
	v_cmp_eq_u64_e64 s[18:19], v[50:51], v[57:58]
	v_mov_b32_e32 v4, v3
	v_mov_b32_e32 v3, v2
	s_and_saveexec_b64 s[90:91], s[18:19]
; %bb.6691:                             ;   in Loop: Header=BB6_4475 Depth=2
	v_bfe_u32 v3, v2, 21, 1
	v_add_co_u32_e64 v3, s[18:19], v2, v3
	v_add_co_u32_e64 v3, s[18:19], -1, v3
; %bb.6692:                             ;   in Loop: Header=BB6_4475 Depth=2
	s_or_b64 exec, exec, s[90:91]
	v_add_u32_e32 v4, 0xffffff81, v39
	v_mov_b32_e32 v27, 0xffffff82
	v_cndmask_b32_e32 v4, v4, v27, vcc
	v_lshrrev_b32_e32 v27, 23, v2
	v_add3_u32 v50, v56, v4, v27
	v_add_u32_e32 v39, 14, v50
	v_and_b32_e32 v3, 0x1fffff, v3
	v_add_u32_e32 v27, v3, v2
	v_cmp_ne_u32_e32 vcc, 0, v39
                                        ; implicit-def: $vgpr2_vgpr3
                                        ; implicit-def: $vgpr4
	s_and_saveexec_b64 s[18:19], vcc
	s_xor_b64 s[18:19], exec, s[18:19]
; %bb.6693:                             ;   in Loop: Header=BB6_4475 Depth=2
	v_cmp_lt_u64_e32 vcc, s[62:63], v[27:28]
	v_add_u32_e32 v2, 15, v50
	v_cndmask_b32_e32 v4, v39, v2, vcc
	v_cndmask_b32_e64 v2, 0, 1, vcc
	v_lshrrev_b64 v[2:3], v2, v[27:28]
; %bb.6694:                             ;   in Loop: Header=BB6_4475 Depth=2
	s_or_saveexec_b64 s[18:19], s[18:19]
	buffer_load_dword v57, off, s[0:3], s33 offset:296 ; 4-byte Folded Reload
	buffer_load_dword v58, off, s[0:3], s33 offset:300 ; 4-byte Folded Reload
	s_xor_b64 exec, exec, s[18:19]
; %bb.6695:                             ;   in Loop: Header=BB6_4475 Depth=2
	v_mov_b32_e32 v2, v27
	v_mov_b32_e32 v3, v28
	v_bfe_u32 v4, v27, 23, 1
; %bb.6696:                             ;   in Loop: Header=BB6_4475 Depth=2
	s_or_b64 exec, exec, s[18:19]
	v_lshrrev_b64 v[2:3], 21, v[2:3]
	v_cmp_gt_i32_e32 vcc, 32, v4
	v_cndmask_b32_e32 v3, 0, v3, vcc
	v_cndmask_b32_e32 v2, 3, v2, vcc
	v_cmp_eq_u64_e64 s[18:19], 0, v[2:3]
	v_min_i32_e32 v3, 31, v4
	v_lshlrev_b32_e32 v3, 2, v3
	v_cmp_eq_u32_e32 vcc, 0, v4
	v_and_b32_e32 v3, 0xfc, v3
	v_and_or_b32 v2, v2, 3, v3
	s_and_b64 s[18:19], vcc, s[18:19]
	v_cndmask_b32_e64 v2, v2, 0, s[18:19]
	v_or_b32_e32 v56, v2, v38
.LBB6_6697:                             ;   in Loop: Header=BB6_4475 Depth=2
	s_or_b64 exec, exec, s[88:89]
                                        ; implicit-def: $vgpr38
.LBB6_6698:                             ;   in Loop: Header=BB6_4475 Depth=2
	s_andn2_saveexec_b64 s[18:19], s[78:79]
; %bb.6699:                             ;   in Loop: Header=BB6_4475 Depth=2
	v_or_b32_e32 v56, 0x7b, v38
; %bb.6700:                             ;   in Loop: Header=BB6_4475 Depth=2
	s_or_b64 exec, exec, s[18:19]
                                        ; implicit-def: $vgpr2
.LBB6_6701:                             ;   in Loop: Header=BB6_4475 Depth=2
	s_andn2_saveexec_b64 s[18:19], s[76:77]
	s_cbranch_execz .LBB6_6707
; %bb.6702:                             ;   in Loop: Header=BB6_4475 Depth=2
	v_cmp_ne_u64_e32 vcc, 0, v[27:28]
                                        ; implicit-def: $vgpr56
	s_and_saveexec_b64 s[76:77], vcc
	s_xor_b64 s[76:77], exec, s[76:77]
; %bb.6703:                             ;   in Loop: Header=BB6_4475 Depth=2
	v_or_b32_sdwa v56, v2, s54 dst_sel:DWORD dst_unused:UNUSED_PAD src0_sel:BYTE_3 src1_sel:DWORD
                                        ; implicit-def: $vgpr2
; %bb.6704:                             ;   in Loop: Header=BB6_4475 Depth=2
	s_andn2_saveexec_b64 s[76:77], s[76:77]
; %bb.6705:                             ;   in Loop: Header=BB6_4475 Depth=2
	v_cmp_lt_i32_e32 vcc, -1, v2
	v_bfrev_b32_e32 v2, 0.5
	v_mov_b32_e32 v3, 0x7c
	v_cndmask_b32_e32 v56, v2, v3, vcc
; %bb.6706:                             ;   in Loop: Header=BB6_4475 Depth=2
	s_or_b64 exec, exec, s[76:77]
.LBB6_6707:                             ;   in Loop: Header=BB6_4475 Depth=2
	s_or_b64 exec, exec, s[18:19]
	v_lshrrev_b32_e32 v2, 16, v17
	v_cmp_ne_u16_sdwa s[76:77], v2, v28 src0_sel:BYTE_0 src1_sel:DWORD
	v_mov_b32_e32 v3, 0
	v_mov_b32_e32 v4, 0
	s_and_saveexec_b64 s[18:19], s[76:77]
	s_cbranch_execz .LBB6_6715
; %bb.6708:                             ;   in Loop: Header=BB6_4475 Depth=2
	v_cmp_ne_u16_sdwa s[78:79], v2, s52 src0_sel:BYTE_0 src1_sel:DWORD
	v_bfrev_b32_e32 v4, 1
	s_and_saveexec_b64 s[76:77], s[78:79]
	s_cbranch_execz .LBB6_6714
; %bb.6709:                             ;   in Loop: Header=BB6_4475 Depth=2
	v_and_b32_e32 v4, 0x7c0000, v17
	v_bfe_u32 v27, v17, 16, 2
	v_cmp_ne_u32_e32 vcc, s55, v4
                                        ; implicit-def: $vgpr4
	s_and_saveexec_b64 s[78:79], vcc
	s_xor_b64 s[78:79], exec, s[78:79]
	s_cbranch_execz .LBB6_6711
; %bb.6710:                             ;   in Loop: Header=BB6_4475 Depth=2
	v_ffbh_u32_e32 v32, v27
	v_min_u32_e32 v32, 32, v32
	v_subrev_u32_e32 v33, 29, v32
	v_lshlrev_b64 v[38:39], v33, v[2:3]
	v_bfe_u32 v4, v17, 18, 5
	v_sub_u32_e32 v2, 30, v32
	v_and_b32_e32 v32, 3, v38
	v_cmp_eq_u32_e32 vcc, 0, v4
	v_cndmask_b32_e32 v2, v4, v2, vcc
	v_cndmask_b32_e32 v4, v27, v32, vcc
	v_lshlrev_b32_e32 v27, 8, v17
	v_and_b32_e32 v27, 0x80000000, v27
	v_lshl_add_u32 v2, v2, 23, v27
	v_lshl_or_b32 v2, v4, 21, v2
	v_add_u32_e32 v4, 0x38000000, v2
                                        ; implicit-def: $vgpr27
                                        ; implicit-def: $vgpr2
.LBB6_6711:                             ;   in Loop: Header=BB6_4475 Depth=2
	s_andn2_saveexec_b64 s[78:79], s[78:79]
; %bb.6712:                             ;   in Loop: Header=BB6_4475 Depth=2
	v_mov_b32_e32 v4, -1
	v_cmp_gt_i16_sdwa vcc, sext(v2), v4 src0_sel:BYTE_0 src1_sel:DWORD
	v_mov_b32_e32 v2, 0xff800000
	v_mov_b32_e32 v4, 0x7f800000
	v_cndmask_b32_e32 v2, v2, v4, vcc
	v_cmp_eq_u32_e32 vcc, 0, v27
	v_mov_b32_e32 v4, 0x7f800001
	v_cndmask_b32_e32 v4, v4, v2, vcc
; %bb.6713:                             ;   in Loop: Header=BB6_4475 Depth=2
	s_or_b64 exec, exec, s[78:79]
.LBB6_6714:                             ;   in Loop: Header=BB6_4475 Depth=2
	s_or_b64 exec, exec, s[76:77]
.LBB6_6715:                             ;   in Loop: Header=BB6_4475 Depth=2
	s_or_b64 exec, exec, s[18:19]
	v_lshrrev_b32_e32 v2, 16, v13
	v_cmp_ne_u16_sdwa s[76:77], v2, v28 src0_sel:BYTE_0 src1_sel:DWORD
	s_and_saveexec_b64 s[18:19], s[76:77]
	s_cbranch_execz .LBB6_6723
; %bb.6716:                             ;   in Loop: Header=BB6_4475 Depth=2
	v_cmp_ne_u16_sdwa s[78:79], v2, s52 src0_sel:BYTE_0 src1_sel:DWORD
	v_bfrev_b32_e32 v3, 1
	s_and_saveexec_b64 s[76:77], s[78:79]
	s_cbranch_execz .LBB6_6722
; %bb.6717:                             ;   in Loop: Header=BB6_4475 Depth=2
	v_and_b32_e32 v3, 0x7c0000, v13
	v_bfe_u32 v27, v13, 16, 2
	v_cmp_ne_u32_e32 vcc, s55, v3
                                        ; implicit-def: $vgpr3
	s_and_saveexec_b64 s[78:79], vcc
	s_xor_b64 s[78:79], exec, s[78:79]
	s_cbranch_execz .LBB6_6719
; %bb.6718:                             ;   in Loop: Header=BB6_4475 Depth=2
	v_ffbh_u32_e32 v3, v27
	v_min_u32_e32 v33, 32, v3
	v_subrev_u32_e32 v3, 29, v33
	v_lshlrev_b64 v[2:3], v3, v[2:3]
	v_bfe_u32 v32, v13, 18, 5
	v_and_b32_e32 v2, 3, v2
	v_cmp_eq_u32_e32 vcc, 0, v32
	v_sub_u32_e32 v3, 30, v33
	v_cndmask_b32_e32 v2, v27, v2, vcc
	v_lshlrev_b32_e32 v27, 8, v13
	v_cndmask_b32_e32 v3, v32, v3, vcc
	v_and_b32_e32 v27, 0x80000000, v27
	v_lshl_add_u32 v3, v3, 23, v27
	v_lshl_or_b32 v2, v2, 21, v3
	v_add_u32_e32 v3, 0x38000000, v2
                                        ; implicit-def: $vgpr27
                                        ; implicit-def: $vgpr2
.LBB6_6719:                             ;   in Loop: Header=BB6_4475 Depth=2
	s_andn2_saveexec_b64 s[78:79], s[78:79]
; %bb.6720:                             ;   in Loop: Header=BB6_4475 Depth=2
	v_mov_b32_e32 v3, -1
	v_cmp_gt_i16_sdwa vcc, sext(v2), v3 src0_sel:BYTE_0 src1_sel:DWORD
	v_mov_b32_e32 v2, 0xff800000
	v_mov_b32_e32 v3, 0x7f800000
	v_cndmask_b32_e32 v2, v2, v3, vcc
	v_cmp_eq_u32_e32 vcc, 0, v27
	v_mov_b32_e32 v3, 0x7f800001
	v_cndmask_b32_e32 v3, v3, v2, vcc
; %bb.6721:                             ;   in Loop: Header=BB6_4475 Depth=2
	s_or_b64 exec, exec, s[78:79]
.LBB6_6722:                             ;   in Loop: Header=BB6_4475 Depth=2
	s_or_b64 exec, exec, s[76:77]
.LBB6_6723:                             ;   in Loop: Header=BB6_4475 Depth=2
	s_or_b64 exec, exec, s[18:19]
	v_mul_f32_e32 v2, v4, v3
	v_and_b32_e32 v3, 0x7f800000, v2
	v_mov_b32_e32 v4, v28
	v_cmp_ne_u64_e32 vcc, s[58:59], v[3:4]
	v_and_b32_e32 v27, 0x7fffff, v2
                                        ; implicit-def: $vgpr38
	s_and_saveexec_b64 s[18:19], vcc
	s_xor_b64 s[76:77], exec, s[18:19]
	s_cbranch_execz .LBB6_6737
; %bb.6724:                             ;   in Loop: Header=BB6_4475 Depth=2
	v_and_b32_e32 v3, 0x7fffffff, v2
	v_mov_b32_e32 v4, v28
	v_cmp_gt_u64_e32 vcc, s[60:61], v[3:4]
	v_and_b32_sdwa v39, v2, s52 dst_sel:DWORD dst_unused:UNUSED_PAD src0_sel:BYTE_3 src1_sel:DWORD
                                        ; implicit-def: $vgpr38
	s_and_saveexec_b64 s[18:19], vcc
	s_xor_b64 s[78:79], exec, s[18:19]
	s_cbranch_execz .LBB6_6734
; %bb.6725:                             ;   in Loop: Header=BB6_4475 Depth=2
	v_mov_b32_e32 v38, 0
	v_cmp_ne_u32_e32 vcc, 0, v2
	s_and_saveexec_b64 s[88:89], vcc
	s_cbranch_execz .LBB6_6733
; %bb.6726:                             ;   in Loop: Header=BB6_4475 Depth=2
	v_bfe_u32 v38, v2, 23, 8
	v_cmp_gt_u32_e64 s[18:19], s53, v38
	v_sub_u32_e32 v2, 0x71, v38
	v_cmp_eq_u32_e32 vcc, 0, v38
	v_cndmask_b32_e64 v2, 0, v2, s[18:19]
	v_mov_b32_e32 v4, 0x70
	v_cndmask_b32_e32 v50, v2, v4, vcc
	v_add_u32_e32 v4, 21, v50
	v_or_b32_e32 v3, 0x800000, v27
	s_waitcnt vmcnt(0)
	v_lshlrev_b64 v[57:58], v4, -1
	v_cndmask_b32_e32 v2, v3, v27, vcc
	v_mov_b32_e32 v3, v28
	v_add_u32_e32 v4, 20, v50
	v_bfi_b32 v57, v57, 0, v2
	v_lshlrev_b64 v[32:33], v4, 1
	v_lshrrev_b64 v[2:3], v50, v[2:3]
	v_bfi_b32 v58, v58, 0, 0
	v_cmp_eq_u64_e64 s[18:19], v[57:58], v[32:33]
	v_mov_b32_e32 v4, v3
	v_mov_b32_e32 v3, v2
	s_and_saveexec_b64 s[90:91], s[18:19]
; %bb.6727:                             ;   in Loop: Header=BB6_4475 Depth=2
	v_bfe_u32 v3, v2, 21, 1
	v_add_co_u32_e64 v3, s[18:19], v2, v3
	v_add_co_u32_e64 v3, s[18:19], -1, v3
; %bb.6728:                             ;   in Loop: Header=BB6_4475 Depth=2
	s_or_b64 exec, exec, s[90:91]
	v_add_u32_e32 v4, 0xffffff81, v38
	v_mov_b32_e32 v27, 0xffffff82
	v_cndmask_b32_e32 v4, v4, v27, vcc
	v_lshrrev_b32_e32 v27, 23, v2
	v_add3_u32 v50, v50, v4, v27
	v_add_u32_e32 v38, 14, v50
	v_and_b32_e32 v3, 0x1fffff, v3
	v_add_u32_e32 v27, v3, v2
	v_cmp_ne_u32_e32 vcc, 0, v38
                                        ; implicit-def: $vgpr2_vgpr3
                                        ; implicit-def: $vgpr4
	s_and_saveexec_b64 s[18:19], vcc
	s_xor_b64 s[18:19], exec, s[18:19]
; %bb.6729:                             ;   in Loop: Header=BB6_4475 Depth=2
	v_cmp_lt_u64_e32 vcc, s[62:63], v[27:28]
	v_add_u32_e32 v2, 15, v50
	v_cndmask_b32_e32 v4, v38, v2, vcc
	v_cndmask_b32_e64 v2, 0, 1, vcc
	v_lshrrev_b64 v[2:3], v2, v[27:28]
; %bb.6730:                             ;   in Loop: Header=BB6_4475 Depth=2
	s_or_saveexec_b64 s[18:19], s[18:19]
	buffer_load_dword v57, off, s[0:3], s33 offset:296 ; 4-byte Folded Reload
	buffer_load_dword v58, off, s[0:3], s33 offset:300 ; 4-byte Folded Reload
	s_xor_b64 exec, exec, s[18:19]
; %bb.6731:                             ;   in Loop: Header=BB6_4475 Depth=2
	v_mov_b32_e32 v2, v27
	v_mov_b32_e32 v3, v28
	v_bfe_u32 v4, v27, 23, 1
; %bb.6732:                             ;   in Loop: Header=BB6_4475 Depth=2
	s_or_b64 exec, exec, s[18:19]
	v_lshrrev_b64 v[2:3], 21, v[2:3]
	v_cmp_gt_i32_e32 vcc, 32, v4
	v_cndmask_b32_e32 v3, 0, v3, vcc
	v_cndmask_b32_e32 v2, 3, v2, vcc
	v_cmp_eq_u64_e64 s[18:19], 0, v[2:3]
	v_min_i32_e32 v3, 31, v4
	v_lshlrev_b32_e32 v3, 2, v3
	v_cmp_eq_u32_e32 vcc, 0, v4
	v_and_b32_e32 v3, 0xfc, v3
	v_and_or_b32 v2, v2, 3, v3
	s_and_b64 s[18:19], vcc, s[18:19]
	v_cndmask_b32_e64 v2, v2, 0, s[18:19]
	v_or_b32_e32 v38, v2, v39
.LBB6_6733:                             ;   in Loop: Header=BB6_4475 Depth=2
	s_or_b64 exec, exec, s[88:89]
                                        ; implicit-def: $vgpr39
.LBB6_6734:                             ;   in Loop: Header=BB6_4475 Depth=2
	s_andn2_saveexec_b64 s[18:19], s[78:79]
; %bb.6735:                             ;   in Loop: Header=BB6_4475 Depth=2
	v_or_b32_e32 v38, 0x7b, v39
; %bb.6736:                             ;   in Loop: Header=BB6_4475 Depth=2
	s_or_b64 exec, exec, s[18:19]
                                        ; implicit-def: $vgpr2
.LBB6_6737:                             ;   in Loop: Header=BB6_4475 Depth=2
	s_andn2_saveexec_b64 s[18:19], s[76:77]
	s_cbranch_execz .LBB6_6743
; %bb.6738:                             ;   in Loop: Header=BB6_4475 Depth=2
	v_cmp_ne_u64_e32 vcc, 0, v[27:28]
                                        ; implicit-def: $vgpr38
	s_and_saveexec_b64 s[76:77], vcc
	s_xor_b64 s[76:77], exec, s[76:77]
; %bb.6739:                             ;   in Loop: Header=BB6_4475 Depth=2
	v_or_b32_sdwa v38, v2, s54 dst_sel:DWORD dst_unused:UNUSED_PAD src0_sel:BYTE_3 src1_sel:DWORD
                                        ; implicit-def: $vgpr2
; %bb.6740:                             ;   in Loop: Header=BB6_4475 Depth=2
	s_andn2_saveexec_b64 s[76:77], s[76:77]
; %bb.6741:                             ;   in Loop: Header=BB6_4475 Depth=2
	v_cmp_lt_i32_e32 vcc, -1, v2
	v_bfrev_b32_e32 v2, 0.5
	v_mov_b32_e32 v3, 0x7c
	v_cndmask_b32_e32 v38, v2, v3, vcc
; %bb.6742:                             ;   in Loop: Header=BB6_4475 Depth=2
	s_or_b64 exec, exec, s[76:77]
.LBB6_6743:                             ;   in Loop: Header=BB6_4475 Depth=2
	s_or_b64 exec, exec, s[18:19]
	v_cmp_lt_u64_e32 vcc, s[56:57], v[16:17]
	v_mov_b32_e32 v3, 0
	v_mov_b32_e32 v4, 0
	s_and_saveexec_b64 s[18:19], vcc
	s_cbranch_execz .LBB6_6751
; %bb.6744:                             ;   in Loop: Header=BB6_4475 Depth=2
	v_lshrrev_b32_e32 v2, 24, v17
	v_cmp_ne_u32_e32 vcc, s52, v2
	v_bfrev_b32_e32 v4, 1
	s_and_saveexec_b64 s[76:77], vcc
	s_cbranch_execz .LBB6_6750
; %bb.6745:                             ;   in Loop: Header=BB6_4475 Depth=2
	v_and_b32_e32 v4, 0x7c000000, v17
	v_bfe_u32 v27, v17, 24, 2
	v_cmp_ne_u32_e32 vcc, s64, v4
                                        ; implicit-def: $vgpr4
	s_and_saveexec_b64 s[78:79], vcc
	s_xor_b64 s[78:79], exec, s[78:79]
	s_cbranch_execz .LBB6_6747
; %bb.6746:                             ;   in Loop: Header=BB6_4475 Depth=2
	v_ffbh_u32_e32 v16, v27
	v_min_u32_e32 v16, 32, v16
	v_subrev_u32_e32 v32, 29, v16
	v_lshlrev_b64 v[32:33], v32, v[2:3]
	v_bfe_u32 v4, v17, 26, 5
	v_sub_u32_e32 v2, 30, v16
	v_and_b32_e32 v16, 3, v32
	v_cmp_eq_u32_e32 vcc, 0, v4
	v_cndmask_b32_e32 v2, v4, v2, vcc
	v_cndmask_b32_e32 v4, v27, v16, vcc
	v_and_b32_e32 v16, 0x80000000, v17
	v_lshl_add_u32 v2, v2, 23, v16
	v_lshl_or_b32 v2, v4, 21, v2
	v_add_u32_e32 v4, 0x38000000, v2
                                        ; implicit-def: $vgpr27
                                        ; implicit-def: $vgpr16_vgpr17
.LBB6_6747:                             ;   in Loop: Header=BB6_4475 Depth=2
	s_andn2_saveexec_b64 s[78:79], s[78:79]
; %bb.6748:                             ;   in Loop: Header=BB6_4475 Depth=2
	v_cmp_lt_i64_e32 vcc, -1, v[16:17]
	v_mov_b32_e32 v2, 0xff800000
	v_mov_b32_e32 v4, 0x7f800000
	v_cndmask_b32_e32 v2, v2, v4, vcc
	v_cmp_eq_u32_e32 vcc, 0, v27
	v_mov_b32_e32 v4, 0x7f800001
	v_cndmask_b32_e32 v4, v4, v2, vcc
; %bb.6749:                             ;   in Loop: Header=BB6_4475 Depth=2
	s_or_b64 exec, exec, s[78:79]
.LBB6_6750:                             ;   in Loop: Header=BB6_4475 Depth=2
	s_or_b64 exec, exec, s[76:77]
.LBB6_6751:                             ;   in Loop: Header=BB6_4475 Depth=2
	s_or_b64 exec, exec, s[18:19]
	v_cmp_lt_u64_e32 vcc, s[56:57], v[12:13]
	s_and_saveexec_b64 s[18:19], vcc
	s_cbranch_execz .LBB6_6759
; %bb.6752:                             ;   in Loop: Header=BB6_4475 Depth=2
	v_lshrrev_b32_e32 v2, 24, v13
	v_cmp_ne_u32_e32 vcc, s52, v2
	v_bfrev_b32_e32 v3, 1
	s_and_saveexec_b64 s[76:77], vcc
	s_cbranch_execz .LBB6_6758
; %bb.6753:                             ;   in Loop: Header=BB6_4475 Depth=2
	v_and_b32_e32 v3, 0x7c000000, v13
	v_bfe_u32 v16, v13, 24, 2
	v_cmp_ne_u32_e32 vcc, s64, v3
                                        ; implicit-def: $vgpr3
	s_and_saveexec_b64 s[78:79], vcc
	s_xor_b64 s[78:79], exec, s[78:79]
	s_cbranch_execz .LBB6_6755
; %bb.6754:                             ;   in Loop: Header=BB6_4475 Depth=2
	v_ffbh_u32_e32 v3, v16
	v_min_u32_e32 v17, 32, v3
	v_subrev_u32_e32 v3, 29, v17
	v_bfe_u32 v12, v13, 26, 5
	v_lshlrev_b64 v[2:3], v3, v[2:3]
	v_sub_u32_e32 v3, 30, v17
	v_cmp_eq_u32_e32 vcc, 0, v12
	v_and_b32_e32 v2, 3, v2
	v_cndmask_b32_e32 v3, v12, v3, vcc
	v_and_b32_e32 v12, 0x80000000, v13
	v_cndmask_b32_e32 v2, v16, v2, vcc
	v_lshl_add_u32 v3, v3, 23, v12
	v_lshl_or_b32 v2, v2, 21, v3
	v_add_u32_e32 v3, 0x38000000, v2
                                        ; implicit-def: $vgpr16
                                        ; implicit-def: $vgpr12_vgpr13
.LBB6_6755:                             ;   in Loop: Header=BB6_4475 Depth=2
	s_andn2_saveexec_b64 s[78:79], s[78:79]
; %bb.6756:                             ;   in Loop: Header=BB6_4475 Depth=2
	v_cmp_lt_i64_e32 vcc, -1, v[12:13]
	v_mov_b32_e32 v2, 0xff800000
	v_mov_b32_e32 v3, 0x7f800000
	v_cndmask_b32_e32 v2, v2, v3, vcc
	v_cmp_eq_u32_e32 vcc, 0, v16
	v_mov_b32_e32 v3, 0x7f800001
	v_cndmask_b32_e32 v3, v3, v2, vcc
; %bb.6757:                             ;   in Loop: Header=BB6_4475 Depth=2
	s_or_b64 exec, exec, s[78:79]
.LBB6_6758:                             ;   in Loop: Header=BB6_4475 Depth=2
	s_or_b64 exec, exec, s[76:77]
.LBB6_6759:                             ;   in Loop: Header=BB6_4475 Depth=2
	s_or_b64 exec, exec, s[18:19]
	v_mul_f32_e32 v3, v4, v3
	v_and_b32_e32 v12, 0x7f800000, v3
	v_mov_b32_e32 v13, v28
	v_cmp_ne_u64_e32 vcc, s[58:59], v[12:13]
	v_and_b32_e32 v27, 0x7fffff, v3
                                        ; implicit-def: $vgpr2
	s_and_saveexec_b64 s[18:19], vcc
	s_xor_b64 s[76:77], exec, s[18:19]
	s_cbranch_execz .LBB6_6773
; %bb.6760:                             ;   in Loop: Header=BB6_4475 Depth=2
	v_and_b32_e32 v12, 0x7fffffff, v3
	v_mov_b32_e32 v13, v28
	v_cmp_gt_u64_e32 vcc, s[60:61], v[12:13]
	v_and_b32_sdwa v12, v3, s52 dst_sel:DWORD dst_unused:UNUSED_PAD src0_sel:BYTE_3 src1_sel:DWORD
                                        ; implicit-def: $vgpr2
	s_and_saveexec_b64 s[18:19], vcc
	s_xor_b64 s[78:79], exec, s[18:19]
	s_cbranch_execz .LBB6_6770
; %bb.6761:                             ;   in Loop: Header=BB6_4475 Depth=2
	v_mov_b32_e32 v2, 0
	v_cmp_ne_u32_e32 vcc, 0, v3
	s_and_saveexec_b64 s[88:89], vcc
	s_cbranch_execz .LBB6_6769
; %bb.6762:                             ;   in Loop: Header=BB6_4475 Depth=2
	v_bfe_u32 v13, v3, 23, 8
	v_cmp_gt_u32_e64 s[18:19], s53, v13
	v_sub_u32_e32 v2, 0x71, v13
	v_cmp_eq_u32_e32 vcc, 0, v13
	v_cndmask_b32_e64 v2, 0, v2, s[18:19]
	v_mov_b32_e32 v4, 0x70
	v_cndmask_b32_e32 v16, v2, v4, vcc
	v_add_u32_e32 v4, 21, v16
	v_or_b32_e32 v3, 0x800000, v27
	v_lshlrev_b64 v[32:33], v4, -1
	v_cndmask_b32_e32 v2, v3, v27, vcc
	v_mov_b32_e32 v3, v28
	v_add_u32_e32 v4, 20, v16
	v_bfi_b32 v32, v32, 0, v2
	v_lshlrev_b64 v[50:51], v4, 1
	v_lshrrev_b64 v[2:3], v16, v[2:3]
	v_bfi_b32 v33, v33, 0, 0
	v_cmp_eq_u64_e64 s[18:19], v[32:33], v[50:51]
	v_mov_b32_e32 v4, v3
	v_mov_b32_e32 v3, v2
	s_and_saveexec_b64 s[90:91], s[18:19]
; %bb.6763:                             ;   in Loop: Header=BB6_4475 Depth=2
	v_bfe_u32 v3, v2, 21, 1
	v_add_co_u32_e64 v3, s[18:19], v2, v3
	v_add_co_u32_e64 v3, s[18:19], -1, v3
; %bb.6764:                             ;   in Loop: Header=BB6_4475 Depth=2
	s_or_b64 exec, exec, s[90:91]
	v_add_u32_e32 v4, 0xffffff81, v13
	v_mov_b32_e32 v13, 0xffffff82
	v_cndmask_b32_e32 v4, v4, v13, vcc
	v_lshrrev_b32_e32 v13, 23, v2
	v_add3_u32 v16, v16, v4, v13
	v_add_u32_e32 v13, 14, v16
	v_and_b32_e32 v3, 0x1fffff, v3
	v_add_u32_e32 v27, v3, v2
	v_cmp_ne_u32_e32 vcc, 0, v13
                                        ; implicit-def: $vgpr2_vgpr3
                                        ; implicit-def: $vgpr4
	s_and_saveexec_b64 s[18:19], vcc
	s_xor_b64 s[18:19], exec, s[18:19]
; %bb.6765:                             ;   in Loop: Header=BB6_4475 Depth=2
	v_cmp_lt_u64_e32 vcc, s[62:63], v[27:28]
	v_add_u32_e32 v2, 15, v16
	v_cndmask_b32_e32 v4, v13, v2, vcc
	v_cndmask_b32_e64 v2, 0, 1, vcc
	v_lshrrev_b64 v[2:3], v2, v[27:28]
; %bb.6766:                             ;   in Loop: Header=BB6_4475 Depth=2
	s_andn2_saveexec_b64 s[18:19], s[18:19]
; %bb.6767:                             ;   in Loop: Header=BB6_4475 Depth=2
	v_mov_b32_e32 v2, v27
	v_mov_b32_e32 v3, v28
	v_bfe_u32 v4, v27, 23, 1
; %bb.6768:                             ;   in Loop: Header=BB6_4475 Depth=2
	s_or_b64 exec, exec, s[18:19]
	v_lshrrev_b64 v[2:3], 21, v[2:3]
	v_cmp_gt_i32_e32 vcc, 32, v4
	v_cndmask_b32_e32 v3, 0, v3, vcc
	v_cndmask_b32_e32 v2, 3, v2, vcc
	v_cmp_eq_u64_e64 s[18:19], 0, v[2:3]
	v_min_i32_e32 v3, 31, v4
	v_lshlrev_b32_e32 v3, 2, v3
	v_cmp_eq_u32_e32 vcc, 0, v4
	v_and_b32_e32 v3, 0xfc, v3
	v_and_or_b32 v2, v2, 3, v3
	s_and_b64 s[18:19], vcc, s[18:19]
	v_cndmask_b32_e64 v2, v2, 0, s[18:19]
	v_or_b32_e32 v2, v2, v12
.LBB6_6769:                             ;   in Loop: Header=BB6_4475 Depth=2
	s_or_b64 exec, exec, s[88:89]
                                        ; implicit-def: $vgpr12
.LBB6_6770:                             ;   in Loop: Header=BB6_4475 Depth=2
	s_andn2_saveexec_b64 s[18:19], s[78:79]
; %bb.6771:                             ;   in Loop: Header=BB6_4475 Depth=2
	v_or_b32_e32 v2, 0x7b, v12
; %bb.6772:                             ;   in Loop: Header=BB6_4475 Depth=2
	s_or_b64 exec, exec, s[18:19]
                                        ; implicit-def: $vgpr3
.LBB6_6773:                             ;   in Loop: Header=BB6_4475 Depth=2
	s_andn2_saveexec_b64 s[18:19], s[76:77]
	s_cbranch_execz .LBB6_4474
; %bb.6774:                             ;   in Loop: Header=BB6_4475 Depth=2
	v_cmp_ne_u64_e32 vcc, 0, v[27:28]
                                        ; implicit-def: $vgpr2
	s_and_saveexec_b64 s[76:77], vcc
	s_xor_b64 s[76:77], exec, s[76:77]
; %bb.6775:                             ;   in Loop: Header=BB6_4475 Depth=2
	v_or_b32_sdwa v2, v3, s54 dst_sel:DWORD dst_unused:UNUSED_PAD src0_sel:BYTE_3 src1_sel:DWORD
                                        ; implicit-def: $vgpr3
; %bb.6776:                             ;   in Loop: Header=BB6_4475 Depth=2
	s_andn2_saveexec_b64 s[76:77], s[76:77]
	s_cbranch_execz .LBB6_4473
; %bb.6777:                             ;   in Loop: Header=BB6_4475 Depth=2
	v_cmp_lt_i32_e32 vcc, -1, v3
	v_bfrev_b32_e32 v2, 0.5
	v_mov_b32_e32 v3, 0x7c
	v_cndmask_b32_e32 v2, v2, v3, vcc
	s_branch .LBB6_4473
.LBB6_6778:                             ;   in Loop: Header=BB6_4399 Depth=1
	s_or_b64 exec, exec, s[22:23]
	buffer_load_dword v48, off, s[0:3], s33 offset:344 ; 4-byte Folded Reload
	buffer_load_dword v49, off, s[0:3], s33 offset:376 ; 4-byte Folded Reload
	;; [unrolled: 1-line block ×22, first 2 shown]
	v_bfrev_b32_e32 v45, 1
.LBB6_6779:                             ;   in Loop: Header=BB6_4399 Depth=1
	s_or_b64 exec, exec, s[20:21]
	s_waitcnt vmcnt(2)
	v_and_b32_e32 v3, 0x3ffff000, v56
	v_cmp_ne_u32_e32 vcc, v56, v3
	s_mov_b64 s[18:19], 0
	v_mov_b32_e32 v6, 0
                                        ; implicit-def: $vgpr5
                                        ; implicit-def: $vgpr7
                                        ; implicit-def: $vgpr2
	s_and_saveexec_b64 s[76:77], vcc
	s_cbranch_execz .LBB6_7331
; %bb.6780:                             ;   in Loop: Header=BB6_4399 Depth=1
	buffer_load_dword v2, off, s[0:3], s33 offset:436 ; 4-byte Folded Reload
	v_lshlrev_b32_e32 v0, 6, v25
	v_and_b32_e32 v1, 0xfff, v56
	v_and_b32_e32 v7, 0x3ff, v56
	v_cmp_lt_u32_e32 vcc, 15, v7
	s_waitcnt vmcnt(0)
	v_sub_u32_e32 v0, v2, v0
	v_ashrrev_i32_e32 v2, 31, v0
	v_lshrrev_b32_e32 v2, 26, v2
	v_add_u32_e32 v2, v0, v2
	v_ashrrev_i32_e32 v4, 6, v2
	v_and_b32_e32 v2, 0xffffffc0, v2
	v_sub_u32_e32 v0, v0, v2
	v_lshlrev_b32_e32 v2, 4, v0
	v_lshl_add_u32 v2, v4, 10, v2
	v_sub_u32_e32 v8, v1, v2
	v_bfe_u32 v1, v56, 10, 2
	v_addc_co_u32_e64 v1, s[18:19], 0, v1, vcc
	v_sub_u32_e32 v1, v1, v4
	v_cmp_lt_i32_e64 s[18:19], 15, v8
	s_and_saveexec_b64 s[78:79], s[18:19]
	s_cbranch_execz .LBB6_7328
; %bb.6781:                             ;   in Loop: Header=BB6_4399 Depth=1
	v_add_u32_e32 v4, v2, v3
	s_trap 2
	ds_read_b64 v[2:3], v0
	buffer_load_dword v9, off, s[0:3], s33 offset:388 ; 4-byte Folded Reload
	buffer_load_dword v10, off, s[0:3], s33 offset:392 ; 4-byte Folded Reload
	v_ashrrev_i32_e32 v5, 31, v4
	s_mov_b64 s[88:89], 0
	s_waitcnt vmcnt(1)
	v_add_co_u32_e64 v18, s[18:19], v4, v9
	s_waitcnt vmcnt(0)
	v_addc_co_u32_e64 v19, s[18:19], v5, v10, s[18:19]
	s_waitcnt lgkmcnt(0)
	v_add_co_u32_e64 v20, s[18:19], v2, v4
	v_addc_co_u32_e64 v21, s[18:19], v3, v5, s[18:19]
	v_add_co_u32_e64 v22, s[18:19], v4, v59
	v_addc_co_u32_e64 v23, s[18:19], v5, v60, s[18:19]
	s_branch .LBB6_6784
.LBB6_6782:                             ;   in Loop: Header=BB6_6784 Depth=2
	s_or_b64 exec, exec, s[22:23]
.LBB6_6783:                             ;   in Loop: Header=BB6_6784 Depth=2
	s_or_b64 exec, exec, s[20:21]
	v_lshl_or_b32 v3, v30, 8, v29
	v_lshlrev_b32_e32 v4, 16, v31
	v_lshlrev_b32_e32 v10, 24, v10
	v_or3_b32 v10, v3, v4, v10
	v_lshl_or_b32 v3, v24, 8, v9
	v_lshlrev_b32_e32 v4, 16, v25
	v_lshlrev_b32_e32 v9, 24, v26
	v_add_co_u32_e64 v18, s[18:19], v18, v41
	v_or3_b32 v9, v3, v4, v9
	v_lshl_or_b32 v3, v14, 8, v11
	v_lshlrev_b32_e32 v4, 16, v15
	v_lshlrev_b32_e32 v11, 24, v32
	v_addc_co_u32_e64 v19, s[18:19], 0, v19, s[18:19]
	v_or3_b32 v11, v3, v4, v11
	v_lshlrev_b32_e32 v2, 24, v2
	v_lshlrev_b32_e32 v3, 16, v33
	v_lshl_or_b32 v4, v6, 8, v5
	v_add_co_u32_e64 v20, s[18:19], v20, v41
	v_or3_b32 v12, v4, v3, v2
	v_addc_co_u32_e64 v21, s[18:19], 0, v21, s[18:19]
	global_store_dwordx4 v[22:23], v[9:12], off glc slc
	v_add_co_u32_e64 v22, s[18:19], v22, v41
	v_addc_co_u32_e64 v23, s[18:19], 0, v23, s[18:19]
	v_sub_u32_e32 v8, v8, v41
	v_cmp_gt_i32_e64 s[18:19], 16, v8
	s_or_b64 s[88:89], s[18:19], s[88:89]
	v_sub_u32_e32 v1, v1, v62
	s_andn2_b64 exec, exec, s[88:89]
	s_cbranch_execz .LBB6_7327
.LBB6_6784:                             ;   Parent Loop BB6_4399 Depth=1
                                        ; =>  This Inner Loop Header: Depth=2
	global_load_dwordx4 v[14:17], v[18:19], off glc slc
	global_load_dwordx4 v[10:13], v[20:21], off glc slc
	v_mov_b32_e32 v2, 0
	s_waitcnt vmcnt(1)
	v_cmp_ne_u16_sdwa s[18:19], v14, v28 src0_sel:BYTE_0 src1_sel:DWORD
	s_and_saveexec_b64 s[20:21], s[18:19]
	s_cbranch_execz .LBB6_6792
; %bb.6785:                             ;   in Loop: Header=BB6_6784 Depth=2
	v_cmp_ne_u16_sdwa s[18:19], sext(v14), s49 src0_sel:BYTE_0 src1_sel:DWORD
	v_bfrev_b32_e32 v2, 1
	s_and_saveexec_b64 s[22:23], s[18:19]
	s_cbranch_execz .LBB6_6791
; %bb.6786:                             ;   in Loop: Header=BB6_6784 Depth=2
	v_and_b32_e32 v2, 0x7c, v14
	v_and_b32_e32 v3, 3, v14
	v_cmp_ne_u32_e64 s[18:19], s50, v2
                                        ; implicit-def: $vgpr2
	s_and_saveexec_b64 s[90:91], s[18:19]
	s_xor_b64 s[90:91], exec, s[90:91]
	s_cbranch_execz .LBB6_6788
; %bb.6787:                             ;   in Loop: Header=BB6_6784 Depth=2
	v_ffbh_u32_e32 v4, v3
	v_min_u32_e32 v6, 32, v4
	v_subrev_u32_e32 v4, 29, v6
	v_lshlrev_b64 v[4:5], v4, v[14:15]
	v_bfe_u32 v2, v14, 2, 5
	v_and_b32_e32 v4, 3, v4
	v_cmp_eq_u32_e64 s[18:19], 0, v2
	v_sub_u32_e32 v5, 30, v6
	v_cndmask_b32_e64 v3, v3, v4, s[18:19]
	v_lshlrev_b32_e32 v4, 24, v14
	v_cndmask_b32_e64 v2, v2, v5, s[18:19]
	v_and_b32_e32 v4, 0x80000000, v4
	v_lshl_add_u32 v2, v2, 23, v4
	v_lshl_or_b32 v2, v3, 21, v2
	v_add_u32_e32 v2, 0x38000000, v2
                                        ; implicit-def: $vgpr3
.LBB6_6788:                             ;   in Loop: Header=BB6_6784 Depth=2
	s_andn2_saveexec_b64 s[90:91], s[90:91]
; %bb.6789:                             ;   in Loop: Header=BB6_6784 Depth=2
	v_mov_b32_e32 v2, -1
	v_cmp_gt_i16_sdwa s[18:19], sext(v14), v2 src0_sel:BYTE_0 src1_sel:DWORD
	v_mov_b32_e32 v2, 0xff800000
	v_mov_b32_e32 v4, 0x7f800000
	v_cndmask_b32_e64 v2, v2, v4, s[18:19]
	v_cmp_eq_u32_e64 s[18:19], 0, v3
	v_mov_b32_e32 v3, 0x7f800001
	v_cndmask_b32_e64 v2, v3, v2, s[18:19]
; %bb.6790:                             ;   in Loop: Header=BB6_6784 Depth=2
	s_or_b64 exec, exec, s[90:91]
.LBB6_6791:                             ;   in Loop: Header=BB6_6784 Depth=2
	s_or_b64 exec, exec, s[22:23]
.LBB6_6792:                             ;   in Loop: Header=BB6_6784 Depth=2
	s_or_b64 exec, exec, s[20:21]
	s_waitcnt vmcnt(0)
	v_cmp_gt_i16_sdwa s[20:21], v10, s54 src0_sel:BYTE_0 src1_sel:DWORD
	s_mov_b64 s[18:19], 0
	s_and_saveexec_b64 s[22:23], s[20:21]
	s_xor_b64 s[20:21], exec, s[22:23]
	s_cbranch_execz .LBB6_7307
; %bb.6793:                             ;   in Loop: Header=BB6_6784 Depth=2
	v_cmp_eq_u16_sdwa s[90:91], v10, s52 src0_sel:BYTE_0 src1_sel:DWORD
	s_mov_b64 s[18:19], -1
	s_and_saveexec_b64 s[22:23], s[90:91]
; %bb.6794:                             ;   in Loop: Header=BB6_6784 Depth=2
	s_xor_b64 s[18:19], exec, -1
; %bb.6795:                             ;   in Loop: Header=BB6_6784 Depth=2
	s_or_b64 exec, exec, s[22:23]
	s_and_b64 s[18:19], s[18:19], exec
	s_or_saveexec_b64 s[20:21], s[20:21]
	v_bfrev_b32_e32 v3, 1
	s_xor_b64 exec, exec, s[20:21]
	s_cbranch_execnz .LBB6_7308
.LBB6_6796:                             ;   in Loop: Header=BB6_6784 Depth=2
	s_or_b64 exec, exec, s[20:21]
	s_and_saveexec_b64 s[90:91], s[18:19]
	s_cbranch_execz .LBB6_6798
.LBB6_6797:                             ;   in Loop: Header=BB6_6784 Depth=2
	v_and_b32_e32 v5, 3, v10
	v_and_b32_e32 v3, 0x7c, v10
	v_cmp_eq_u32_e64 s[18:19], s50, v3
	v_ffbh_u32_e32 v3, v5
	v_min_u32_e32 v9, 32, v3
	v_subrev_u32_e32 v3, 29, v9
	v_bfe_u32 v6, v10, 2, 5
	v_lshlrev_b64 v[3:4], v3, v[10:11]
	v_cmp_eq_u32_e64 s[20:21], 0, v6
	v_sub_u32_e32 v4, 30, v9
	v_cndmask_b32_e64 v4, v6, v4, s[20:21]
	v_lshlrev_b32_e32 v6, 24, v10
	v_and_b32_e32 v3, 3, v3
	v_and_b32_e32 v6, 0x80000000, v6
	v_cndmask_b32_e64 v3, v5, v3, s[20:21]
	v_lshl_add_u32 v4, v4, 23, v6
	v_lshl_or_b32 v3, v3, 21, v4
	v_mov_b32_e32 v4, -1
	v_cmp_eq_u32_e64 s[20:21], 0, v5
	v_cmp_gt_i16_sdwa s[22:23], sext(v10), v4 src0_sel:BYTE_0 src1_sel:DWORD
	v_mov_b32_e32 v4, 0xff800000
	v_mov_b32_e32 v5, 0x7f800000
	v_cndmask_b32_e64 v4, v4, v5, s[22:23]
	v_mov_b32_e32 v5, 0x7f800001
	v_add_u32_e32 v3, 0x38000000, v3
	v_cndmask_b32_e64 v4, v5, v4, s[20:21]
	v_cndmask_b32_e64 v3, v3, v4, s[18:19]
.LBB6_6798:                             ;   in Loop: Header=BB6_6784 Depth=2
	s_or_b64 exec, exec, s[90:91]
	v_mul_f32_e32 v2, v2, v3
	v_and_b32_e32 v3, 0x7f800000, v2
	v_mov_b32_e32 v4, v28
	v_cmp_ne_u64_e64 s[18:19], s[58:59], v[3:4]
	v_and_b32_e32 v27, 0x7fffff, v2
                                        ; implicit-def: $vgpr9
	s_and_saveexec_b64 s[20:21], s[18:19]
	s_xor_b64 s[22:23], exec, s[20:21]
	s_cbranch_execz .LBB6_6812
; %bb.6799:                             ;   in Loop: Header=BB6_6784 Depth=2
	v_and_b32_e32 v3, 0x7fffffff, v2
	v_mov_b32_e32 v4, v28
	v_cmp_gt_u64_e64 s[18:19], s[60:61], v[3:4]
	v_and_b32_sdwa v5, v2, s52 dst_sel:DWORD dst_unused:UNUSED_PAD src0_sel:BYTE_3 src1_sel:DWORD
                                        ; implicit-def: $vgpr9
	s_and_saveexec_b64 s[20:21], s[18:19]
	s_xor_b64 s[90:91], exec, s[20:21]
	s_cbranch_execz .LBB6_6809
; %bb.6800:                             ;   in Loop: Header=BB6_6784 Depth=2
	v_mov_b32_e32 v9, 0
	v_cmp_ne_u32_e64 s[18:19], 0, v2
	s_and_saveexec_b64 s[92:93], s[18:19]
	s_cbranch_execz .LBB6_6808
; %bb.6801:                             ;   in Loop: Header=BB6_6784 Depth=2
	v_bfe_u32 v6, v2, 23, 8
	v_cmp_gt_u32_e64 s[20:21], s53, v6
	v_sub_u32_e32 v2, 0x71, v6
	v_cmp_eq_u32_e64 s[18:19], 0, v6
	v_cndmask_b32_e64 v2, 0, v2, s[20:21]
	v_mov_b32_e32 v4, 0x70
	v_cndmask_b32_e64 v9, v2, v4, s[18:19]
	v_add_u32_e32 v4, 21, v9
	v_or_b32_e32 v3, 0x800000, v27
	v_lshlrev_b64 v[24:25], v4, -1
	v_cndmask_b32_e64 v2, v3, v27, s[18:19]
	v_mov_b32_e32 v3, v28
	v_add_u32_e32 v4, 20, v9
	v_bfi_b32 v24, v24, 0, v2
	v_lshlrev_b64 v[26:27], v4, 1
	v_lshrrev_b64 v[2:3], v9, v[2:3]
	v_bfi_b32 v25, v25, 0, 0
	v_cmp_eq_u64_e64 s[20:21], v[24:25], v[26:27]
	v_mov_b32_e32 v4, v3
	v_mov_b32_e32 v3, v2
	s_and_saveexec_b64 s[94:95], s[20:21]
; %bb.6802:                             ;   in Loop: Header=BB6_6784 Depth=2
	v_bfe_u32 v3, v2, 21, 1
	v_add_co_u32_e64 v3, s[20:21], v2, v3
	v_add_co_u32_e64 v3, s[20:21], -1, v3
; %bb.6803:                             ;   in Loop: Header=BB6_6784 Depth=2
	s_or_b64 exec, exec, s[94:95]
	v_add_u32_e32 v4, 0xffffff81, v6
	v_mov_b32_e32 v6, 0xffffff82
	v_cndmask_b32_e64 v4, v4, v6, s[18:19]
	v_lshrrev_b32_e32 v6, 23, v2
	v_add3_u32 v9, v9, v4, v6
	v_add_u32_e32 v6, 14, v9
	v_and_b32_e32 v3, 0x1fffff, v3
	v_add_u32_e32 v27, v3, v2
	v_cmp_ne_u32_e64 s[18:19], 0, v6
                                        ; implicit-def: $vgpr2_vgpr3
                                        ; implicit-def: $vgpr4
	s_and_saveexec_b64 s[20:21], s[18:19]
	s_xor_b64 s[20:21], exec, s[20:21]
; %bb.6804:                             ;   in Loop: Header=BB6_6784 Depth=2
	v_cmp_lt_u64_e64 s[18:19], s[62:63], v[27:28]
	v_add_u32_e32 v2, 15, v9
	v_cndmask_b32_e64 v4, v6, v2, s[18:19]
	v_cndmask_b32_e64 v2, 0, 1, s[18:19]
	v_lshrrev_b64 v[2:3], v2, v[27:28]
; %bb.6805:                             ;   in Loop: Header=BB6_6784 Depth=2
	s_andn2_saveexec_b64 s[18:19], s[20:21]
; %bb.6806:                             ;   in Loop: Header=BB6_6784 Depth=2
	v_mov_b32_e32 v2, v27
	v_mov_b32_e32 v3, v28
	v_bfe_u32 v4, v27, 23, 1
; %bb.6807:                             ;   in Loop: Header=BB6_6784 Depth=2
	s_or_b64 exec, exec, s[18:19]
	v_lshrrev_b64 v[2:3], 21, v[2:3]
	v_cmp_gt_i32_e64 s[18:19], 32, v4
	v_cndmask_b32_e64 v3, 0, v3, s[18:19]
	v_cndmask_b32_e64 v2, 3, v2, s[18:19]
	v_cmp_eq_u64_e64 s[20:21], 0, v[2:3]
	v_min_i32_e32 v3, 31, v4
	v_lshlrev_b32_e32 v3, 2, v3
	v_cmp_eq_u32_e64 s[18:19], 0, v4
	v_and_b32_e32 v3, 0xfc, v3
	v_and_or_b32 v2, v2, 3, v3
	s_and_b64 s[18:19], s[18:19], s[20:21]
	v_cndmask_b32_e64 v2, v2, 0, s[18:19]
	v_or_b32_e32 v9, v2, v5
.LBB6_6808:                             ;   in Loop: Header=BB6_6784 Depth=2
	s_or_b64 exec, exec, s[92:93]
                                        ; implicit-def: $vgpr5
.LBB6_6809:                             ;   in Loop: Header=BB6_6784 Depth=2
	s_andn2_saveexec_b64 s[18:19], s[90:91]
; %bb.6810:                             ;   in Loop: Header=BB6_6784 Depth=2
	v_or_b32_e32 v9, 0x7b, v5
; %bb.6811:                             ;   in Loop: Header=BB6_6784 Depth=2
	s_or_b64 exec, exec, s[18:19]
                                        ; implicit-def: $vgpr2
.LBB6_6812:                             ;   in Loop: Header=BB6_6784 Depth=2
	s_andn2_saveexec_b64 s[20:21], s[22:23]
	s_cbranch_execz .LBB6_6818
; %bb.6813:                             ;   in Loop: Header=BB6_6784 Depth=2
	v_cmp_ne_u64_e64 s[18:19], 0, v[27:28]
                                        ; implicit-def: $vgpr9
	s_and_saveexec_b64 s[22:23], s[18:19]
	s_xor_b64 s[18:19], exec, s[22:23]
; %bb.6814:                             ;   in Loop: Header=BB6_6784 Depth=2
	v_or_b32_sdwa v9, v2, s54 dst_sel:DWORD dst_unused:UNUSED_PAD src0_sel:BYTE_3 src1_sel:DWORD
                                        ; implicit-def: $vgpr2
; %bb.6815:                             ;   in Loop: Header=BB6_6784 Depth=2
	s_andn2_saveexec_b64 s[22:23], s[18:19]
; %bb.6816:                             ;   in Loop: Header=BB6_6784 Depth=2
	v_cmp_lt_i32_e64 s[18:19], -1, v2
	v_bfrev_b32_e32 v2, 0.5
	v_mov_b32_e32 v3, 0x7c
	v_cndmask_b32_e64 v9, v2, v3, s[18:19]
; %bb.6817:                             ;   in Loop: Header=BB6_6784 Depth=2
	s_or_b64 exec, exec, s[22:23]
.LBB6_6818:                             ;   in Loop: Header=BB6_6784 Depth=2
	s_or_b64 exec, exec, s[20:21]
	v_lshrrev_b16_e32 v2, 8, v14
	v_cmp_ne_u16_e64 s[18:19], 0, v2
	v_mov_b32_e32 v4, 0
	s_and_saveexec_b64 s[20:21], s[18:19]
	s_cbranch_execz .LBB6_6826
; %bb.6819:                             ;   in Loop: Header=BB6_6784 Depth=2
	v_cmp_ne_u16_e64 s[18:19], s52, v2
	v_bfrev_b32_e32 v4, 1
	s_and_saveexec_b64 s[22:23], s[18:19]
	s_cbranch_execz .LBB6_6825
; %bb.6820:                             ;   in Loop: Header=BB6_6784 Depth=2
	v_and_b32_e32 v3, 0x7c, v2
	v_and_b32_e32 v5, 3, v2
	v_cmp_ne_u32_e64 s[18:19], s50, v3
                                        ; implicit-def: $vgpr4
	s_and_saveexec_b64 s[90:91], s[18:19]
	s_xor_b64 s[90:91], exec, s[90:91]
	s_cbranch_execz .LBB6_6822
; %bb.6821:                             ;   in Loop: Header=BB6_6784 Depth=2
	v_ffbh_u32_e32 v6, v5
	v_min_u32_e32 v6, 32, v6
	v_mov_b32_e32 v3, v28
	v_subrev_u32_e32 v24, 29, v6
	v_bfe_u32 v4, v2, 2, 5
	v_lshlrev_b64 v[2:3], v24, v[2:3]
	v_sub_u32_e32 v3, 30, v6
	v_cmp_eq_u32_e64 s[18:19], 0, v4
	v_cndmask_b32_e64 v3, v4, v3, s[18:19]
	v_lshlrev_b32_e32 v4, 16, v14
	v_and_b32_e32 v2, 3, v2
	v_and_b32_e32 v4, 0x80000000, v4
	v_cndmask_b32_e64 v2, v5, v2, s[18:19]
	v_lshl_add_u32 v3, v3, 23, v4
	v_lshl_or_b32 v2, v2, 21, v3
	v_add_u32_e32 v4, 0x38000000, v2
                                        ; implicit-def: $vgpr5
.LBB6_6822:                             ;   in Loop: Header=BB6_6784 Depth=2
	s_andn2_saveexec_b64 s[90:91], s[90:91]
; %bb.6823:                             ;   in Loop: Header=BB6_6784 Depth=2
	v_cmp_lt_i16_e64 s[18:19], -1, v14
	v_mov_b32_e32 v2, 0xff800000
	v_mov_b32_e32 v3, 0x7f800000
	v_cndmask_b32_e64 v2, v2, v3, s[18:19]
	v_cmp_eq_u32_e64 s[18:19], 0, v5
	v_mov_b32_e32 v3, 0x7f800001
	v_cndmask_b32_e64 v4, v3, v2, s[18:19]
; %bb.6824:                             ;   in Loop: Header=BB6_6784 Depth=2
	s_or_b64 exec, exec, s[90:91]
.LBB6_6825:                             ;   in Loop: Header=BB6_6784 Depth=2
	s_or_b64 exec, exec, s[22:23]
.LBB6_6826:                             ;   in Loop: Header=BB6_6784 Depth=2
	s_or_b64 exec, exec, s[20:21]
	v_lshrrev_b16_e32 v2, 8, v10
	v_cmp_lt_i16_e64 s[18:19], s54, v2
	s_mov_b64 s[20:21], 0
	s_and_saveexec_b64 s[22:23], s[18:19]
	s_xor_b64 s[22:23], exec, s[22:23]
	s_cbranch_execz .LBB6_7309
; %bb.6827:                             ;   in Loop: Header=BB6_6784 Depth=2
	v_cmp_eq_u16_e64 s[18:19], s52, v2
	s_mov_b64 s[20:21], -1
	s_and_saveexec_b64 s[90:91], s[18:19]
; %bb.6828:                             ;   in Loop: Header=BB6_6784 Depth=2
	s_xor_b64 s[20:21], exec, -1
; %bb.6829:                             ;   in Loop: Header=BB6_6784 Depth=2
	s_or_b64 exec, exec, s[90:91]
	s_and_b64 s[20:21], s[20:21], exec
	s_or_saveexec_b64 s[22:23], s[22:23]
	v_bfrev_b32_e32 v3, 1
	s_xor_b64 exec, exec, s[22:23]
	s_cbranch_execnz .LBB6_7310
.LBB6_6830:                             ;   in Loop: Header=BB6_6784 Depth=2
	s_or_b64 exec, exec, s[22:23]
	s_and_saveexec_b64 s[90:91], s[20:21]
	s_cbranch_execz .LBB6_6832
.LBB6_6831:                             ;   in Loop: Header=BB6_6784 Depth=2
	v_and_b32_e32 v24, 3, v2
	v_and_b32_e32 v5, 0x7c, v2
	v_cmp_eq_u32_e64 s[18:19], s50, v5
	v_ffbh_u32_e32 v5, v24
	v_min_u32_e32 v26, 32, v5
	v_mov_b32_e32 v3, v28
	v_subrev_u32_e32 v5, 29, v26
	v_bfe_u32 v25, v2, 2, 5
	v_lshlrev_b64 v[5:6], v5, v[2:3]
	v_cmp_eq_u32_e64 s[20:21], 0, v25
	v_sub_u32_e32 v3, 30, v26
	v_lshlrev_b32_e32 v2, 24, v2
	v_and_b32_e32 v5, 3, v5
	v_cndmask_b32_e64 v3, v25, v3, s[20:21]
	v_and_b32_e32 v2, 0x80000000, v2
	v_cndmask_b32_e64 v5, v24, v5, s[20:21]
	v_lshl_add_u32 v2, v3, 23, v2
	v_lshl_or_b32 v2, v5, 21, v2
	v_cmp_lt_i16_e64 s[22:23], -1, v10
	v_mov_b32_e32 v3, 0xff800000
	v_mov_b32_e32 v5, 0x7f800000
	v_cmp_eq_u32_e64 s[20:21], 0, v24
	v_cndmask_b32_e64 v3, v3, v5, s[22:23]
	v_mov_b32_e32 v5, 0x7f800001
	v_add_u32_e32 v2, 0x38000000, v2
	v_cndmask_b32_e64 v3, v5, v3, s[20:21]
	v_cndmask_b32_e64 v3, v2, v3, s[18:19]
.LBB6_6832:                             ;   in Loop: Header=BB6_6784 Depth=2
	s_or_b64 exec, exec, s[90:91]
	v_mul_f32_e32 v2, v4, v3
	v_and_b32_e32 v3, 0x7f800000, v2
	v_mov_b32_e32 v4, v28
	v_cmp_ne_u64_e64 s[18:19], s[58:59], v[3:4]
	v_and_b32_e32 v27, 0x7fffff, v2
                                        ; implicit-def: $vgpr24
	s_and_saveexec_b64 s[20:21], s[18:19]
	s_xor_b64 s[22:23], exec, s[20:21]
	s_cbranch_execz .LBB6_6846
; %bb.6833:                             ;   in Loop: Header=BB6_6784 Depth=2
	v_and_b32_e32 v3, 0x7fffffff, v2
	v_mov_b32_e32 v4, v28
	v_cmp_gt_u64_e64 s[18:19], s[60:61], v[3:4]
	v_and_b32_sdwa v5, v2, s52 dst_sel:DWORD dst_unused:UNUSED_PAD src0_sel:BYTE_3 src1_sel:DWORD
                                        ; implicit-def: $vgpr24
	s_and_saveexec_b64 s[20:21], s[18:19]
	s_xor_b64 s[90:91], exec, s[20:21]
	s_cbranch_execz .LBB6_6843
; %bb.6834:                             ;   in Loop: Header=BB6_6784 Depth=2
	v_mov_b32_e32 v24, 0
	v_cmp_ne_u32_e64 s[18:19], 0, v2
	s_and_saveexec_b64 s[92:93], s[18:19]
	s_cbranch_execz .LBB6_6842
; %bb.6835:                             ;   in Loop: Header=BB6_6784 Depth=2
	v_bfe_u32 v6, v2, 23, 8
	v_cmp_gt_u32_e64 s[20:21], s53, v6
	v_sub_u32_e32 v2, 0x71, v6
	v_cmp_eq_u32_e64 s[18:19], 0, v6
	v_cndmask_b32_e64 v2, 0, v2, s[20:21]
	v_mov_b32_e32 v4, 0x70
	v_cndmask_b32_e64 v24, v2, v4, s[18:19]
	v_add_u32_e32 v4, 21, v24
	v_or_b32_e32 v3, 0x800000, v27
	v_lshlrev_b64 v[25:26], v4, -1
	v_cndmask_b32_e64 v2, v3, v27, s[18:19]
	v_mov_b32_e32 v3, v28
	v_add_u32_e32 v4, 20, v24
	v_bfi_b32 v25, v25, 0, v2
	v_lshlrev_b64 v[29:30], v4, 1
	v_lshrrev_b64 v[2:3], v24, v[2:3]
	v_bfi_b32 v26, v26, 0, 0
	v_cmp_eq_u64_e64 s[20:21], v[25:26], v[29:30]
	v_mov_b32_e32 v4, v3
	v_mov_b32_e32 v3, v2
	s_and_saveexec_b64 s[94:95], s[20:21]
; %bb.6836:                             ;   in Loop: Header=BB6_6784 Depth=2
	v_bfe_u32 v3, v2, 21, 1
	v_add_co_u32_e64 v3, s[20:21], v2, v3
	v_add_co_u32_e64 v3, s[20:21], -1, v3
; %bb.6837:                             ;   in Loop: Header=BB6_6784 Depth=2
	s_or_b64 exec, exec, s[94:95]
	v_add_u32_e32 v4, 0xffffff81, v6
	v_mov_b32_e32 v6, 0xffffff82
	v_cndmask_b32_e64 v4, v4, v6, s[18:19]
	v_lshrrev_b32_e32 v6, 23, v2
	v_add3_u32 v24, v24, v4, v6
	v_add_u32_e32 v6, 14, v24
	v_and_b32_e32 v3, 0x1fffff, v3
	v_add_u32_e32 v27, v3, v2
	v_cmp_ne_u32_e64 s[18:19], 0, v6
                                        ; implicit-def: $vgpr2_vgpr3
                                        ; implicit-def: $vgpr4
	s_and_saveexec_b64 s[20:21], s[18:19]
	s_xor_b64 s[20:21], exec, s[20:21]
; %bb.6838:                             ;   in Loop: Header=BB6_6784 Depth=2
	v_cmp_lt_u64_e64 s[18:19], s[62:63], v[27:28]
	v_add_u32_e32 v2, 15, v24
	v_cndmask_b32_e64 v4, v6, v2, s[18:19]
	v_cndmask_b32_e64 v2, 0, 1, s[18:19]
	v_lshrrev_b64 v[2:3], v2, v[27:28]
; %bb.6839:                             ;   in Loop: Header=BB6_6784 Depth=2
	s_andn2_saveexec_b64 s[18:19], s[20:21]
; %bb.6840:                             ;   in Loop: Header=BB6_6784 Depth=2
	v_mov_b32_e32 v2, v27
	v_mov_b32_e32 v3, v28
	v_bfe_u32 v4, v27, 23, 1
; %bb.6841:                             ;   in Loop: Header=BB6_6784 Depth=2
	s_or_b64 exec, exec, s[18:19]
	v_lshrrev_b64 v[2:3], 21, v[2:3]
	v_cmp_gt_i32_e64 s[18:19], 32, v4
	v_cndmask_b32_e64 v3, 0, v3, s[18:19]
	v_cndmask_b32_e64 v2, 3, v2, s[18:19]
	v_cmp_eq_u64_e64 s[20:21], 0, v[2:3]
	v_min_i32_e32 v3, 31, v4
	v_lshlrev_b32_e32 v3, 2, v3
	v_cmp_eq_u32_e64 s[18:19], 0, v4
	v_and_b32_e32 v3, 0xfc, v3
	v_and_or_b32 v2, v2, 3, v3
	s_and_b64 s[18:19], s[18:19], s[20:21]
	v_cndmask_b32_e64 v2, v2, 0, s[18:19]
	v_or_b32_e32 v24, v2, v5
.LBB6_6842:                             ;   in Loop: Header=BB6_6784 Depth=2
	s_or_b64 exec, exec, s[92:93]
                                        ; implicit-def: $vgpr5
.LBB6_6843:                             ;   in Loop: Header=BB6_6784 Depth=2
	s_andn2_saveexec_b64 s[18:19], s[90:91]
; %bb.6844:                             ;   in Loop: Header=BB6_6784 Depth=2
	v_or_b32_e32 v24, 0x7b, v5
; %bb.6845:                             ;   in Loop: Header=BB6_6784 Depth=2
	s_or_b64 exec, exec, s[18:19]
                                        ; implicit-def: $vgpr2
.LBB6_6846:                             ;   in Loop: Header=BB6_6784 Depth=2
	s_andn2_saveexec_b64 s[20:21], s[22:23]
	s_cbranch_execz .LBB6_6852
; %bb.6847:                             ;   in Loop: Header=BB6_6784 Depth=2
	v_cmp_ne_u64_e64 s[18:19], 0, v[27:28]
                                        ; implicit-def: $vgpr24
	s_and_saveexec_b64 s[22:23], s[18:19]
	s_xor_b64 s[18:19], exec, s[22:23]
; %bb.6848:                             ;   in Loop: Header=BB6_6784 Depth=2
	v_or_b32_sdwa v24, v2, s54 dst_sel:DWORD dst_unused:UNUSED_PAD src0_sel:BYTE_3 src1_sel:DWORD
                                        ; implicit-def: $vgpr2
; %bb.6849:                             ;   in Loop: Header=BB6_6784 Depth=2
	s_andn2_saveexec_b64 s[22:23], s[18:19]
; %bb.6850:                             ;   in Loop: Header=BB6_6784 Depth=2
	v_cmp_lt_i32_e64 s[18:19], -1, v2
	v_bfrev_b32_e32 v2, 0.5
	v_mov_b32_e32 v3, 0x7c
	v_cndmask_b32_e64 v24, v2, v3, s[18:19]
; %bb.6851:                             ;   in Loop: Header=BB6_6784 Depth=2
	s_or_b64 exec, exec, s[22:23]
.LBB6_6852:                             ;   in Loop: Header=BB6_6784 Depth=2
	s_or_b64 exec, exec, s[20:21]
	v_lshrrev_b32_e32 v2, 16, v14
	v_cmp_ne_u16_sdwa s[18:19], v2, v28 src0_sel:BYTE_0 src1_sel:DWORD
	v_mov_b32_e32 v3, 0
	s_and_saveexec_b64 s[20:21], s[18:19]
	s_cbranch_execz .LBB6_6860
; %bb.6853:                             ;   in Loop: Header=BB6_6784 Depth=2
	v_cmp_ne_u16_sdwa s[18:19], v2, s52 src0_sel:BYTE_0 src1_sel:DWORD
	v_bfrev_b32_e32 v3, 1
	s_and_saveexec_b64 s[22:23], s[18:19]
	s_cbranch_execz .LBB6_6859
; %bb.6854:                             ;   in Loop: Header=BB6_6784 Depth=2
	v_and_b32_e32 v3, 0x7c0000, v14
	v_bfe_u32 v4, v14, 16, 2
	v_cmp_ne_u32_e64 s[18:19], s55, v3
                                        ; implicit-def: $vgpr3
	s_and_saveexec_b64 s[90:91], s[18:19]
	s_xor_b64 s[90:91], exec, s[90:91]
	s_cbranch_execz .LBB6_6856
; %bb.6855:                             ;   in Loop: Header=BB6_6784 Depth=2
	v_ffbh_u32_e32 v3, v4
	v_min_u32_e32 v6, 32, v3
	v_subrev_u32_e32 v3, 29, v6
	v_lshlrev_b64 v[2:3], v3, v[2:3]
	v_bfe_u32 v5, v14, 18, 5
	v_and_b32_e32 v2, 3, v2
	v_cmp_eq_u32_e64 s[18:19], 0, v5
	v_sub_u32_e32 v3, 30, v6
	v_cndmask_b32_e64 v2, v4, v2, s[18:19]
	v_lshlrev_b32_e32 v4, 8, v14
	v_cndmask_b32_e64 v3, v5, v3, s[18:19]
	v_and_b32_e32 v4, 0x80000000, v4
	v_lshl_add_u32 v3, v3, 23, v4
	v_lshl_or_b32 v2, v2, 21, v3
	v_add_u32_e32 v3, 0x38000000, v2
                                        ; implicit-def: $vgpr4
                                        ; implicit-def: $vgpr2
.LBB6_6856:                             ;   in Loop: Header=BB6_6784 Depth=2
	s_andn2_saveexec_b64 s[90:91], s[90:91]
; %bb.6857:                             ;   in Loop: Header=BB6_6784 Depth=2
	v_mov_b32_e32 v3, -1
	v_cmp_gt_i16_sdwa s[18:19], sext(v2), v3 src0_sel:BYTE_0 src1_sel:DWORD
	v_mov_b32_e32 v2, 0xff800000
	v_mov_b32_e32 v3, 0x7f800000
	v_cndmask_b32_e64 v2, v2, v3, s[18:19]
	v_cmp_eq_u32_e64 s[18:19], 0, v4
	v_mov_b32_e32 v3, 0x7f800001
	v_cndmask_b32_e64 v3, v3, v2, s[18:19]
; %bb.6858:                             ;   in Loop: Header=BB6_6784 Depth=2
	s_or_b64 exec, exec, s[90:91]
.LBB6_6859:                             ;   in Loop: Header=BB6_6784 Depth=2
	s_or_b64 exec, exec, s[22:23]
.LBB6_6860:                             ;   in Loop: Header=BB6_6784 Depth=2
	s_or_b64 exec, exec, s[20:21]
	v_lshrrev_b32_e32 v2, 16, v10
	v_cmp_gt_i16_sdwa s[20:21], v2, s54 src0_sel:BYTE_0 src1_sel:DWORD
	s_mov_b64 s[18:19], 0
	s_and_saveexec_b64 s[22:23], s[20:21]
	s_xor_b64 s[20:21], exec, s[22:23]
	s_cbranch_execz .LBB6_7311
; %bb.6861:                             ;   in Loop: Header=BB6_6784 Depth=2
	v_cmp_eq_u16_sdwa s[90:91], v2, s52 src0_sel:BYTE_0 src1_sel:DWORD
	s_mov_b64 s[18:19], -1
	s_and_saveexec_b64 s[22:23], s[90:91]
; %bb.6862:                             ;   in Loop: Header=BB6_6784 Depth=2
	s_xor_b64 s[18:19], exec, -1
; %bb.6863:                             ;   in Loop: Header=BB6_6784 Depth=2
	s_or_b64 exec, exec, s[22:23]
	s_and_b64 s[18:19], s[18:19], exec
	s_or_saveexec_b64 s[20:21], s[20:21]
	v_bfrev_b32_e32 v4, 1
	s_xor_b64 exec, exec, s[20:21]
	s_cbranch_execnz .LBB6_7312
.LBB6_6864:                             ;   in Loop: Header=BB6_6784 Depth=2
	s_or_b64 exec, exec, s[20:21]
	s_and_saveexec_b64 s[90:91], s[18:19]
	s_cbranch_execz .LBB6_6866
.LBB6_6865:                             ;   in Loop: Header=BB6_6784 Depth=2
	v_and_b32_e32 v6, 3, v2
	v_and_b32_e32 v4, 0x7c0000, v10
	v_cmp_eq_u32_e64 s[18:19], s55, v4
	v_ffbh_u32_e32 v4, v6
	v_min_u32_e32 v26, 32, v4
	v_subrev_u32_e32 v4, 29, v26
	v_bfe_u32 v25, v10, 18, 5
	v_lshlrev_b64 v[4:5], v4, v[2:3]
	v_cmp_eq_u32_e64 s[20:21], 0, v25
	v_sub_u32_e32 v5, 30, v26
	v_cndmask_b32_e64 v5, v25, v5, s[20:21]
	v_lshlrev_b32_e32 v25, 24, v2
	v_and_b32_e32 v4, 3, v4
	v_and_b32_e32 v25, 0x80000000, v25
	v_cndmask_b32_e64 v4, v6, v4, s[20:21]
	v_lshl_add_u32 v5, v5, 23, v25
	v_lshl_or_b32 v4, v4, 21, v5
	v_mov_b32_e32 v5, -1
	v_cmp_gt_i16_sdwa s[22:23], sext(v2), v5 src0_sel:BYTE_0 src1_sel:DWORD
	v_mov_b32_e32 v2, 0xff800000
	v_mov_b32_e32 v5, 0x7f800000
	v_cmp_eq_u32_e64 s[20:21], 0, v6
	v_cndmask_b32_e64 v2, v2, v5, s[22:23]
	v_mov_b32_e32 v5, 0x7f800001
	v_add_u32_e32 v4, 0x38000000, v4
	v_cndmask_b32_e64 v2, v5, v2, s[20:21]
	v_cndmask_b32_e64 v4, v4, v2, s[18:19]
.LBB6_6866:                             ;   in Loop: Header=BB6_6784 Depth=2
	s_or_b64 exec, exec, s[90:91]
	v_mul_f32_e32 v2, v3, v4
	v_and_b32_e32 v3, 0x7f800000, v2
	v_mov_b32_e32 v4, v28
	v_cmp_ne_u64_e64 s[18:19], s[58:59], v[3:4]
	v_and_b32_e32 v27, 0x7fffff, v2
                                        ; implicit-def: $vgpr25
	s_and_saveexec_b64 s[20:21], s[18:19]
	s_xor_b64 s[22:23], exec, s[20:21]
	s_cbranch_execz .LBB6_6880
; %bb.6867:                             ;   in Loop: Header=BB6_6784 Depth=2
	v_and_b32_e32 v3, 0x7fffffff, v2
	v_mov_b32_e32 v4, v28
	v_cmp_gt_u64_e64 s[18:19], s[60:61], v[3:4]
	v_and_b32_sdwa v5, v2, s52 dst_sel:DWORD dst_unused:UNUSED_PAD src0_sel:BYTE_3 src1_sel:DWORD
                                        ; implicit-def: $vgpr25
	s_and_saveexec_b64 s[20:21], s[18:19]
	s_xor_b64 s[90:91], exec, s[20:21]
	s_cbranch_execz .LBB6_6877
; %bb.6868:                             ;   in Loop: Header=BB6_6784 Depth=2
	v_mov_b32_e32 v25, 0
	v_cmp_ne_u32_e64 s[18:19], 0, v2
	s_and_saveexec_b64 s[92:93], s[18:19]
	s_cbranch_execz .LBB6_6876
; %bb.6869:                             ;   in Loop: Header=BB6_6784 Depth=2
	v_bfe_u32 v6, v2, 23, 8
	v_cmp_gt_u32_e64 s[20:21], s53, v6
	v_sub_u32_e32 v2, 0x71, v6
	v_cmp_eq_u32_e64 s[18:19], 0, v6
	v_cndmask_b32_e64 v2, 0, v2, s[20:21]
	v_mov_b32_e32 v4, 0x70
	v_cndmask_b32_e64 v25, v2, v4, s[18:19]
	v_or_b32_e32 v3, 0x800000, v27
	v_add_u32_e32 v4, 21, v25
	v_cndmask_b32_e64 v2, v3, v27, s[18:19]
	v_lshlrev_b64 v[26:27], v4, -1
	v_mov_b32_e32 v3, v28
	v_add_u32_e32 v4, 20, v25
	v_bfi_b32 v26, v26, 0, v2
	v_lshlrev_b64 v[29:30], v4, 1
	v_lshrrev_b64 v[2:3], v25, v[2:3]
	v_bfi_b32 v27, v27, 0, 0
	v_cmp_eq_u64_e64 s[20:21], v[26:27], v[29:30]
	v_mov_b32_e32 v4, v3
	v_mov_b32_e32 v3, v2
	s_and_saveexec_b64 s[94:95], s[20:21]
; %bb.6870:                             ;   in Loop: Header=BB6_6784 Depth=2
	v_bfe_u32 v3, v2, 21, 1
	v_add_co_u32_e64 v3, s[20:21], v2, v3
	v_add_co_u32_e64 v3, s[20:21], -1, v3
; %bb.6871:                             ;   in Loop: Header=BB6_6784 Depth=2
	s_or_b64 exec, exec, s[94:95]
	v_add_u32_e32 v4, 0xffffff81, v6
	v_mov_b32_e32 v6, 0xffffff82
	v_cndmask_b32_e64 v4, v4, v6, s[18:19]
	v_lshrrev_b32_e32 v6, 23, v2
	v_add3_u32 v25, v25, v4, v6
	v_add_u32_e32 v6, 14, v25
	v_and_b32_e32 v3, 0x1fffff, v3
	v_add_u32_e32 v27, v3, v2
	v_cmp_ne_u32_e64 s[18:19], 0, v6
                                        ; implicit-def: $vgpr2_vgpr3
                                        ; implicit-def: $vgpr4
	s_and_saveexec_b64 s[20:21], s[18:19]
	s_xor_b64 s[20:21], exec, s[20:21]
; %bb.6872:                             ;   in Loop: Header=BB6_6784 Depth=2
	v_cmp_lt_u64_e64 s[18:19], s[62:63], v[27:28]
	v_add_u32_e32 v2, 15, v25
	v_cndmask_b32_e64 v4, v6, v2, s[18:19]
	v_cndmask_b32_e64 v2, 0, 1, s[18:19]
	v_lshrrev_b64 v[2:3], v2, v[27:28]
; %bb.6873:                             ;   in Loop: Header=BB6_6784 Depth=2
	s_andn2_saveexec_b64 s[18:19], s[20:21]
; %bb.6874:                             ;   in Loop: Header=BB6_6784 Depth=2
	v_mov_b32_e32 v2, v27
	v_mov_b32_e32 v3, v28
	v_bfe_u32 v4, v27, 23, 1
; %bb.6875:                             ;   in Loop: Header=BB6_6784 Depth=2
	s_or_b64 exec, exec, s[18:19]
	v_lshrrev_b64 v[2:3], 21, v[2:3]
	v_cmp_gt_i32_e64 s[18:19], 32, v4
	v_cndmask_b32_e64 v3, 0, v3, s[18:19]
	v_cndmask_b32_e64 v2, 3, v2, s[18:19]
	v_cmp_eq_u64_e64 s[20:21], 0, v[2:3]
	v_min_i32_e32 v3, 31, v4
	v_lshlrev_b32_e32 v3, 2, v3
	v_cmp_eq_u32_e64 s[18:19], 0, v4
	v_and_b32_e32 v3, 0xfc, v3
	v_and_or_b32 v2, v2, 3, v3
	s_and_b64 s[18:19], s[18:19], s[20:21]
	v_cndmask_b32_e64 v2, v2, 0, s[18:19]
	v_or_b32_e32 v25, v2, v5
.LBB6_6876:                             ;   in Loop: Header=BB6_6784 Depth=2
	s_or_b64 exec, exec, s[92:93]
                                        ; implicit-def: $vgpr5
.LBB6_6877:                             ;   in Loop: Header=BB6_6784 Depth=2
	s_andn2_saveexec_b64 s[18:19], s[90:91]
; %bb.6878:                             ;   in Loop: Header=BB6_6784 Depth=2
	v_or_b32_e32 v25, 0x7b, v5
; %bb.6879:                             ;   in Loop: Header=BB6_6784 Depth=2
	s_or_b64 exec, exec, s[18:19]
                                        ; implicit-def: $vgpr2
.LBB6_6880:                             ;   in Loop: Header=BB6_6784 Depth=2
	s_andn2_saveexec_b64 s[20:21], s[22:23]
	s_cbranch_execz .LBB6_6886
; %bb.6881:                             ;   in Loop: Header=BB6_6784 Depth=2
	v_cmp_ne_u64_e64 s[18:19], 0, v[27:28]
                                        ; implicit-def: $vgpr25
	s_and_saveexec_b64 s[22:23], s[18:19]
	s_xor_b64 s[18:19], exec, s[22:23]
; %bb.6882:                             ;   in Loop: Header=BB6_6784 Depth=2
	v_or_b32_sdwa v25, v2, s54 dst_sel:DWORD dst_unused:UNUSED_PAD src0_sel:BYTE_3 src1_sel:DWORD
                                        ; implicit-def: $vgpr2
; %bb.6883:                             ;   in Loop: Header=BB6_6784 Depth=2
	s_andn2_saveexec_b64 s[22:23], s[18:19]
; %bb.6884:                             ;   in Loop: Header=BB6_6784 Depth=2
	v_cmp_lt_i32_e64 s[18:19], -1, v2
	v_bfrev_b32_e32 v2, 0.5
	v_mov_b32_e32 v3, 0x7c
	v_cndmask_b32_e64 v25, v2, v3, s[18:19]
; %bb.6885:                             ;   in Loop: Header=BB6_6784 Depth=2
	s_or_b64 exec, exec, s[22:23]
.LBB6_6886:                             ;   in Loop: Header=BB6_6784 Depth=2
	s_or_b64 exec, exec, s[20:21]
	v_cmp_lt_u32_e64 s[18:19], s57, v14
	v_mov_b32_e32 v3, 0
	s_and_saveexec_b64 s[20:21], s[18:19]
	s_cbranch_execz .LBB6_6894
; %bb.6887:                             ;   in Loop: Header=BB6_6784 Depth=2
	v_lshrrev_b32_e32 v2, 24, v14
	v_cmp_ne_u32_e64 s[18:19], s52, v2
	v_bfrev_b32_e32 v3, 1
	s_and_saveexec_b64 s[22:23], s[18:19]
	s_cbranch_execz .LBB6_6893
; %bb.6888:                             ;   in Loop: Header=BB6_6784 Depth=2
	v_and_b32_e32 v3, 0x7c000000, v14
	v_bfe_u32 v4, v14, 24, 2
	v_cmp_ne_u32_e64 s[18:19], s64, v3
                                        ; implicit-def: $vgpr3
	s_and_saveexec_b64 s[90:91], s[18:19]
	s_xor_b64 s[90:91], exec, s[90:91]
	s_cbranch_execz .LBB6_6890
; %bb.6889:                             ;   in Loop: Header=BB6_6784 Depth=2
	v_ffbh_u32_e32 v3, v4
	v_min_u32_e32 v6, 32, v3
	v_subrev_u32_e32 v3, 29, v6
	v_lshlrev_b64 v[2:3], v3, v[2:3]
	v_bfe_u32 v5, v14, 26, 5
	v_sub_u32_e32 v3, 30, v6
	v_and_b32_e32 v2, 3, v2
	v_cmp_eq_u32_e64 s[18:19], 0, v5
	v_cndmask_b32_e64 v3, v5, v3, s[18:19]
	v_cndmask_b32_e64 v2, v4, v2, s[18:19]
	v_and_b32_e32 v4, 0x80000000, v14
	v_lshl_add_u32 v3, v3, 23, v4
	v_lshl_or_b32 v2, v2, 21, v3
	v_add_u32_e32 v3, 0x38000000, v2
                                        ; implicit-def: $vgpr4
.LBB6_6890:                             ;   in Loop: Header=BB6_6784 Depth=2
	s_andn2_saveexec_b64 s[90:91], s[90:91]
; %bb.6891:                             ;   in Loop: Header=BB6_6784 Depth=2
	v_cmp_lt_i32_e64 s[18:19], -1, v14
	v_mov_b32_e32 v2, 0xff800000
	v_mov_b32_e32 v3, 0x7f800000
	v_cndmask_b32_e64 v2, v2, v3, s[18:19]
	v_cmp_eq_u32_e64 s[18:19], 0, v4
	v_mov_b32_e32 v3, 0x7f800001
	v_cndmask_b32_e64 v3, v3, v2, s[18:19]
; %bb.6892:                             ;   in Loop: Header=BB6_6784 Depth=2
	s_or_b64 exec, exec, s[90:91]
.LBB6_6893:                             ;   in Loop: Header=BB6_6784 Depth=2
	s_or_b64 exec, exec, s[22:23]
.LBB6_6894:                             ;   in Loop: Header=BB6_6784 Depth=2
	s_or_b64 exec, exec, s[20:21]
	v_bfe_u32 v6, v10, 24, 2
	v_and_b32_e32 v4, 0x7c000000, v10
	v_cmp_eq_u32_e64 s[18:19], s64, v4
	v_ffbh_u32_e32 v4, v6
	v_min_u32_e32 v27, 32, v4
	v_lshrrev_b32_e32 v2, 24, v10
	v_subrev_u32_e32 v4, 29, v27
	v_bfe_u32 v26, v10, 26, 5
	v_lshlrev_b64 v[4:5], v4, v[2:3]
	v_cmp_eq_u32_e64 s[20:21], 0, v26
	v_sub_u32_e32 v5, 30, v27
	v_and_b32_e32 v4, 3, v4
	v_cndmask_b32_e64 v5, v26, v5, s[20:21]
	v_and_b32_e32 v26, 0x80000000, v10
	v_cndmask_b32_e64 v4, v6, v4, s[20:21]
	v_lshl_add_u32 v5, v5, 23, v26
	v_lshl_or_b32 v4, v4, 21, v5
	v_cmp_eq_u32_e64 s[20:21], 0, v6
	v_cmp_lt_i32_e64 s[22:23], -1, v10
	v_mov_b32_e32 v5, 0xff800000
	v_mov_b32_e32 v6, 0x7f800000
	v_cndmask_b32_e64 v5, v5, v6, s[22:23]
	v_mov_b32_e32 v6, 0x7f800001
	v_add_u32_e32 v4, 0x38000000, v4
	v_cndmask_b32_e64 v5, v6, v5, s[20:21]
	v_cndmask_b32_e64 v4, v4, v5, s[18:19]
	v_cmp_ne_u32_e64 s[18:19], s52, v2
	v_cndmask_b32_e64 v2, v45, v4, s[18:19]
	v_cmp_lt_u32_e64 s[18:19], s57, v10
	v_cndmask_b32_e64 v2, 0, v2, s[18:19]
	v_mul_f32_e32 v2, v2, v3
	v_and_b32_e32 v3, 0x7f800000, v2
	v_mov_b32_e32 v4, v28
	v_cmp_ne_u64_e64 s[18:19], s[58:59], v[3:4]
	v_and_b32_e32 v27, 0x7fffff, v2
                                        ; implicit-def: $vgpr26
	s_and_saveexec_b64 s[20:21], s[18:19]
	s_xor_b64 s[22:23], exec, s[20:21]
	s_cbranch_execz .LBB6_6908
; %bb.6895:                             ;   in Loop: Header=BB6_6784 Depth=2
	v_and_b32_e32 v3, 0x7fffffff, v2
	v_mov_b32_e32 v4, v28
	v_cmp_gt_u64_e64 s[18:19], s[60:61], v[3:4]
	v_and_b32_sdwa v5, v2, s52 dst_sel:DWORD dst_unused:UNUSED_PAD src0_sel:BYTE_3 src1_sel:DWORD
                                        ; implicit-def: $vgpr26
	s_and_saveexec_b64 s[20:21], s[18:19]
	s_xor_b64 s[90:91], exec, s[20:21]
	s_cbranch_execz .LBB6_6905
; %bb.6896:                             ;   in Loop: Header=BB6_6784 Depth=2
	v_mov_b32_e32 v26, 0
	v_cmp_ne_u32_e64 s[18:19], 0, v2
	s_and_saveexec_b64 s[92:93], s[18:19]
	s_cbranch_execz .LBB6_6904
; %bb.6897:                             ;   in Loop: Header=BB6_6784 Depth=2
	v_bfe_u32 v6, v2, 23, 8
	v_cmp_gt_u32_e64 s[20:21], s53, v6
	v_sub_u32_e32 v2, 0x71, v6
	v_cmp_eq_u32_e64 s[18:19], 0, v6
	v_cndmask_b32_e64 v2, 0, v2, s[20:21]
	v_mov_b32_e32 v4, 0x70
	v_cndmask_b32_e64 v26, v2, v4, s[18:19]
	v_add_u32_e32 v4, 21, v26
	v_or_b32_e32 v3, 0x800000, v27
	v_lshlrev_b64 v[29:30], v4, -1
	v_cndmask_b32_e64 v2, v3, v27, s[18:19]
	v_mov_b32_e32 v3, v28
	v_add_u32_e32 v4, 20, v26
	v_bfi_b32 v29, v29, 0, v2
	v_lshlrev_b64 v[31:32], v4, 1
	v_lshrrev_b64 v[2:3], v26, v[2:3]
	v_bfi_b32 v30, v30, 0, 0
	v_cmp_eq_u64_e64 s[20:21], v[29:30], v[31:32]
	v_mov_b32_e32 v4, v3
	v_mov_b32_e32 v3, v2
	s_and_saveexec_b64 s[94:95], s[20:21]
; %bb.6898:                             ;   in Loop: Header=BB6_6784 Depth=2
	v_bfe_u32 v3, v2, 21, 1
	v_add_co_u32_e64 v3, s[20:21], v2, v3
	v_add_co_u32_e64 v3, s[20:21], -1, v3
; %bb.6899:                             ;   in Loop: Header=BB6_6784 Depth=2
	s_or_b64 exec, exec, s[94:95]
	v_add_u32_e32 v4, 0xffffff81, v6
	v_mov_b32_e32 v6, 0xffffff82
	v_cndmask_b32_e64 v4, v4, v6, s[18:19]
	v_lshrrev_b32_e32 v6, 23, v2
	v_add3_u32 v26, v26, v4, v6
	v_add_u32_e32 v6, 14, v26
	v_and_b32_e32 v3, 0x1fffff, v3
	v_add_u32_e32 v27, v3, v2
	v_cmp_ne_u32_e64 s[18:19], 0, v6
                                        ; implicit-def: $vgpr2_vgpr3
                                        ; implicit-def: $vgpr4
	s_and_saveexec_b64 s[20:21], s[18:19]
	s_xor_b64 s[20:21], exec, s[20:21]
; %bb.6900:                             ;   in Loop: Header=BB6_6784 Depth=2
	v_cmp_lt_u64_e64 s[18:19], s[62:63], v[27:28]
	v_add_u32_e32 v2, 15, v26
	v_cndmask_b32_e64 v4, v6, v2, s[18:19]
	v_cndmask_b32_e64 v2, 0, 1, s[18:19]
	v_lshrrev_b64 v[2:3], v2, v[27:28]
; %bb.6901:                             ;   in Loop: Header=BB6_6784 Depth=2
	s_andn2_saveexec_b64 s[18:19], s[20:21]
; %bb.6902:                             ;   in Loop: Header=BB6_6784 Depth=2
	v_mov_b32_e32 v2, v27
	v_mov_b32_e32 v3, v28
	v_bfe_u32 v4, v27, 23, 1
; %bb.6903:                             ;   in Loop: Header=BB6_6784 Depth=2
	s_or_b64 exec, exec, s[18:19]
	v_lshrrev_b64 v[2:3], 21, v[2:3]
	v_cmp_gt_i32_e64 s[18:19], 32, v4
	v_cndmask_b32_e64 v3, 0, v3, s[18:19]
	v_cndmask_b32_e64 v2, 3, v2, s[18:19]
	v_cmp_eq_u64_e64 s[20:21], 0, v[2:3]
	v_min_i32_e32 v3, 31, v4
	v_lshlrev_b32_e32 v3, 2, v3
	v_cmp_eq_u32_e64 s[18:19], 0, v4
	v_and_b32_e32 v3, 0xfc, v3
	v_and_or_b32 v2, v2, 3, v3
	s_and_b64 s[18:19], s[18:19], s[20:21]
	v_cndmask_b32_e64 v2, v2, 0, s[18:19]
	v_or_b32_e32 v26, v2, v5
.LBB6_6904:                             ;   in Loop: Header=BB6_6784 Depth=2
	s_or_b64 exec, exec, s[92:93]
                                        ; implicit-def: $vgpr5
.LBB6_6905:                             ;   in Loop: Header=BB6_6784 Depth=2
	s_andn2_saveexec_b64 s[18:19], s[90:91]
; %bb.6906:                             ;   in Loop: Header=BB6_6784 Depth=2
	v_or_b32_e32 v26, 0x7b, v5
; %bb.6907:                             ;   in Loop: Header=BB6_6784 Depth=2
	s_or_b64 exec, exec, s[18:19]
                                        ; implicit-def: $vgpr2
.LBB6_6908:                             ;   in Loop: Header=BB6_6784 Depth=2
	s_andn2_saveexec_b64 s[20:21], s[22:23]
	s_cbranch_execz .LBB6_6914
; %bb.6909:                             ;   in Loop: Header=BB6_6784 Depth=2
	v_cmp_ne_u64_e64 s[18:19], 0, v[27:28]
                                        ; implicit-def: $vgpr26
	s_and_saveexec_b64 s[22:23], s[18:19]
	s_xor_b64 s[18:19], exec, s[22:23]
; %bb.6910:                             ;   in Loop: Header=BB6_6784 Depth=2
	v_or_b32_sdwa v26, v2, s54 dst_sel:DWORD dst_unused:UNUSED_PAD src0_sel:BYTE_3 src1_sel:DWORD
                                        ; implicit-def: $vgpr2
; %bb.6911:                             ;   in Loop: Header=BB6_6784 Depth=2
	s_andn2_saveexec_b64 s[22:23], s[18:19]
; %bb.6912:                             ;   in Loop: Header=BB6_6784 Depth=2
	v_cmp_lt_i32_e64 s[18:19], -1, v2
	v_bfrev_b32_e32 v2, 0.5
	v_mov_b32_e32 v3, 0x7c
	v_cndmask_b32_e64 v26, v2, v3, s[18:19]
; %bb.6913:                             ;   in Loop: Header=BB6_6784 Depth=2
	s_or_b64 exec, exec, s[22:23]
.LBB6_6914:                             ;   in Loop: Header=BB6_6784 Depth=2
	s_or_b64 exec, exec, s[20:21]
	v_mov_b32_e32 v27, v15
	v_cmp_ne_u16_sdwa s[18:19], v15, v28 src0_sel:BYTE_0 src1_sel:DWORD
	v_mov_b32_e32 v2, 0
	s_and_saveexec_b64 s[20:21], s[18:19]
	s_cbranch_execz .LBB6_6922
; %bb.6915:                             ;   in Loop: Header=BB6_6784 Depth=2
	v_cmp_ne_u16_sdwa s[18:19], v15, s52 src0_sel:BYTE_0 src1_sel:DWORD
	v_bfrev_b32_e32 v2, 1
	s_and_saveexec_b64 s[22:23], s[18:19]
	s_cbranch_execz .LBB6_6921
; %bb.6916:                             ;   in Loop: Header=BB6_6784 Depth=2
	v_and_b32_e32 v2, 0x7c, v15
	v_and_b32_e32 v3, 3, v15
	v_cmp_ne_u32_e64 s[18:19], s50, v2
                                        ; implicit-def: $vgpr2
	s_and_saveexec_b64 s[90:91], s[18:19]
	s_xor_b64 s[90:91], exec, s[90:91]
	s_cbranch_execz .LBB6_6918
; %bb.6917:                             ;   in Loop: Header=BB6_6784 Depth=2
	v_ffbh_u32_e32 v4, v3
	v_min_u32_e32 v6, 32, v4
	v_subrev_u32_e32 v4, 29, v6
	v_lshlrev_b64 v[4:5], v4, v[27:28]
	v_bfe_u32 v2, v15, 2, 5
	v_and_b32_e32 v4, 3, v4
	v_cmp_eq_u32_e64 s[18:19], 0, v2
	v_sub_u32_e32 v5, 30, v6
	v_cndmask_b32_e64 v3, v3, v4, s[18:19]
	v_lshlrev_b32_e32 v4, 24, v15
	v_cndmask_b32_e64 v2, v2, v5, s[18:19]
	v_and_b32_e32 v4, 0x80000000, v4
	v_lshl_add_u32 v2, v2, 23, v4
	v_lshl_or_b32 v2, v3, 21, v2
	v_add_u32_e32 v2, 0x38000000, v2
                                        ; implicit-def: $vgpr3
.LBB6_6918:                             ;   in Loop: Header=BB6_6784 Depth=2
	s_andn2_saveexec_b64 s[90:91], s[90:91]
; %bb.6919:                             ;   in Loop: Header=BB6_6784 Depth=2
	v_mov_b32_e32 v2, -1
	v_cmp_gt_i16_sdwa s[18:19], sext(v15), v2 src0_sel:BYTE_0 src1_sel:DWORD
	v_mov_b32_e32 v2, 0xff800000
	v_mov_b32_e32 v4, 0x7f800000
	v_cndmask_b32_e64 v2, v2, v4, s[18:19]
	v_cmp_eq_u32_e64 s[18:19], 0, v3
	v_mov_b32_e32 v3, 0x7f800001
	v_cndmask_b32_e64 v2, v3, v2, s[18:19]
; %bb.6920:                             ;   in Loop: Header=BB6_6784 Depth=2
	s_or_b64 exec, exec, s[90:91]
.LBB6_6921:                             ;   in Loop: Header=BB6_6784 Depth=2
	s_or_b64 exec, exec, s[22:23]
.LBB6_6922:                             ;   in Loop: Header=BB6_6784 Depth=2
	s_or_b64 exec, exec, s[20:21]
	v_cmp_gt_i16_sdwa s[20:21], v11, s54 src0_sel:BYTE_0 src1_sel:DWORD
	s_mov_b64 s[18:19], 0
	s_and_saveexec_b64 s[22:23], s[20:21]
	s_xor_b64 s[20:21], exec, s[22:23]
	s_cbranch_execz .LBB6_6926
; %bb.6923:                             ;   in Loop: Header=BB6_6784 Depth=2
	v_cmp_eq_u16_sdwa s[90:91], v11, s52 src0_sel:BYTE_0 src1_sel:DWORD
	s_mov_b64 s[18:19], -1
	s_and_saveexec_b64 s[22:23], s[90:91]
; %bb.6924:                             ;   in Loop: Header=BB6_6784 Depth=2
	s_xor_b64 s[18:19], exec, -1
; %bb.6925:                             ;   in Loop: Header=BB6_6784 Depth=2
	s_or_b64 exec, exec, s[22:23]
	s_and_b64 s[18:19], s[18:19], exec
.LBB6_6926:                             ;   in Loop: Header=BB6_6784 Depth=2
	s_or_saveexec_b64 s[20:21], s[20:21]
	v_bfrev_b32_e32 v3, 1
	s_xor_b64 exec, exec, s[20:21]
; %bb.6927:                             ;   in Loop: Header=BB6_6784 Depth=2
	v_cmp_ne_u16_sdwa s[22:23], v11, v28 src0_sel:BYTE_0 src1_sel:DWORD
	s_andn2_b64 s[18:19], s[18:19], exec
	s_and_b64 s[22:23], s[22:23], exec
	v_mov_b32_e32 v3, 0
	s_or_b64 s[18:19], s[18:19], s[22:23]
; %bb.6928:                             ;   in Loop: Header=BB6_6784 Depth=2
	s_or_b64 exec, exec, s[20:21]
	v_mov_b32_e32 v4, v11
	v_mov_b32_e32 v5, v28
	s_and_saveexec_b64 s[90:91], s[18:19]
	s_cbranch_execz .LBB6_6930
; %bb.6929:                             ;   in Loop: Header=BB6_6784 Depth=2
	v_and_b32_e32 v3, 3, v11
	v_and_b32_e32 v6, 0x7c, v11
	v_cmp_eq_u32_e64 s[18:19], s50, v6
	v_ffbh_u32_e32 v6, v3
	v_min_u32_e32 v30, 32, v6
	v_subrev_u32_e32 v6, 29, v30
	v_bfe_u32 v29, v11, 2, 5
	v_lshlrev_b64 v[5:6], v6, v[4:5]
	v_cmp_eq_u32_e64 s[20:21], 0, v29
	v_sub_u32_e32 v6, 30, v30
	v_cndmask_b32_e64 v6, v29, v6, s[20:21]
	v_lshlrev_b32_e32 v29, 24, v11
	v_and_b32_e32 v5, 3, v5
	v_and_b32_e32 v29, 0x80000000, v29
	v_cndmask_b32_e64 v5, v3, v5, s[20:21]
	v_lshl_add_u32 v6, v6, 23, v29
	v_cmp_eq_u32_e64 s[20:21], 0, v3
	v_mov_b32_e32 v3, -1
	v_lshl_or_b32 v5, v5, 21, v6
	v_cmp_gt_i16_sdwa s[22:23], sext(v11), v3 src0_sel:BYTE_0 src1_sel:DWORD
	v_mov_b32_e32 v3, 0xff800000
	v_mov_b32_e32 v6, 0x7f800000
	v_cndmask_b32_e64 v3, v3, v6, s[22:23]
	v_mov_b32_e32 v6, 0x7f800001
	v_add_u32_e32 v5, 0x38000000, v5
	v_cndmask_b32_e64 v3, v6, v3, s[20:21]
	v_cndmask_b32_e64 v3, v5, v3, s[18:19]
.LBB6_6930:                             ;   in Loop: Header=BB6_6784 Depth=2
	s_or_b64 exec, exec, s[90:91]
	v_mul_f32_e32 v5, v2, v3
	v_and_b32_e32 v29, 0x7f800000, v5
	v_mov_b32_e32 v30, v28
	v_cmp_ne_u64_e64 s[18:19], s[58:59], v[29:30]
	v_and_b32_e32 v2, 0x7fffff, v5
	v_mov_b32_e32 v3, v28
                                        ; implicit-def: $vgpr29
	s_and_saveexec_b64 s[20:21], s[18:19]
	s_xor_b64 s[22:23], exec, s[20:21]
	s_cbranch_execz .LBB6_6944
; %bb.6931:                             ;   in Loop: Header=BB6_6784 Depth=2
	v_and_b32_e32 v29, 0x7fffffff, v5
	v_mov_b32_e32 v30, v28
	v_cmp_gt_u64_e64 s[18:19], s[60:61], v[29:30]
	v_and_b32_sdwa v30, v5, s52 dst_sel:DWORD dst_unused:UNUSED_PAD src0_sel:BYTE_3 src1_sel:DWORD
                                        ; implicit-def: $vgpr29
	s_and_saveexec_b64 s[20:21], s[18:19]
	s_xor_b64 s[90:91], exec, s[20:21]
	s_cbranch_execz .LBB6_6941
; %bb.6932:                             ;   in Loop: Header=BB6_6784 Depth=2
	v_mov_b32_e32 v29, 0
	v_cmp_ne_u32_e64 s[18:19], 0, v5
	s_and_saveexec_b64 s[92:93], s[18:19]
	s_cbranch_execz .LBB6_6940
; %bb.6933:                             ;   in Loop: Header=BB6_6784 Depth=2
	v_bfe_u32 v29, v5, 23, 8
	v_cmp_gt_u32_e64 s[20:21], s53, v29
	v_sub_u32_e32 v5, 0x71, v29
	v_cmp_eq_u32_e64 s[18:19], 0, v29
	v_cndmask_b32_e64 v5, 0, v5, s[20:21]
	v_mov_b32_e32 v31, 0x70
	v_cndmask_b32_e64 v31, v5, v31, s[18:19]
	v_or_b32_e32 v6, 0x800000, v2
	v_add_u32_e32 v5, 21, v31
	v_cndmask_b32_e64 v2, v6, v2, s[18:19]
	v_lshlrev_b64 v[5:6], v5, -1
	v_add_u32_e32 v32, 20, v31
	v_bfi_b32 v5, v5, 0, v2
	v_lshlrev_b64 v[32:33], v32, 1
	v_lshrrev_b64 v[2:3], v31, v[2:3]
	v_bfi_b32 v6, v6, 0, 0
	v_cmp_eq_u64_e64 s[20:21], v[5:6], v[32:33]
	v_mov_b32_e32 v6, v3
	v_mov_b32_e32 v5, v2
	s_and_saveexec_b64 s[94:95], s[20:21]
; %bb.6934:                             ;   in Loop: Header=BB6_6784 Depth=2
	v_bfe_u32 v3, v2, 21, 1
	v_add_co_u32_e64 v3, s[20:21], v2, v3
	v_add_co_u32_e64 v5, s[20:21], -1, v3
; %bb.6935:                             ;   in Loop: Header=BB6_6784 Depth=2
	s_or_b64 exec, exec, s[94:95]
	v_add_u32_e32 v3, 0xffffff81, v29
	v_mov_b32_e32 v6, 0xffffff82
	v_cndmask_b32_e64 v3, v3, v6, s[18:19]
	v_lshrrev_b32_e32 v6, 23, v2
	v_add3_u32 v29, v31, v3, v6
	v_add_u32_e32 v6, 14, v29
	v_and_b32_e32 v3, 0x1fffff, v5
	v_add_u32_e32 v2, v3, v2
	v_mov_b32_e32 v3, v28
	v_cmp_ne_u32_e64 s[18:19], 0, v6
                                        ; implicit-def: $vgpr5
	s_and_saveexec_b64 s[20:21], s[18:19]
	s_xor_b64 s[20:21], exec, s[20:21]
; %bb.6936:                             ;   in Loop: Header=BB6_6784 Depth=2
	v_cmp_lt_u64_e64 s[18:19], s[62:63], v[2:3]
	v_add_u32_e32 v5, 15, v29
	v_cndmask_b32_e64 v5, v6, v5, s[18:19]
	v_cndmask_b32_e64 v6, 0, 1, s[18:19]
	v_lshrrev_b64 v[2:3], v6, v[2:3]
; %bb.6937:                             ;   in Loop: Header=BB6_6784 Depth=2
	s_andn2_saveexec_b64 s[18:19], s[20:21]
; %bb.6938:                             ;   in Loop: Header=BB6_6784 Depth=2
	v_bfe_u32 v5, v2, 23, 1
; %bb.6939:                             ;   in Loop: Header=BB6_6784 Depth=2
	s_or_b64 exec, exec, s[18:19]
	v_lshrrev_b64 v[2:3], 21, v[2:3]
	v_cmp_gt_i32_e64 s[18:19], 32, v5
	v_cndmask_b32_e64 v3, 0, v3, s[18:19]
	v_cndmask_b32_e64 v2, 3, v2, s[18:19]
	v_cmp_eq_u64_e64 s[20:21], 0, v[2:3]
	v_min_i32_e32 v3, 31, v5
	v_lshlrev_b32_e32 v3, 2, v3
	v_cmp_eq_u32_e64 s[18:19], 0, v5
	v_and_b32_e32 v3, 0xfc, v3
	v_and_or_b32 v2, v2, 3, v3
	s_and_b64 s[18:19], s[18:19], s[20:21]
	v_cndmask_b32_e64 v2, v2, 0, s[18:19]
	v_or_b32_e32 v29, v2, v30
.LBB6_6940:                             ;   in Loop: Header=BB6_6784 Depth=2
	s_or_b64 exec, exec, s[92:93]
                                        ; implicit-def: $vgpr30
.LBB6_6941:                             ;   in Loop: Header=BB6_6784 Depth=2
	s_andn2_saveexec_b64 s[18:19], s[90:91]
; %bb.6942:                             ;   in Loop: Header=BB6_6784 Depth=2
	v_or_b32_e32 v29, 0x7b, v30
; %bb.6943:                             ;   in Loop: Header=BB6_6784 Depth=2
	s_or_b64 exec, exec, s[18:19]
                                        ; implicit-def: $vgpr5
                                        ; implicit-def: $vgpr2_vgpr3
.LBB6_6944:                             ;   in Loop: Header=BB6_6784 Depth=2
	s_andn2_saveexec_b64 s[20:21], s[22:23]
	s_cbranch_execz .LBB6_6950
; %bb.6945:                             ;   in Loop: Header=BB6_6784 Depth=2
	v_cmp_ne_u64_e64 s[18:19], 0, v[2:3]
                                        ; implicit-def: $vgpr29
	s_and_saveexec_b64 s[22:23], s[18:19]
	s_xor_b64 s[18:19], exec, s[22:23]
; %bb.6946:                             ;   in Loop: Header=BB6_6784 Depth=2
	v_or_b32_sdwa v29, v5, s54 dst_sel:DWORD dst_unused:UNUSED_PAD src0_sel:BYTE_3 src1_sel:DWORD
                                        ; implicit-def: $vgpr5
; %bb.6947:                             ;   in Loop: Header=BB6_6784 Depth=2
	s_andn2_saveexec_b64 s[22:23], s[18:19]
; %bb.6948:                             ;   in Loop: Header=BB6_6784 Depth=2
	v_cmp_lt_i32_e64 s[18:19], -1, v5
	v_bfrev_b32_e32 v2, 0.5
	v_mov_b32_e32 v3, 0x7c
	v_cndmask_b32_e64 v29, v2, v3, s[18:19]
; %bb.6949:                             ;   in Loop: Header=BB6_6784 Depth=2
	s_or_b64 exec, exec, s[22:23]
.LBB6_6950:                             ;   in Loop: Header=BB6_6784 Depth=2
	s_or_b64 exec, exec, s[20:21]
	v_lshrrev_b16_e32 v2, 8, v27
	v_cmp_ne_u16_e64 s[18:19], 0, v2
	v_mov_b32_e32 v5, 0
	s_and_saveexec_b64 s[20:21], s[18:19]
	s_cbranch_execz .LBB6_6958
; %bb.6951:                             ;   in Loop: Header=BB6_6784 Depth=2
	v_cmp_ne_u16_e64 s[18:19], s52, v2
	v_bfrev_b32_e32 v5, 1
	s_and_saveexec_b64 s[22:23], s[18:19]
	s_cbranch_execz .LBB6_6957
; %bb.6952:                             ;   in Loop: Header=BB6_6784 Depth=2
	v_and_b32_e32 v3, 0x7c, v2
	v_and_b32_e32 v6, 3, v2
	v_cmp_ne_u32_e64 s[18:19], s50, v3
                                        ; implicit-def: $vgpr5
	s_and_saveexec_b64 s[90:91], s[18:19]
	s_xor_b64 s[90:91], exec, s[90:91]
	s_cbranch_execz .LBB6_6954
; %bb.6953:                             ;   in Loop: Header=BB6_6784 Depth=2
	v_ffbh_u32_e32 v30, v6
	v_min_u32_e32 v30, 32, v30
	v_mov_b32_e32 v3, v28
	v_subrev_u32_e32 v31, 29, v30
	v_bfe_u32 v5, v2, 2, 5
	v_lshlrev_b64 v[2:3], v31, v[2:3]
	v_sub_u32_e32 v3, 30, v30
	v_cmp_eq_u32_e64 s[18:19], 0, v5
	v_cndmask_b32_e64 v3, v5, v3, s[18:19]
	v_lshlrev_b32_e32 v5, 16, v27
	v_and_b32_e32 v2, 3, v2
	v_and_b32_e32 v5, 0x80000000, v5
	v_cndmask_b32_e64 v2, v6, v2, s[18:19]
	v_lshl_add_u32 v3, v3, 23, v5
	v_lshl_or_b32 v2, v2, 21, v3
	v_add_u32_e32 v5, 0x38000000, v2
                                        ; implicit-def: $vgpr6
.LBB6_6954:                             ;   in Loop: Header=BB6_6784 Depth=2
	s_andn2_saveexec_b64 s[90:91], s[90:91]
; %bb.6955:                             ;   in Loop: Header=BB6_6784 Depth=2
	v_cmp_lt_i16_e64 s[18:19], -1, v27
	v_mov_b32_e32 v2, 0xff800000
	v_mov_b32_e32 v3, 0x7f800000
	v_cndmask_b32_e64 v2, v2, v3, s[18:19]
	v_cmp_eq_u32_e64 s[18:19], 0, v6
	v_mov_b32_e32 v3, 0x7f800001
	v_cndmask_b32_e64 v5, v3, v2, s[18:19]
; %bb.6956:                             ;   in Loop: Header=BB6_6784 Depth=2
	s_or_b64 exec, exec, s[90:91]
.LBB6_6957:                             ;   in Loop: Header=BB6_6784 Depth=2
	s_or_b64 exec, exec, s[22:23]
.LBB6_6958:                             ;   in Loop: Header=BB6_6784 Depth=2
	s_or_b64 exec, exec, s[20:21]
	v_lshrrev_b16_e32 v2, 8, v4
	v_cmp_lt_i16_e64 s[18:19], s54, v2
	s_mov_b64 s[20:21], 0
	s_and_saveexec_b64 s[22:23], s[18:19]
	s_xor_b64 s[22:23], exec, s[22:23]
	s_cbranch_execz .LBB6_7313
; %bb.6959:                             ;   in Loop: Header=BB6_6784 Depth=2
	v_cmp_eq_u16_e64 s[18:19], s52, v2
	s_mov_b64 s[20:21], -1
	s_and_saveexec_b64 s[90:91], s[18:19]
; %bb.6960:                             ;   in Loop: Header=BB6_6784 Depth=2
	s_xor_b64 s[20:21], exec, -1
; %bb.6961:                             ;   in Loop: Header=BB6_6784 Depth=2
	s_or_b64 exec, exec, s[90:91]
	s_and_b64 s[20:21], s[20:21], exec
	s_or_saveexec_b64 s[22:23], s[22:23]
	v_bfrev_b32_e32 v3, 1
	s_xor_b64 exec, exec, s[22:23]
	s_cbranch_execnz .LBB6_7314
.LBB6_6962:                             ;   in Loop: Header=BB6_6784 Depth=2
	s_or_b64 exec, exec, s[22:23]
	s_and_saveexec_b64 s[90:91], s[20:21]
	s_cbranch_execz .LBB6_6964
.LBB6_6963:                             ;   in Loop: Header=BB6_6784 Depth=2
	v_and_b32_e32 v6, 3, v2
	v_and_b32_e32 v30, 0x7c, v2
	v_cmp_eq_u32_e64 s[18:19], s50, v30
	v_ffbh_u32_e32 v30, v6
	v_min_u32_e32 v32, 32, v30
	v_mov_b32_e32 v3, v28
	v_subrev_u32_e32 v30, 29, v32
	v_bfe_u32 v27, v2, 2, 5
	v_lshlrev_b64 v[30:31], v30, v[2:3]
	v_cmp_eq_u32_e64 s[20:21], 0, v27
	v_sub_u32_e32 v3, 30, v32
	v_lshlrev_b32_e32 v2, 24, v2
	v_and_b32_e32 v30, 3, v30
	v_cndmask_b32_e64 v3, v27, v3, s[20:21]
	v_and_b32_e32 v2, 0x80000000, v2
	v_cndmask_b32_e64 v27, v6, v30, s[20:21]
	v_lshl_add_u32 v2, v3, 23, v2
	v_cmp_lt_i16_e64 s[22:23], -1, v4
	v_mov_b32_e32 v3, 0xff800000
	v_mov_b32_e32 v4, 0x7f800000
	v_lshl_or_b32 v2, v27, 21, v2
	v_cmp_eq_u32_e64 s[20:21], 0, v6
	v_cndmask_b32_e64 v3, v3, v4, s[22:23]
	v_mov_b32_e32 v4, 0x7f800001
	v_add_u32_e32 v2, 0x38000000, v2
	v_cndmask_b32_e64 v3, v4, v3, s[20:21]
	v_cndmask_b32_e64 v3, v2, v3, s[18:19]
.LBB6_6964:                             ;   in Loop: Header=BB6_6784 Depth=2
	s_or_b64 exec, exec, s[90:91]
	v_mul_f32_e32 v2, v5, v3
	v_and_b32_e32 v3, 0x7f800000, v2
	v_mov_b32_e32 v4, v28
	v_cmp_ne_u64_e64 s[18:19], s[58:59], v[3:4]
	v_and_b32_e32 v27, 0x7fffff, v2
                                        ; implicit-def: $vgpr30
	s_and_saveexec_b64 s[20:21], s[18:19]
	s_xor_b64 s[22:23], exec, s[20:21]
	s_cbranch_execz .LBB6_6978
; %bb.6965:                             ;   in Loop: Header=BB6_6784 Depth=2
	v_and_b32_e32 v3, 0x7fffffff, v2
	v_mov_b32_e32 v4, v28
	v_cmp_gt_u64_e64 s[18:19], s[60:61], v[3:4]
	v_and_b32_sdwa v5, v2, s52 dst_sel:DWORD dst_unused:UNUSED_PAD src0_sel:BYTE_3 src1_sel:DWORD
                                        ; implicit-def: $vgpr30
	s_and_saveexec_b64 s[20:21], s[18:19]
	s_xor_b64 s[90:91], exec, s[20:21]
	s_cbranch_execz .LBB6_6975
; %bb.6966:                             ;   in Loop: Header=BB6_6784 Depth=2
	v_mov_b32_e32 v30, 0
	v_cmp_ne_u32_e64 s[18:19], 0, v2
	s_and_saveexec_b64 s[92:93], s[18:19]
	s_cbranch_execz .LBB6_6974
; %bb.6967:                             ;   in Loop: Header=BB6_6784 Depth=2
	v_bfe_u32 v6, v2, 23, 8
	v_cmp_gt_u32_e64 s[20:21], s53, v6
	v_sub_u32_e32 v2, 0x71, v6
	v_cmp_eq_u32_e64 s[18:19], 0, v6
	v_cndmask_b32_e64 v2, 0, v2, s[20:21]
	v_mov_b32_e32 v4, 0x70
	v_cndmask_b32_e64 v30, v2, v4, s[18:19]
	v_add_u32_e32 v4, 21, v30
	v_or_b32_e32 v3, 0x800000, v27
	v_lshlrev_b64 v[31:32], v4, -1
	v_cndmask_b32_e64 v2, v3, v27, s[18:19]
	v_mov_b32_e32 v3, v28
	v_add_u32_e32 v4, 20, v30
	v_bfi_b32 v31, v31, 0, v2
	v_lshlrev_b64 v[33:34], v4, 1
	v_lshrrev_b64 v[2:3], v30, v[2:3]
	v_bfi_b32 v32, v32, 0, 0
	v_cmp_eq_u64_e64 s[20:21], v[31:32], v[33:34]
	v_mov_b32_e32 v4, v3
	v_mov_b32_e32 v3, v2
	s_and_saveexec_b64 s[94:95], s[20:21]
; %bb.6968:                             ;   in Loop: Header=BB6_6784 Depth=2
	v_bfe_u32 v3, v2, 21, 1
	v_add_co_u32_e64 v3, s[20:21], v2, v3
	v_add_co_u32_e64 v3, s[20:21], -1, v3
; %bb.6969:                             ;   in Loop: Header=BB6_6784 Depth=2
	s_or_b64 exec, exec, s[94:95]
	v_add_u32_e32 v4, 0xffffff81, v6
	v_mov_b32_e32 v6, 0xffffff82
	v_cndmask_b32_e64 v4, v4, v6, s[18:19]
	v_lshrrev_b32_e32 v6, 23, v2
	v_add3_u32 v30, v30, v4, v6
	v_add_u32_e32 v6, 14, v30
	v_and_b32_e32 v3, 0x1fffff, v3
	v_add_u32_e32 v27, v3, v2
	v_cmp_ne_u32_e64 s[18:19], 0, v6
                                        ; implicit-def: $vgpr2_vgpr3
                                        ; implicit-def: $vgpr4
	s_and_saveexec_b64 s[20:21], s[18:19]
	s_xor_b64 s[20:21], exec, s[20:21]
; %bb.6970:                             ;   in Loop: Header=BB6_6784 Depth=2
	v_cmp_lt_u64_e64 s[18:19], s[62:63], v[27:28]
	v_add_u32_e32 v2, 15, v30
	v_cndmask_b32_e64 v4, v6, v2, s[18:19]
	v_cndmask_b32_e64 v2, 0, 1, s[18:19]
	v_lshrrev_b64 v[2:3], v2, v[27:28]
; %bb.6971:                             ;   in Loop: Header=BB6_6784 Depth=2
	s_andn2_saveexec_b64 s[18:19], s[20:21]
; %bb.6972:                             ;   in Loop: Header=BB6_6784 Depth=2
	v_mov_b32_e32 v2, v27
	v_mov_b32_e32 v3, v28
	v_bfe_u32 v4, v27, 23, 1
; %bb.6973:                             ;   in Loop: Header=BB6_6784 Depth=2
	s_or_b64 exec, exec, s[18:19]
	v_lshrrev_b64 v[2:3], 21, v[2:3]
	v_cmp_gt_i32_e64 s[18:19], 32, v4
	v_cndmask_b32_e64 v3, 0, v3, s[18:19]
	v_cndmask_b32_e64 v2, 3, v2, s[18:19]
	v_cmp_eq_u64_e64 s[20:21], 0, v[2:3]
	v_min_i32_e32 v3, 31, v4
	v_lshlrev_b32_e32 v3, 2, v3
	v_cmp_eq_u32_e64 s[18:19], 0, v4
	v_and_b32_e32 v3, 0xfc, v3
	v_and_or_b32 v2, v2, 3, v3
	s_and_b64 s[18:19], s[18:19], s[20:21]
	v_cndmask_b32_e64 v2, v2, 0, s[18:19]
	v_or_b32_e32 v30, v2, v5
.LBB6_6974:                             ;   in Loop: Header=BB6_6784 Depth=2
	s_or_b64 exec, exec, s[92:93]
                                        ; implicit-def: $vgpr5
.LBB6_6975:                             ;   in Loop: Header=BB6_6784 Depth=2
	s_andn2_saveexec_b64 s[18:19], s[90:91]
; %bb.6976:                             ;   in Loop: Header=BB6_6784 Depth=2
	v_or_b32_e32 v30, 0x7b, v5
; %bb.6977:                             ;   in Loop: Header=BB6_6784 Depth=2
	s_or_b64 exec, exec, s[18:19]
                                        ; implicit-def: $vgpr2
.LBB6_6978:                             ;   in Loop: Header=BB6_6784 Depth=2
	s_andn2_saveexec_b64 s[20:21], s[22:23]
	s_cbranch_execz .LBB6_6984
; %bb.6979:                             ;   in Loop: Header=BB6_6784 Depth=2
	v_cmp_ne_u64_e64 s[18:19], 0, v[27:28]
                                        ; implicit-def: $vgpr30
	s_and_saveexec_b64 s[22:23], s[18:19]
	s_xor_b64 s[18:19], exec, s[22:23]
; %bb.6980:                             ;   in Loop: Header=BB6_6784 Depth=2
	v_or_b32_sdwa v30, v2, s54 dst_sel:DWORD dst_unused:UNUSED_PAD src0_sel:BYTE_3 src1_sel:DWORD
                                        ; implicit-def: $vgpr2
; %bb.6981:                             ;   in Loop: Header=BB6_6784 Depth=2
	s_andn2_saveexec_b64 s[22:23], s[18:19]
; %bb.6982:                             ;   in Loop: Header=BB6_6784 Depth=2
	v_cmp_lt_i32_e64 s[18:19], -1, v2
	v_bfrev_b32_e32 v2, 0.5
	v_mov_b32_e32 v3, 0x7c
	v_cndmask_b32_e64 v30, v2, v3, s[18:19]
; %bb.6983:                             ;   in Loop: Header=BB6_6784 Depth=2
	s_or_b64 exec, exec, s[22:23]
.LBB6_6984:                             ;   in Loop: Header=BB6_6784 Depth=2
	s_or_b64 exec, exec, s[20:21]
	v_lshrrev_b32_e32 v2, 16, v15
	v_cmp_ne_u16_sdwa s[18:19], v2, v28 src0_sel:BYTE_0 src1_sel:DWORD
	v_mov_b32_e32 v3, 0
	s_and_saveexec_b64 s[20:21], s[18:19]
	s_cbranch_execz .LBB6_6992
; %bb.6985:                             ;   in Loop: Header=BB6_6784 Depth=2
	v_cmp_ne_u16_sdwa s[18:19], v2, s52 src0_sel:BYTE_0 src1_sel:DWORD
	v_bfrev_b32_e32 v3, 1
	s_and_saveexec_b64 s[22:23], s[18:19]
	s_cbranch_execz .LBB6_6991
; %bb.6986:                             ;   in Loop: Header=BB6_6784 Depth=2
	v_and_b32_e32 v3, 0x7c0000, v15
	v_bfe_u32 v4, v15, 16, 2
	v_cmp_ne_u32_e64 s[18:19], s55, v3
                                        ; implicit-def: $vgpr3
	s_and_saveexec_b64 s[90:91], s[18:19]
	s_xor_b64 s[90:91], exec, s[90:91]
	s_cbranch_execz .LBB6_6988
; %bb.6987:                             ;   in Loop: Header=BB6_6784 Depth=2
	v_ffbh_u32_e32 v3, v4
	v_min_u32_e32 v6, 32, v3
	v_subrev_u32_e32 v3, 29, v6
	v_lshlrev_b64 v[2:3], v3, v[2:3]
	v_bfe_u32 v5, v15, 18, 5
	v_and_b32_e32 v2, 3, v2
	v_cmp_eq_u32_e64 s[18:19], 0, v5
	v_sub_u32_e32 v3, 30, v6
	v_cndmask_b32_e64 v2, v4, v2, s[18:19]
	v_lshlrev_b32_e32 v4, 8, v15
	v_cndmask_b32_e64 v3, v5, v3, s[18:19]
	v_and_b32_e32 v4, 0x80000000, v4
	v_lshl_add_u32 v3, v3, 23, v4
	v_lshl_or_b32 v2, v2, 21, v3
	v_add_u32_e32 v3, 0x38000000, v2
                                        ; implicit-def: $vgpr4
                                        ; implicit-def: $vgpr2
.LBB6_6988:                             ;   in Loop: Header=BB6_6784 Depth=2
	s_andn2_saveexec_b64 s[90:91], s[90:91]
; %bb.6989:                             ;   in Loop: Header=BB6_6784 Depth=2
	v_mov_b32_e32 v3, -1
	v_cmp_gt_i16_sdwa s[18:19], sext(v2), v3 src0_sel:BYTE_0 src1_sel:DWORD
	v_mov_b32_e32 v2, 0xff800000
	v_mov_b32_e32 v3, 0x7f800000
	v_cndmask_b32_e64 v2, v2, v3, s[18:19]
	v_cmp_eq_u32_e64 s[18:19], 0, v4
	v_mov_b32_e32 v3, 0x7f800001
	v_cndmask_b32_e64 v3, v3, v2, s[18:19]
; %bb.6990:                             ;   in Loop: Header=BB6_6784 Depth=2
	s_or_b64 exec, exec, s[90:91]
.LBB6_6991:                             ;   in Loop: Header=BB6_6784 Depth=2
	s_or_b64 exec, exec, s[22:23]
.LBB6_6992:                             ;   in Loop: Header=BB6_6784 Depth=2
	s_or_b64 exec, exec, s[20:21]
	v_lshrrev_b32_e32 v2, 16, v11
	v_cmp_gt_i16_sdwa s[20:21], v2, s54 src0_sel:BYTE_0 src1_sel:DWORD
	s_mov_b64 s[18:19], 0
	s_and_saveexec_b64 s[22:23], s[20:21]
	s_xor_b64 s[20:21], exec, s[22:23]
	s_cbranch_execz .LBB6_7315
; %bb.6993:                             ;   in Loop: Header=BB6_6784 Depth=2
	v_cmp_eq_u16_sdwa s[90:91], v2, s52 src0_sel:BYTE_0 src1_sel:DWORD
	s_mov_b64 s[18:19], -1
	s_and_saveexec_b64 s[22:23], s[90:91]
; %bb.6994:                             ;   in Loop: Header=BB6_6784 Depth=2
	s_xor_b64 s[18:19], exec, -1
; %bb.6995:                             ;   in Loop: Header=BB6_6784 Depth=2
	s_or_b64 exec, exec, s[22:23]
	s_and_b64 s[18:19], s[18:19], exec
	s_or_saveexec_b64 s[20:21], s[20:21]
	v_bfrev_b32_e32 v4, 1
	s_xor_b64 exec, exec, s[20:21]
	s_cbranch_execnz .LBB6_7316
.LBB6_6996:                             ;   in Loop: Header=BB6_6784 Depth=2
	s_or_b64 exec, exec, s[20:21]
	s_and_saveexec_b64 s[90:91], s[18:19]
	s_cbranch_execz .LBB6_6998
.LBB6_6997:                             ;   in Loop: Header=BB6_6784 Depth=2
	v_and_b32_e32 v6, 3, v2
	v_and_b32_e32 v4, 0x7c0000, v11
	v_cmp_eq_u32_e64 s[18:19], s55, v4
	v_ffbh_u32_e32 v4, v6
	v_min_u32_e32 v31, 32, v4
	v_subrev_u32_e32 v4, 29, v31
	v_bfe_u32 v27, v11, 18, 5
	v_lshlrev_b64 v[4:5], v4, v[2:3]
	v_cmp_eq_u32_e64 s[20:21], 0, v27
	v_sub_u32_e32 v5, 30, v31
	v_cndmask_b32_e64 v5, v27, v5, s[20:21]
	v_lshlrev_b32_e32 v27, 24, v2
	v_and_b32_e32 v4, 3, v4
	v_and_b32_e32 v27, 0x80000000, v27
	v_cndmask_b32_e64 v4, v6, v4, s[20:21]
	v_lshl_add_u32 v5, v5, 23, v27
	v_lshl_or_b32 v4, v4, 21, v5
	v_mov_b32_e32 v5, -1
	v_cmp_gt_i16_sdwa s[22:23], sext(v2), v5 src0_sel:BYTE_0 src1_sel:DWORD
	v_mov_b32_e32 v2, 0xff800000
	v_mov_b32_e32 v5, 0x7f800000
	v_cmp_eq_u32_e64 s[20:21], 0, v6
	v_cndmask_b32_e64 v2, v2, v5, s[22:23]
	v_mov_b32_e32 v5, 0x7f800001
	v_add_u32_e32 v4, 0x38000000, v4
	v_cndmask_b32_e64 v2, v5, v2, s[20:21]
	v_cndmask_b32_e64 v4, v4, v2, s[18:19]
.LBB6_6998:                             ;   in Loop: Header=BB6_6784 Depth=2
	s_or_b64 exec, exec, s[90:91]
	v_mul_f32_e32 v2, v3, v4
	v_and_b32_e32 v3, 0x7f800000, v2
	v_mov_b32_e32 v4, v28
	v_cmp_ne_u64_e64 s[18:19], s[58:59], v[3:4]
	v_and_b32_e32 v27, 0x7fffff, v2
                                        ; implicit-def: $vgpr31
	s_and_saveexec_b64 s[20:21], s[18:19]
	s_xor_b64 s[22:23], exec, s[20:21]
	s_cbranch_execz .LBB6_7012
; %bb.6999:                             ;   in Loop: Header=BB6_6784 Depth=2
	v_and_b32_e32 v3, 0x7fffffff, v2
	v_mov_b32_e32 v4, v28
	v_cmp_gt_u64_e64 s[18:19], s[60:61], v[3:4]
	v_and_b32_sdwa v5, v2, s52 dst_sel:DWORD dst_unused:UNUSED_PAD src0_sel:BYTE_3 src1_sel:DWORD
                                        ; implicit-def: $vgpr31
	s_and_saveexec_b64 s[20:21], s[18:19]
	s_xor_b64 s[90:91], exec, s[20:21]
	s_cbranch_execz .LBB6_7009
; %bb.7000:                             ;   in Loop: Header=BB6_6784 Depth=2
	v_mov_b32_e32 v31, 0
	v_cmp_ne_u32_e64 s[18:19], 0, v2
	s_and_saveexec_b64 s[92:93], s[18:19]
	s_cbranch_execz .LBB6_7008
; %bb.7001:                             ;   in Loop: Header=BB6_6784 Depth=2
	v_bfe_u32 v6, v2, 23, 8
	v_cmp_gt_u32_e64 s[20:21], s53, v6
	v_sub_u32_e32 v2, 0x71, v6
	v_cmp_eq_u32_e64 s[18:19], 0, v6
	v_cndmask_b32_e64 v2, 0, v2, s[20:21]
	v_mov_b32_e32 v4, 0x70
	v_cndmask_b32_e64 v31, v2, v4, s[18:19]
	v_add_u32_e32 v4, 21, v31
	v_or_b32_e32 v3, 0x800000, v27
	v_lshlrev_b64 v[32:33], v4, -1
	v_cndmask_b32_e64 v2, v3, v27, s[18:19]
	v_mov_b32_e32 v3, v28
	v_add_u32_e32 v4, 20, v31
	v_bfi_b32 v32, v32, 0, v2
	v_lshlrev_b64 v[34:35], v4, 1
	v_lshrrev_b64 v[2:3], v31, v[2:3]
	v_bfi_b32 v33, v33, 0, 0
	v_cmp_eq_u64_e64 s[20:21], v[32:33], v[34:35]
	v_mov_b32_e32 v4, v3
	v_mov_b32_e32 v3, v2
	s_and_saveexec_b64 s[94:95], s[20:21]
; %bb.7002:                             ;   in Loop: Header=BB6_6784 Depth=2
	v_bfe_u32 v3, v2, 21, 1
	v_add_co_u32_e64 v3, s[20:21], v2, v3
	v_add_co_u32_e64 v3, s[20:21], -1, v3
; %bb.7003:                             ;   in Loop: Header=BB6_6784 Depth=2
	s_or_b64 exec, exec, s[94:95]
	v_add_u32_e32 v4, 0xffffff81, v6
	v_mov_b32_e32 v6, 0xffffff82
	v_cndmask_b32_e64 v4, v4, v6, s[18:19]
	v_lshrrev_b32_e32 v6, 23, v2
	v_add3_u32 v31, v31, v4, v6
	v_add_u32_e32 v6, 14, v31
	v_and_b32_e32 v3, 0x1fffff, v3
	v_add_u32_e32 v27, v3, v2
	v_cmp_ne_u32_e64 s[18:19], 0, v6
                                        ; implicit-def: $vgpr2_vgpr3
                                        ; implicit-def: $vgpr4
	s_and_saveexec_b64 s[20:21], s[18:19]
	s_xor_b64 s[20:21], exec, s[20:21]
; %bb.7004:                             ;   in Loop: Header=BB6_6784 Depth=2
	v_cmp_lt_u64_e64 s[18:19], s[62:63], v[27:28]
	v_add_u32_e32 v2, 15, v31
	v_cndmask_b32_e64 v4, v6, v2, s[18:19]
	v_cndmask_b32_e64 v2, 0, 1, s[18:19]
	v_lshrrev_b64 v[2:3], v2, v[27:28]
; %bb.7005:                             ;   in Loop: Header=BB6_6784 Depth=2
	s_andn2_saveexec_b64 s[18:19], s[20:21]
; %bb.7006:                             ;   in Loop: Header=BB6_6784 Depth=2
	v_mov_b32_e32 v2, v27
	v_mov_b32_e32 v3, v28
	v_bfe_u32 v4, v27, 23, 1
; %bb.7007:                             ;   in Loop: Header=BB6_6784 Depth=2
	s_or_b64 exec, exec, s[18:19]
	v_lshrrev_b64 v[2:3], 21, v[2:3]
	v_cmp_gt_i32_e64 s[18:19], 32, v4
	v_cndmask_b32_e64 v3, 0, v3, s[18:19]
	v_cndmask_b32_e64 v2, 3, v2, s[18:19]
	v_cmp_eq_u64_e64 s[20:21], 0, v[2:3]
	v_min_i32_e32 v3, 31, v4
	v_lshlrev_b32_e32 v3, 2, v3
	v_cmp_eq_u32_e64 s[18:19], 0, v4
	v_and_b32_e32 v3, 0xfc, v3
	v_and_or_b32 v2, v2, 3, v3
	s_and_b64 s[18:19], s[18:19], s[20:21]
	v_cndmask_b32_e64 v2, v2, 0, s[18:19]
	v_or_b32_e32 v31, v2, v5
.LBB6_7008:                             ;   in Loop: Header=BB6_6784 Depth=2
	s_or_b64 exec, exec, s[92:93]
                                        ; implicit-def: $vgpr5
.LBB6_7009:                             ;   in Loop: Header=BB6_6784 Depth=2
	s_andn2_saveexec_b64 s[18:19], s[90:91]
; %bb.7010:                             ;   in Loop: Header=BB6_6784 Depth=2
	v_or_b32_e32 v31, 0x7b, v5
; %bb.7011:                             ;   in Loop: Header=BB6_6784 Depth=2
	s_or_b64 exec, exec, s[18:19]
                                        ; implicit-def: $vgpr2
.LBB6_7012:                             ;   in Loop: Header=BB6_6784 Depth=2
	s_andn2_saveexec_b64 s[20:21], s[22:23]
	s_cbranch_execz .LBB6_7018
; %bb.7013:                             ;   in Loop: Header=BB6_6784 Depth=2
	v_cmp_ne_u64_e64 s[18:19], 0, v[27:28]
                                        ; implicit-def: $vgpr31
	s_and_saveexec_b64 s[22:23], s[18:19]
	s_xor_b64 s[18:19], exec, s[22:23]
; %bb.7014:                             ;   in Loop: Header=BB6_6784 Depth=2
	v_or_b32_sdwa v31, v2, s54 dst_sel:DWORD dst_unused:UNUSED_PAD src0_sel:BYTE_3 src1_sel:DWORD
                                        ; implicit-def: $vgpr2
; %bb.7015:                             ;   in Loop: Header=BB6_6784 Depth=2
	s_andn2_saveexec_b64 s[22:23], s[18:19]
; %bb.7016:                             ;   in Loop: Header=BB6_6784 Depth=2
	v_cmp_lt_i32_e64 s[18:19], -1, v2
	v_bfrev_b32_e32 v2, 0.5
	v_mov_b32_e32 v3, 0x7c
	v_cndmask_b32_e64 v31, v2, v3, s[18:19]
; %bb.7017:                             ;   in Loop: Header=BB6_6784 Depth=2
	s_or_b64 exec, exec, s[22:23]
.LBB6_7018:                             ;   in Loop: Header=BB6_6784 Depth=2
	s_or_b64 exec, exec, s[20:21]
	v_cmp_lt_u64_e64 s[18:19], s[56:57], v[14:15]
	v_mov_b32_e32 v3, 0
	s_and_saveexec_b64 s[20:21], s[18:19]
	s_cbranch_execz .LBB6_7026
; %bb.7019:                             ;   in Loop: Header=BB6_6784 Depth=2
	v_lshrrev_b32_e32 v2, 24, v15
	v_cmp_ne_u32_e64 s[18:19], s52, v2
	v_bfrev_b32_e32 v3, 1
	s_and_saveexec_b64 s[22:23], s[18:19]
	s_cbranch_execz .LBB6_7025
; %bb.7020:                             ;   in Loop: Header=BB6_6784 Depth=2
	v_and_b32_e32 v3, 0x7c000000, v15
	v_bfe_u32 v4, v15, 24, 2
	v_cmp_ne_u32_e64 s[18:19], s64, v3
                                        ; implicit-def: $vgpr3
	s_and_saveexec_b64 s[90:91], s[18:19]
	s_xor_b64 s[90:91], exec, s[90:91]
	s_cbranch_execz .LBB6_7022
; %bb.7021:                             ;   in Loop: Header=BB6_6784 Depth=2
	v_ffbh_u32_e32 v3, v4
	v_min_u32_e32 v6, 32, v3
	v_subrev_u32_e32 v3, 29, v6
	v_lshlrev_b64 v[2:3], v3, v[2:3]
	v_bfe_u32 v5, v15, 26, 5
	v_sub_u32_e32 v3, 30, v6
	v_and_b32_e32 v2, 3, v2
	v_cmp_eq_u32_e64 s[18:19], 0, v5
	v_cndmask_b32_e64 v3, v5, v3, s[18:19]
	v_cndmask_b32_e64 v2, v4, v2, s[18:19]
	v_and_b32_e32 v4, 0x80000000, v15
	v_lshl_add_u32 v3, v3, 23, v4
	v_lshl_or_b32 v2, v2, 21, v3
	v_add_u32_e32 v3, 0x38000000, v2
                                        ; implicit-def: $vgpr4
.LBB6_7022:                             ;   in Loop: Header=BB6_6784 Depth=2
	s_andn2_saveexec_b64 s[90:91], s[90:91]
; %bb.7023:                             ;   in Loop: Header=BB6_6784 Depth=2
	v_cmp_lt_i64_e64 s[18:19], -1, v[14:15]
	v_mov_b32_e32 v2, 0xff800000
	v_mov_b32_e32 v3, 0x7f800000
	v_cndmask_b32_e64 v2, v2, v3, s[18:19]
	v_cmp_eq_u32_e64 s[18:19], 0, v4
	v_mov_b32_e32 v3, 0x7f800001
	v_cndmask_b32_e64 v3, v3, v2, s[18:19]
; %bb.7024:                             ;   in Loop: Header=BB6_6784 Depth=2
	s_or_b64 exec, exec, s[90:91]
.LBB6_7025:                             ;   in Loop: Header=BB6_6784 Depth=2
	s_or_b64 exec, exec, s[22:23]
.LBB6_7026:                             ;   in Loop: Header=BB6_6784 Depth=2
	s_or_b64 exec, exec, s[20:21]
	v_bfe_u32 v6, v11, 24, 2
	v_and_b32_e32 v4, 0x7c000000, v11
	v_cmp_eq_u32_e64 s[18:19], s64, v4
	v_ffbh_u32_e32 v4, v6
	v_min_u32_e32 v15, 32, v4
	v_lshrrev_b32_e32 v2, 24, v11
	v_subrev_u32_e32 v4, 29, v15
	v_bfe_u32 v14, v11, 26, 5
	v_lshlrev_b64 v[4:5], v4, v[2:3]
	v_cmp_eq_u32_e64 s[20:21], 0, v14
	v_sub_u32_e32 v5, 30, v15
	v_and_b32_e32 v4, 3, v4
	v_cndmask_b32_e64 v5, v14, v5, s[20:21]
	v_and_b32_e32 v14, 0x80000000, v11
	v_cndmask_b32_e64 v4, v6, v4, s[20:21]
	v_lshl_add_u32 v5, v5, 23, v14
	v_cmp_lt_i64_e64 s[22:23], -1, v[10:11]
	v_lshl_or_b32 v4, v4, 21, v5
	v_cmp_eq_u32_e64 s[20:21], 0, v6
	v_mov_b32_e32 v5, 0xff800000
	v_mov_b32_e32 v6, 0x7f800000
	v_cndmask_b32_e64 v5, v5, v6, s[22:23]
	v_mov_b32_e32 v6, 0x7f800001
	v_add_u32_e32 v4, 0x38000000, v4
	v_cndmask_b32_e64 v5, v6, v5, s[20:21]
	v_cndmask_b32_e64 v4, v4, v5, s[18:19]
	v_cmp_ne_u32_e64 s[18:19], s52, v2
	v_cndmask_b32_e64 v2, v45, v4, s[18:19]
	v_cmp_lt_u64_e64 s[18:19], s[56:57], v[10:11]
	v_mov_b32_e32 v4, v28
	v_cndmask_b32_e64 v2, 0, v2, s[18:19]
	v_mul_f32_e32 v2, v2, v3
	v_and_b32_e32 v3, 0x7f800000, v2
	v_cmp_ne_u64_e64 s[18:19], s[58:59], v[3:4]
	v_and_b32_e32 v27, 0x7fffff, v2
                                        ; implicit-def: $vgpr10
	s_and_saveexec_b64 s[20:21], s[18:19]
	s_xor_b64 s[22:23], exec, s[20:21]
	s_cbranch_execz .LBB6_7040
; %bb.7027:                             ;   in Loop: Header=BB6_6784 Depth=2
	v_and_b32_e32 v3, 0x7fffffff, v2
	v_mov_b32_e32 v4, v28
	v_cmp_gt_u64_e64 s[18:19], s[60:61], v[3:4]
	v_and_b32_sdwa v5, v2, s52 dst_sel:DWORD dst_unused:UNUSED_PAD src0_sel:BYTE_3 src1_sel:DWORD
                                        ; implicit-def: $vgpr10
	s_and_saveexec_b64 s[20:21], s[18:19]
	s_xor_b64 s[90:91], exec, s[20:21]
	s_cbranch_execz .LBB6_7037
; %bb.7028:                             ;   in Loop: Header=BB6_6784 Depth=2
	v_mov_b32_e32 v10, 0
	v_cmp_ne_u32_e64 s[18:19], 0, v2
	s_and_saveexec_b64 s[92:93], s[18:19]
	s_cbranch_execz .LBB6_7036
; %bb.7029:                             ;   in Loop: Header=BB6_6784 Depth=2
	v_bfe_u32 v6, v2, 23, 8
	v_cmp_gt_u32_e64 s[20:21], s53, v6
	v_sub_u32_e32 v2, 0x71, v6
	v_cmp_eq_u32_e64 s[18:19], 0, v6
	v_cndmask_b32_e64 v2, 0, v2, s[20:21]
	v_mov_b32_e32 v4, 0x70
	v_cndmask_b32_e64 v10, v2, v4, s[18:19]
	v_add_u32_e32 v4, 21, v10
	v_or_b32_e32 v3, 0x800000, v27
	v_lshlrev_b64 v[14:15], v4, -1
	v_cndmask_b32_e64 v2, v3, v27, s[18:19]
	v_mov_b32_e32 v3, v28
	v_add_u32_e32 v4, 20, v10
	v_bfi_b32 v14, v14, 0, v2
	v_lshlrev_b64 v[32:33], v4, 1
	v_lshrrev_b64 v[2:3], v10, v[2:3]
	v_bfi_b32 v15, v15, 0, 0
	v_cmp_eq_u64_e64 s[20:21], v[14:15], v[32:33]
	v_mov_b32_e32 v4, v3
	v_mov_b32_e32 v3, v2
	s_and_saveexec_b64 s[94:95], s[20:21]
; %bb.7030:                             ;   in Loop: Header=BB6_6784 Depth=2
	v_bfe_u32 v3, v2, 21, 1
	v_add_co_u32_e64 v3, s[20:21], v2, v3
	v_add_co_u32_e64 v3, s[20:21], -1, v3
; %bb.7031:                             ;   in Loop: Header=BB6_6784 Depth=2
	s_or_b64 exec, exec, s[94:95]
	v_add_u32_e32 v4, 0xffffff81, v6
	v_mov_b32_e32 v6, 0xffffff82
	v_cndmask_b32_e64 v4, v4, v6, s[18:19]
	v_lshrrev_b32_e32 v6, 23, v2
	v_add3_u32 v10, v10, v4, v6
	v_add_u32_e32 v6, 14, v10
	v_and_b32_e32 v3, 0x1fffff, v3
	v_add_u32_e32 v27, v3, v2
	v_cmp_ne_u32_e64 s[18:19], 0, v6
                                        ; implicit-def: $vgpr2_vgpr3
                                        ; implicit-def: $vgpr4
	s_and_saveexec_b64 s[20:21], s[18:19]
	s_xor_b64 s[20:21], exec, s[20:21]
; %bb.7032:                             ;   in Loop: Header=BB6_6784 Depth=2
	v_cmp_lt_u64_e64 s[18:19], s[62:63], v[27:28]
	v_add_u32_e32 v2, 15, v10
	v_cndmask_b32_e64 v4, v6, v2, s[18:19]
	v_cndmask_b32_e64 v2, 0, 1, s[18:19]
	v_lshrrev_b64 v[2:3], v2, v[27:28]
; %bb.7033:                             ;   in Loop: Header=BB6_6784 Depth=2
	s_andn2_saveexec_b64 s[18:19], s[20:21]
; %bb.7034:                             ;   in Loop: Header=BB6_6784 Depth=2
	v_mov_b32_e32 v2, v27
	v_mov_b32_e32 v3, v28
	v_bfe_u32 v4, v27, 23, 1
; %bb.7035:                             ;   in Loop: Header=BB6_6784 Depth=2
	s_or_b64 exec, exec, s[18:19]
	v_lshrrev_b64 v[2:3], 21, v[2:3]
	v_cmp_gt_i32_e64 s[18:19], 32, v4
	v_cndmask_b32_e64 v3, 0, v3, s[18:19]
	v_cndmask_b32_e64 v2, 3, v2, s[18:19]
	v_cmp_eq_u64_e64 s[20:21], 0, v[2:3]
	v_min_i32_e32 v3, 31, v4
	v_lshlrev_b32_e32 v3, 2, v3
	v_cmp_eq_u32_e64 s[18:19], 0, v4
	v_and_b32_e32 v3, 0xfc, v3
	v_and_or_b32 v2, v2, 3, v3
	s_and_b64 s[18:19], s[18:19], s[20:21]
	v_cndmask_b32_e64 v2, v2, 0, s[18:19]
	v_or_b32_e32 v10, v2, v5
.LBB6_7036:                             ;   in Loop: Header=BB6_6784 Depth=2
	s_or_b64 exec, exec, s[92:93]
                                        ; implicit-def: $vgpr5
.LBB6_7037:                             ;   in Loop: Header=BB6_6784 Depth=2
	s_andn2_saveexec_b64 s[18:19], s[90:91]
; %bb.7038:                             ;   in Loop: Header=BB6_6784 Depth=2
	v_or_b32_e32 v10, 0x7b, v5
; %bb.7039:                             ;   in Loop: Header=BB6_6784 Depth=2
	s_or_b64 exec, exec, s[18:19]
                                        ; implicit-def: $vgpr2
.LBB6_7040:                             ;   in Loop: Header=BB6_6784 Depth=2
	s_andn2_saveexec_b64 s[20:21], s[22:23]
	s_cbranch_execz .LBB6_7046
; %bb.7041:                             ;   in Loop: Header=BB6_6784 Depth=2
	v_cmp_ne_u64_e64 s[18:19], 0, v[27:28]
                                        ; implicit-def: $vgpr10
	s_and_saveexec_b64 s[22:23], s[18:19]
	s_xor_b64 s[18:19], exec, s[22:23]
; %bb.7042:                             ;   in Loop: Header=BB6_6784 Depth=2
	v_or_b32_sdwa v10, v2, s54 dst_sel:DWORD dst_unused:UNUSED_PAD src0_sel:BYTE_3 src1_sel:DWORD
                                        ; implicit-def: $vgpr2
; %bb.7043:                             ;   in Loop: Header=BB6_6784 Depth=2
	s_andn2_saveexec_b64 s[22:23], s[18:19]
; %bb.7044:                             ;   in Loop: Header=BB6_6784 Depth=2
	v_cmp_lt_i32_e64 s[18:19], -1, v2
	v_bfrev_b32_e32 v2, 0.5
	v_mov_b32_e32 v3, 0x7c
	v_cndmask_b32_e64 v10, v2, v3, s[18:19]
; %bb.7045:                             ;   in Loop: Header=BB6_6784 Depth=2
	s_or_b64 exec, exec, s[22:23]
.LBB6_7046:                             ;   in Loop: Header=BB6_6784 Depth=2
	s_or_b64 exec, exec, s[20:21]
	v_cmp_ne_u16_sdwa s[18:19], v16, v28 src0_sel:BYTE_0 src1_sel:DWORD
	v_mov_b32_e32 v2, 0
	s_and_saveexec_b64 s[20:21], s[18:19]
	s_cbranch_execz .LBB6_7054
; %bb.7047:                             ;   in Loop: Header=BB6_6784 Depth=2
	v_cmp_ne_u16_sdwa s[18:19], sext(v16), s49 src0_sel:BYTE_0 src1_sel:DWORD
	v_bfrev_b32_e32 v2, 1
	s_and_saveexec_b64 s[22:23], s[18:19]
	s_cbranch_execz .LBB6_7053
; %bb.7048:                             ;   in Loop: Header=BB6_6784 Depth=2
	v_and_b32_e32 v2, 0x7c, v16
	v_and_b32_e32 v3, 3, v16
	v_cmp_ne_u32_e64 s[18:19], s50, v2
                                        ; implicit-def: $vgpr2
	s_and_saveexec_b64 s[90:91], s[18:19]
	s_xor_b64 s[90:91], exec, s[90:91]
	s_cbranch_execz .LBB6_7050
; %bb.7049:                             ;   in Loop: Header=BB6_6784 Depth=2
	v_ffbh_u32_e32 v4, v3
	v_min_u32_e32 v6, 32, v4
	v_subrev_u32_e32 v4, 29, v6
	v_lshlrev_b64 v[4:5], v4, v[16:17]
	v_bfe_u32 v2, v16, 2, 5
	v_and_b32_e32 v4, 3, v4
	v_cmp_eq_u32_e64 s[18:19], 0, v2
	v_sub_u32_e32 v5, 30, v6
	v_cndmask_b32_e64 v3, v3, v4, s[18:19]
	v_lshlrev_b32_e32 v4, 24, v16
	v_cndmask_b32_e64 v2, v2, v5, s[18:19]
	v_and_b32_e32 v4, 0x80000000, v4
	v_lshl_add_u32 v2, v2, 23, v4
	v_lshl_or_b32 v2, v3, 21, v2
	v_add_u32_e32 v2, 0x38000000, v2
                                        ; implicit-def: $vgpr3
.LBB6_7050:                             ;   in Loop: Header=BB6_6784 Depth=2
	s_andn2_saveexec_b64 s[90:91], s[90:91]
; %bb.7051:                             ;   in Loop: Header=BB6_6784 Depth=2
	v_mov_b32_e32 v2, -1
	v_cmp_gt_i16_sdwa s[18:19], sext(v16), v2 src0_sel:BYTE_0 src1_sel:DWORD
	v_mov_b32_e32 v2, 0xff800000
	v_mov_b32_e32 v4, 0x7f800000
	v_cndmask_b32_e64 v2, v2, v4, s[18:19]
	v_cmp_eq_u32_e64 s[18:19], 0, v3
	v_mov_b32_e32 v3, 0x7f800001
	v_cndmask_b32_e64 v2, v3, v2, s[18:19]
; %bb.7052:                             ;   in Loop: Header=BB6_6784 Depth=2
	s_or_b64 exec, exec, s[90:91]
.LBB6_7053:                             ;   in Loop: Header=BB6_6784 Depth=2
	s_or_b64 exec, exec, s[22:23]
.LBB6_7054:                             ;   in Loop: Header=BB6_6784 Depth=2
	s_or_b64 exec, exec, s[20:21]
	v_cmp_gt_i16_sdwa s[20:21], v12, s54 src0_sel:BYTE_0 src1_sel:DWORD
	s_mov_b64 s[18:19], 0
	s_and_saveexec_b64 s[22:23], s[20:21]
	s_xor_b64 s[20:21], exec, s[22:23]
	s_cbranch_execz .LBB6_7317
; %bb.7055:                             ;   in Loop: Header=BB6_6784 Depth=2
	v_cmp_eq_u16_sdwa s[90:91], v12, s52 src0_sel:BYTE_0 src1_sel:DWORD
	s_mov_b64 s[18:19], -1
	s_and_saveexec_b64 s[22:23], s[90:91]
; %bb.7056:                             ;   in Loop: Header=BB6_6784 Depth=2
	s_xor_b64 s[18:19], exec, -1
; %bb.7057:                             ;   in Loop: Header=BB6_6784 Depth=2
	s_or_b64 exec, exec, s[22:23]
	s_and_b64 s[18:19], s[18:19], exec
	s_or_saveexec_b64 s[20:21], s[20:21]
	v_bfrev_b32_e32 v3, 1
	s_xor_b64 exec, exec, s[20:21]
	s_cbranch_execnz .LBB6_7318
.LBB6_7058:                             ;   in Loop: Header=BB6_6784 Depth=2
	s_or_b64 exec, exec, s[20:21]
	s_and_saveexec_b64 s[90:91], s[18:19]
	s_cbranch_execz .LBB6_7060
.LBB6_7059:                             ;   in Loop: Header=BB6_6784 Depth=2
	v_and_b32_e32 v5, 3, v12
	v_and_b32_e32 v3, 0x7c, v12
	v_cmp_eq_u32_e64 s[18:19], s50, v3
	v_ffbh_u32_e32 v3, v5
	v_min_u32_e32 v11, 32, v3
	v_subrev_u32_e32 v3, 29, v11
	v_bfe_u32 v6, v12, 2, 5
	v_lshlrev_b64 v[3:4], v3, v[12:13]
	v_cmp_eq_u32_e64 s[20:21], 0, v6
	v_sub_u32_e32 v4, 30, v11
	v_cndmask_b32_e64 v4, v6, v4, s[20:21]
	v_lshlrev_b32_e32 v6, 24, v12
	v_and_b32_e32 v3, 3, v3
	v_and_b32_e32 v6, 0x80000000, v6
	v_cndmask_b32_e64 v3, v5, v3, s[20:21]
	v_lshl_add_u32 v4, v4, 23, v6
	v_lshl_or_b32 v3, v3, 21, v4
	v_mov_b32_e32 v4, -1
	v_cmp_eq_u32_e64 s[20:21], 0, v5
	v_cmp_gt_i16_sdwa s[22:23], sext(v12), v4 src0_sel:BYTE_0 src1_sel:DWORD
	v_mov_b32_e32 v4, 0xff800000
	v_mov_b32_e32 v5, 0x7f800000
	v_cndmask_b32_e64 v4, v4, v5, s[22:23]
	v_mov_b32_e32 v5, 0x7f800001
	v_add_u32_e32 v3, 0x38000000, v3
	v_cndmask_b32_e64 v4, v5, v4, s[20:21]
	v_cndmask_b32_e64 v3, v3, v4, s[18:19]
.LBB6_7060:                             ;   in Loop: Header=BB6_6784 Depth=2
	s_or_b64 exec, exec, s[90:91]
	v_mul_f32_e32 v2, v2, v3
	v_and_b32_e32 v3, 0x7f800000, v2
	v_mov_b32_e32 v4, v28
	v_cmp_ne_u64_e64 s[18:19], s[58:59], v[3:4]
	v_and_b32_e32 v27, 0x7fffff, v2
                                        ; implicit-def: $vgpr11
	s_and_saveexec_b64 s[20:21], s[18:19]
	s_xor_b64 s[22:23], exec, s[20:21]
	s_cbranch_execz .LBB6_7074
; %bb.7061:                             ;   in Loop: Header=BB6_6784 Depth=2
	v_and_b32_e32 v3, 0x7fffffff, v2
	v_mov_b32_e32 v4, v28
	v_cmp_gt_u64_e64 s[18:19], s[60:61], v[3:4]
	v_and_b32_sdwa v5, v2, s52 dst_sel:DWORD dst_unused:UNUSED_PAD src0_sel:BYTE_3 src1_sel:DWORD
                                        ; implicit-def: $vgpr11
	s_and_saveexec_b64 s[20:21], s[18:19]
	s_xor_b64 s[90:91], exec, s[20:21]
	s_cbranch_execz .LBB6_7071
; %bb.7062:                             ;   in Loop: Header=BB6_6784 Depth=2
	v_mov_b32_e32 v11, 0
	v_cmp_ne_u32_e64 s[18:19], 0, v2
	s_and_saveexec_b64 s[92:93], s[18:19]
	s_cbranch_execz .LBB6_7070
; %bb.7063:                             ;   in Loop: Header=BB6_6784 Depth=2
	v_bfe_u32 v6, v2, 23, 8
	v_cmp_gt_u32_e64 s[20:21], s53, v6
	v_sub_u32_e32 v2, 0x71, v6
	v_cmp_eq_u32_e64 s[18:19], 0, v6
	v_cndmask_b32_e64 v2, 0, v2, s[20:21]
	v_mov_b32_e32 v4, 0x70
	v_cndmask_b32_e64 v11, v2, v4, s[18:19]
	v_add_u32_e32 v4, 21, v11
	v_or_b32_e32 v3, 0x800000, v27
	v_lshlrev_b64 v[14:15], v4, -1
	v_cndmask_b32_e64 v2, v3, v27, s[18:19]
	v_mov_b32_e32 v3, v28
	v_add_u32_e32 v4, 20, v11
	v_bfi_b32 v14, v14, 0, v2
	v_lshlrev_b64 v[32:33], v4, 1
	v_lshrrev_b64 v[2:3], v11, v[2:3]
	v_bfi_b32 v15, v15, 0, 0
	v_cmp_eq_u64_e64 s[20:21], v[14:15], v[32:33]
	v_mov_b32_e32 v4, v3
	v_mov_b32_e32 v3, v2
	s_and_saveexec_b64 s[94:95], s[20:21]
; %bb.7064:                             ;   in Loop: Header=BB6_6784 Depth=2
	v_bfe_u32 v3, v2, 21, 1
	v_add_co_u32_e64 v3, s[20:21], v2, v3
	v_add_co_u32_e64 v3, s[20:21], -1, v3
; %bb.7065:                             ;   in Loop: Header=BB6_6784 Depth=2
	s_or_b64 exec, exec, s[94:95]
	v_add_u32_e32 v4, 0xffffff81, v6
	v_mov_b32_e32 v6, 0xffffff82
	v_cndmask_b32_e64 v4, v4, v6, s[18:19]
	v_lshrrev_b32_e32 v6, 23, v2
	v_add3_u32 v11, v11, v4, v6
	v_add_u32_e32 v6, 14, v11
	v_and_b32_e32 v3, 0x1fffff, v3
	v_add_u32_e32 v27, v3, v2
	v_cmp_ne_u32_e64 s[18:19], 0, v6
                                        ; implicit-def: $vgpr2_vgpr3
                                        ; implicit-def: $vgpr4
	s_and_saveexec_b64 s[20:21], s[18:19]
	s_xor_b64 s[20:21], exec, s[20:21]
; %bb.7066:                             ;   in Loop: Header=BB6_6784 Depth=2
	v_cmp_lt_u64_e64 s[18:19], s[62:63], v[27:28]
	v_add_u32_e32 v2, 15, v11
	v_cndmask_b32_e64 v4, v6, v2, s[18:19]
	v_cndmask_b32_e64 v2, 0, 1, s[18:19]
	v_lshrrev_b64 v[2:3], v2, v[27:28]
; %bb.7067:                             ;   in Loop: Header=BB6_6784 Depth=2
	s_andn2_saveexec_b64 s[18:19], s[20:21]
; %bb.7068:                             ;   in Loop: Header=BB6_6784 Depth=2
	v_mov_b32_e32 v2, v27
	v_mov_b32_e32 v3, v28
	v_bfe_u32 v4, v27, 23, 1
; %bb.7069:                             ;   in Loop: Header=BB6_6784 Depth=2
	s_or_b64 exec, exec, s[18:19]
	v_lshrrev_b64 v[2:3], 21, v[2:3]
	v_cmp_gt_i32_e64 s[18:19], 32, v4
	v_cndmask_b32_e64 v3, 0, v3, s[18:19]
	v_cndmask_b32_e64 v2, 3, v2, s[18:19]
	v_cmp_eq_u64_e64 s[20:21], 0, v[2:3]
	v_min_i32_e32 v3, 31, v4
	v_lshlrev_b32_e32 v3, 2, v3
	v_cmp_eq_u32_e64 s[18:19], 0, v4
	v_and_b32_e32 v3, 0xfc, v3
	v_and_or_b32 v2, v2, 3, v3
	s_and_b64 s[18:19], s[18:19], s[20:21]
	v_cndmask_b32_e64 v2, v2, 0, s[18:19]
	v_or_b32_e32 v11, v2, v5
.LBB6_7070:                             ;   in Loop: Header=BB6_6784 Depth=2
	s_or_b64 exec, exec, s[92:93]
                                        ; implicit-def: $vgpr5
.LBB6_7071:                             ;   in Loop: Header=BB6_6784 Depth=2
	s_andn2_saveexec_b64 s[18:19], s[90:91]
; %bb.7072:                             ;   in Loop: Header=BB6_6784 Depth=2
	v_or_b32_e32 v11, 0x7b, v5
; %bb.7073:                             ;   in Loop: Header=BB6_6784 Depth=2
	s_or_b64 exec, exec, s[18:19]
                                        ; implicit-def: $vgpr2
.LBB6_7074:                             ;   in Loop: Header=BB6_6784 Depth=2
	s_andn2_saveexec_b64 s[20:21], s[22:23]
	s_cbranch_execz .LBB6_7080
; %bb.7075:                             ;   in Loop: Header=BB6_6784 Depth=2
	v_cmp_ne_u64_e64 s[18:19], 0, v[27:28]
                                        ; implicit-def: $vgpr11
	s_and_saveexec_b64 s[22:23], s[18:19]
	s_xor_b64 s[18:19], exec, s[22:23]
; %bb.7076:                             ;   in Loop: Header=BB6_6784 Depth=2
	v_or_b32_sdwa v11, v2, s54 dst_sel:DWORD dst_unused:UNUSED_PAD src0_sel:BYTE_3 src1_sel:DWORD
                                        ; implicit-def: $vgpr2
; %bb.7077:                             ;   in Loop: Header=BB6_6784 Depth=2
	s_andn2_saveexec_b64 s[22:23], s[18:19]
; %bb.7078:                             ;   in Loop: Header=BB6_6784 Depth=2
	v_cmp_lt_i32_e64 s[18:19], -1, v2
	v_bfrev_b32_e32 v2, 0.5
	v_mov_b32_e32 v3, 0x7c
	v_cndmask_b32_e64 v11, v2, v3, s[18:19]
; %bb.7079:                             ;   in Loop: Header=BB6_6784 Depth=2
	s_or_b64 exec, exec, s[22:23]
.LBB6_7080:                             ;   in Loop: Header=BB6_6784 Depth=2
	s_or_b64 exec, exec, s[20:21]
	v_lshrrev_b16_e32 v2, 8, v16
	v_cmp_ne_u16_e64 s[18:19], 0, v2
	v_mov_b32_e32 v4, 0
	s_and_saveexec_b64 s[20:21], s[18:19]
	s_cbranch_execz .LBB6_7088
; %bb.7081:                             ;   in Loop: Header=BB6_6784 Depth=2
	v_cmp_ne_u16_e64 s[18:19], s52, v2
	v_bfrev_b32_e32 v4, 1
	s_and_saveexec_b64 s[22:23], s[18:19]
	s_cbranch_execz .LBB6_7087
; %bb.7082:                             ;   in Loop: Header=BB6_6784 Depth=2
	v_and_b32_e32 v3, 0x7c, v2
	v_and_b32_e32 v5, 3, v2
	v_cmp_ne_u32_e64 s[18:19], s50, v3
                                        ; implicit-def: $vgpr4
	s_and_saveexec_b64 s[90:91], s[18:19]
	s_xor_b64 s[90:91], exec, s[90:91]
	s_cbranch_execz .LBB6_7084
; %bb.7083:                             ;   in Loop: Header=BB6_6784 Depth=2
	v_ffbh_u32_e32 v6, v5
	v_min_u32_e32 v6, 32, v6
	v_mov_b32_e32 v3, v28
	v_subrev_u32_e32 v14, 29, v6
	v_bfe_u32 v4, v2, 2, 5
	v_lshlrev_b64 v[2:3], v14, v[2:3]
	v_sub_u32_e32 v3, 30, v6
	v_cmp_eq_u32_e64 s[18:19], 0, v4
	v_cndmask_b32_e64 v3, v4, v3, s[18:19]
	v_lshlrev_b32_e32 v4, 16, v16
	v_and_b32_e32 v2, 3, v2
	v_and_b32_e32 v4, 0x80000000, v4
	v_cndmask_b32_e64 v2, v5, v2, s[18:19]
	v_lshl_add_u32 v3, v3, 23, v4
	v_lshl_or_b32 v2, v2, 21, v3
	v_add_u32_e32 v4, 0x38000000, v2
                                        ; implicit-def: $vgpr5
.LBB6_7084:                             ;   in Loop: Header=BB6_6784 Depth=2
	s_andn2_saveexec_b64 s[90:91], s[90:91]
; %bb.7085:                             ;   in Loop: Header=BB6_6784 Depth=2
	v_cmp_lt_i16_e64 s[18:19], -1, v16
	v_mov_b32_e32 v2, 0xff800000
	v_mov_b32_e32 v3, 0x7f800000
	v_cndmask_b32_e64 v2, v2, v3, s[18:19]
	v_cmp_eq_u32_e64 s[18:19], 0, v5
	v_mov_b32_e32 v3, 0x7f800001
	v_cndmask_b32_e64 v4, v3, v2, s[18:19]
; %bb.7086:                             ;   in Loop: Header=BB6_6784 Depth=2
	s_or_b64 exec, exec, s[90:91]
.LBB6_7087:                             ;   in Loop: Header=BB6_6784 Depth=2
	s_or_b64 exec, exec, s[22:23]
.LBB6_7088:                             ;   in Loop: Header=BB6_6784 Depth=2
	s_or_b64 exec, exec, s[20:21]
	v_lshrrev_b16_e32 v2, 8, v12
	v_cmp_lt_i16_e64 s[18:19], s54, v2
	s_mov_b64 s[20:21], 0
	s_and_saveexec_b64 s[22:23], s[18:19]
	s_xor_b64 s[22:23], exec, s[22:23]
	s_cbranch_execz .LBB6_7319
; %bb.7089:                             ;   in Loop: Header=BB6_6784 Depth=2
	v_cmp_eq_u16_e64 s[18:19], s52, v2
	s_mov_b64 s[20:21], -1
	s_and_saveexec_b64 s[90:91], s[18:19]
; %bb.7090:                             ;   in Loop: Header=BB6_6784 Depth=2
	s_xor_b64 s[20:21], exec, -1
; %bb.7091:                             ;   in Loop: Header=BB6_6784 Depth=2
	s_or_b64 exec, exec, s[90:91]
	s_and_b64 s[20:21], s[20:21], exec
	s_or_saveexec_b64 s[22:23], s[22:23]
	v_bfrev_b32_e32 v3, 1
	s_xor_b64 exec, exec, s[22:23]
	s_cbranch_execnz .LBB6_7320
.LBB6_7092:                             ;   in Loop: Header=BB6_6784 Depth=2
	s_or_b64 exec, exec, s[22:23]
	s_and_saveexec_b64 s[90:91], s[20:21]
	s_cbranch_execz .LBB6_7094
.LBB6_7093:                             ;   in Loop: Header=BB6_6784 Depth=2
	v_and_b32_e32 v14, 3, v2
	v_and_b32_e32 v5, 0x7c, v2
	v_cmp_eq_u32_e64 s[18:19], s50, v5
	v_ffbh_u32_e32 v5, v14
	v_min_u32_e32 v27, 32, v5
	v_mov_b32_e32 v3, v28
	v_subrev_u32_e32 v5, 29, v27
	v_bfe_u32 v15, v2, 2, 5
	v_lshlrev_b64 v[5:6], v5, v[2:3]
	v_cmp_eq_u32_e64 s[20:21], 0, v15
	v_sub_u32_e32 v3, 30, v27
	v_lshlrev_b32_e32 v2, 24, v2
	v_and_b32_e32 v5, 3, v5
	v_cndmask_b32_e64 v3, v15, v3, s[20:21]
	v_and_b32_e32 v2, 0x80000000, v2
	v_cndmask_b32_e64 v5, v14, v5, s[20:21]
	v_lshl_add_u32 v2, v3, 23, v2
	v_lshl_or_b32 v2, v5, 21, v2
	v_cmp_lt_i16_e64 s[22:23], -1, v12
	v_mov_b32_e32 v3, 0xff800000
	v_mov_b32_e32 v5, 0x7f800000
	v_cmp_eq_u32_e64 s[20:21], 0, v14
	v_cndmask_b32_e64 v3, v3, v5, s[22:23]
	v_mov_b32_e32 v5, 0x7f800001
	v_add_u32_e32 v2, 0x38000000, v2
	v_cndmask_b32_e64 v3, v5, v3, s[20:21]
	v_cndmask_b32_e64 v3, v2, v3, s[18:19]
.LBB6_7094:                             ;   in Loop: Header=BB6_6784 Depth=2
	s_or_b64 exec, exec, s[90:91]
	v_mul_f32_e32 v2, v4, v3
	v_and_b32_e32 v3, 0x7f800000, v2
	v_mov_b32_e32 v4, v28
	v_cmp_ne_u64_e64 s[18:19], s[58:59], v[3:4]
	v_and_b32_e32 v27, 0x7fffff, v2
                                        ; implicit-def: $vgpr14
	s_and_saveexec_b64 s[20:21], s[18:19]
	s_xor_b64 s[22:23], exec, s[20:21]
	s_cbranch_execz .LBB6_7108
; %bb.7095:                             ;   in Loop: Header=BB6_6784 Depth=2
	v_and_b32_e32 v3, 0x7fffffff, v2
	v_mov_b32_e32 v4, v28
	v_cmp_gt_u64_e64 s[18:19], s[60:61], v[3:4]
	v_and_b32_sdwa v5, v2, s52 dst_sel:DWORD dst_unused:UNUSED_PAD src0_sel:BYTE_3 src1_sel:DWORD
                                        ; implicit-def: $vgpr14
	s_and_saveexec_b64 s[20:21], s[18:19]
	s_xor_b64 s[90:91], exec, s[20:21]
	s_cbranch_execz .LBB6_7105
; %bb.7096:                             ;   in Loop: Header=BB6_6784 Depth=2
	v_mov_b32_e32 v14, 0
	v_cmp_ne_u32_e64 s[18:19], 0, v2
	s_and_saveexec_b64 s[92:93], s[18:19]
	s_cbranch_execz .LBB6_7104
; %bb.7097:                             ;   in Loop: Header=BB6_6784 Depth=2
	v_bfe_u32 v6, v2, 23, 8
	v_cmp_gt_u32_e64 s[20:21], s53, v6
	v_sub_u32_e32 v2, 0x71, v6
	v_cmp_eq_u32_e64 s[18:19], 0, v6
	v_cndmask_b32_e64 v2, 0, v2, s[20:21]
	v_mov_b32_e32 v4, 0x70
	v_cndmask_b32_e64 v14, v2, v4, s[18:19]
	v_add_u32_e32 v4, 21, v14
	v_or_b32_e32 v3, 0x800000, v27
	v_lshlrev_b64 v[32:33], v4, -1
	v_cndmask_b32_e64 v2, v3, v27, s[18:19]
	v_mov_b32_e32 v3, v28
	v_add_u32_e32 v4, 20, v14
	v_bfi_b32 v32, v32, 0, v2
	v_lshlrev_b64 v[34:35], v4, 1
	v_lshrrev_b64 v[2:3], v14, v[2:3]
	v_bfi_b32 v33, v33, 0, 0
	v_cmp_eq_u64_e64 s[20:21], v[32:33], v[34:35]
	v_mov_b32_e32 v4, v3
	v_mov_b32_e32 v3, v2
	s_and_saveexec_b64 s[94:95], s[20:21]
; %bb.7098:                             ;   in Loop: Header=BB6_6784 Depth=2
	v_bfe_u32 v3, v2, 21, 1
	v_add_co_u32_e64 v3, s[20:21], v2, v3
	v_add_co_u32_e64 v3, s[20:21], -1, v3
; %bb.7099:                             ;   in Loop: Header=BB6_6784 Depth=2
	s_or_b64 exec, exec, s[94:95]
	v_add_u32_e32 v4, 0xffffff81, v6
	v_mov_b32_e32 v6, 0xffffff82
	v_cndmask_b32_e64 v4, v4, v6, s[18:19]
	v_lshrrev_b32_e32 v6, 23, v2
	v_add3_u32 v14, v14, v4, v6
	v_add_u32_e32 v6, 14, v14
	v_and_b32_e32 v3, 0x1fffff, v3
	v_add_u32_e32 v27, v3, v2
	v_cmp_ne_u32_e64 s[18:19], 0, v6
                                        ; implicit-def: $vgpr2_vgpr3
                                        ; implicit-def: $vgpr4
	s_and_saveexec_b64 s[20:21], s[18:19]
	s_xor_b64 s[20:21], exec, s[20:21]
; %bb.7100:                             ;   in Loop: Header=BB6_6784 Depth=2
	v_cmp_lt_u64_e64 s[18:19], s[62:63], v[27:28]
	v_add_u32_e32 v2, 15, v14
	v_cndmask_b32_e64 v4, v6, v2, s[18:19]
	v_cndmask_b32_e64 v2, 0, 1, s[18:19]
	v_lshrrev_b64 v[2:3], v2, v[27:28]
; %bb.7101:                             ;   in Loop: Header=BB6_6784 Depth=2
	s_andn2_saveexec_b64 s[18:19], s[20:21]
; %bb.7102:                             ;   in Loop: Header=BB6_6784 Depth=2
	v_mov_b32_e32 v2, v27
	v_mov_b32_e32 v3, v28
	v_bfe_u32 v4, v27, 23, 1
; %bb.7103:                             ;   in Loop: Header=BB6_6784 Depth=2
	s_or_b64 exec, exec, s[18:19]
	v_lshrrev_b64 v[2:3], 21, v[2:3]
	v_cmp_gt_i32_e64 s[18:19], 32, v4
	v_cndmask_b32_e64 v3, 0, v3, s[18:19]
	v_cndmask_b32_e64 v2, 3, v2, s[18:19]
	v_cmp_eq_u64_e64 s[20:21], 0, v[2:3]
	v_min_i32_e32 v3, 31, v4
	v_lshlrev_b32_e32 v3, 2, v3
	v_cmp_eq_u32_e64 s[18:19], 0, v4
	v_and_b32_e32 v3, 0xfc, v3
	v_and_or_b32 v2, v2, 3, v3
	s_and_b64 s[18:19], s[18:19], s[20:21]
	v_cndmask_b32_e64 v2, v2, 0, s[18:19]
	v_or_b32_e32 v14, v2, v5
.LBB6_7104:                             ;   in Loop: Header=BB6_6784 Depth=2
	s_or_b64 exec, exec, s[92:93]
                                        ; implicit-def: $vgpr5
.LBB6_7105:                             ;   in Loop: Header=BB6_6784 Depth=2
	s_andn2_saveexec_b64 s[18:19], s[90:91]
; %bb.7106:                             ;   in Loop: Header=BB6_6784 Depth=2
	v_or_b32_e32 v14, 0x7b, v5
; %bb.7107:                             ;   in Loop: Header=BB6_6784 Depth=2
	s_or_b64 exec, exec, s[18:19]
                                        ; implicit-def: $vgpr2
.LBB6_7108:                             ;   in Loop: Header=BB6_6784 Depth=2
	s_andn2_saveexec_b64 s[20:21], s[22:23]
	s_cbranch_execz .LBB6_7114
; %bb.7109:                             ;   in Loop: Header=BB6_6784 Depth=2
	v_cmp_ne_u64_e64 s[18:19], 0, v[27:28]
                                        ; implicit-def: $vgpr14
	s_and_saveexec_b64 s[22:23], s[18:19]
	s_xor_b64 s[18:19], exec, s[22:23]
; %bb.7110:                             ;   in Loop: Header=BB6_6784 Depth=2
	v_or_b32_sdwa v14, v2, s54 dst_sel:DWORD dst_unused:UNUSED_PAD src0_sel:BYTE_3 src1_sel:DWORD
                                        ; implicit-def: $vgpr2
; %bb.7111:                             ;   in Loop: Header=BB6_6784 Depth=2
	s_andn2_saveexec_b64 s[22:23], s[18:19]
; %bb.7112:                             ;   in Loop: Header=BB6_6784 Depth=2
	v_cmp_lt_i32_e64 s[18:19], -1, v2
	v_bfrev_b32_e32 v2, 0.5
	v_mov_b32_e32 v3, 0x7c
	v_cndmask_b32_e64 v14, v2, v3, s[18:19]
; %bb.7113:                             ;   in Loop: Header=BB6_6784 Depth=2
	s_or_b64 exec, exec, s[22:23]
.LBB6_7114:                             ;   in Loop: Header=BB6_6784 Depth=2
	s_or_b64 exec, exec, s[20:21]
	v_lshrrev_b32_e32 v2, 16, v16
	v_cmp_ne_u16_sdwa s[18:19], v2, v28 src0_sel:BYTE_0 src1_sel:DWORD
	v_mov_b32_e32 v3, 0
	s_and_saveexec_b64 s[20:21], s[18:19]
	s_cbranch_execz .LBB6_7122
; %bb.7115:                             ;   in Loop: Header=BB6_6784 Depth=2
	v_cmp_ne_u16_sdwa s[18:19], v2, s52 src0_sel:BYTE_0 src1_sel:DWORD
	v_bfrev_b32_e32 v3, 1
	s_and_saveexec_b64 s[22:23], s[18:19]
	s_cbranch_execz .LBB6_7121
; %bb.7116:                             ;   in Loop: Header=BB6_6784 Depth=2
	v_and_b32_e32 v3, 0x7c0000, v16
	v_bfe_u32 v4, v16, 16, 2
	v_cmp_ne_u32_e64 s[18:19], s55, v3
                                        ; implicit-def: $vgpr3
	s_and_saveexec_b64 s[90:91], s[18:19]
	s_xor_b64 s[90:91], exec, s[90:91]
	s_cbranch_execz .LBB6_7118
; %bb.7117:                             ;   in Loop: Header=BB6_6784 Depth=2
	v_ffbh_u32_e32 v3, v4
	v_min_u32_e32 v6, 32, v3
	v_subrev_u32_e32 v3, 29, v6
	v_lshlrev_b64 v[2:3], v3, v[2:3]
	v_bfe_u32 v5, v16, 18, 5
	v_and_b32_e32 v2, 3, v2
	v_cmp_eq_u32_e64 s[18:19], 0, v5
	v_sub_u32_e32 v3, 30, v6
	v_cndmask_b32_e64 v2, v4, v2, s[18:19]
	v_lshlrev_b32_e32 v4, 8, v16
	v_cndmask_b32_e64 v3, v5, v3, s[18:19]
	v_and_b32_e32 v4, 0x80000000, v4
	v_lshl_add_u32 v3, v3, 23, v4
	v_lshl_or_b32 v2, v2, 21, v3
	v_add_u32_e32 v3, 0x38000000, v2
                                        ; implicit-def: $vgpr4
                                        ; implicit-def: $vgpr2
.LBB6_7118:                             ;   in Loop: Header=BB6_6784 Depth=2
	s_andn2_saveexec_b64 s[90:91], s[90:91]
; %bb.7119:                             ;   in Loop: Header=BB6_6784 Depth=2
	v_mov_b32_e32 v3, -1
	v_cmp_gt_i16_sdwa s[18:19], sext(v2), v3 src0_sel:BYTE_0 src1_sel:DWORD
	v_mov_b32_e32 v2, 0xff800000
	v_mov_b32_e32 v3, 0x7f800000
	v_cndmask_b32_e64 v2, v2, v3, s[18:19]
	v_cmp_eq_u32_e64 s[18:19], 0, v4
	v_mov_b32_e32 v3, 0x7f800001
	v_cndmask_b32_e64 v3, v3, v2, s[18:19]
; %bb.7120:                             ;   in Loop: Header=BB6_6784 Depth=2
	s_or_b64 exec, exec, s[90:91]
.LBB6_7121:                             ;   in Loop: Header=BB6_6784 Depth=2
	s_or_b64 exec, exec, s[22:23]
.LBB6_7122:                             ;   in Loop: Header=BB6_6784 Depth=2
	s_or_b64 exec, exec, s[20:21]
	v_lshrrev_b32_e32 v2, 16, v12
	v_cmp_gt_i16_sdwa s[20:21], v2, s54 src0_sel:BYTE_0 src1_sel:DWORD
	s_mov_b64 s[18:19], 0
	s_and_saveexec_b64 s[22:23], s[20:21]
	s_xor_b64 s[20:21], exec, s[22:23]
	s_cbranch_execz .LBB6_7321
; %bb.7123:                             ;   in Loop: Header=BB6_6784 Depth=2
	v_cmp_eq_u16_sdwa s[90:91], v2, s52 src0_sel:BYTE_0 src1_sel:DWORD
	s_mov_b64 s[18:19], -1
	s_and_saveexec_b64 s[22:23], s[90:91]
; %bb.7124:                             ;   in Loop: Header=BB6_6784 Depth=2
	s_xor_b64 s[18:19], exec, -1
; %bb.7125:                             ;   in Loop: Header=BB6_6784 Depth=2
	s_or_b64 exec, exec, s[22:23]
	s_and_b64 s[18:19], s[18:19], exec
	s_or_saveexec_b64 s[20:21], s[20:21]
	v_bfrev_b32_e32 v4, 1
	s_xor_b64 exec, exec, s[20:21]
	s_cbranch_execnz .LBB6_7322
.LBB6_7126:                             ;   in Loop: Header=BB6_6784 Depth=2
	s_or_b64 exec, exec, s[20:21]
	s_and_saveexec_b64 s[90:91], s[18:19]
	s_cbranch_execz .LBB6_7128
.LBB6_7127:                             ;   in Loop: Header=BB6_6784 Depth=2
	v_and_b32_e32 v6, 3, v2
	v_and_b32_e32 v4, 0x7c0000, v12
	v_cmp_eq_u32_e64 s[18:19], s55, v4
	v_ffbh_u32_e32 v4, v6
	v_min_u32_e32 v27, 32, v4
	v_subrev_u32_e32 v4, 29, v27
	v_bfe_u32 v15, v12, 18, 5
	v_lshlrev_b64 v[4:5], v4, v[2:3]
	v_cmp_eq_u32_e64 s[20:21], 0, v15
	v_sub_u32_e32 v5, 30, v27
	v_cndmask_b32_e64 v5, v15, v5, s[20:21]
	v_lshlrev_b32_e32 v15, 24, v2
	v_and_b32_e32 v4, 3, v4
	v_and_b32_e32 v15, 0x80000000, v15
	v_cndmask_b32_e64 v4, v6, v4, s[20:21]
	v_lshl_add_u32 v5, v5, 23, v15
	v_lshl_or_b32 v4, v4, 21, v5
	v_mov_b32_e32 v5, -1
	v_cmp_gt_i16_sdwa s[22:23], sext(v2), v5 src0_sel:BYTE_0 src1_sel:DWORD
	v_mov_b32_e32 v2, 0xff800000
	v_mov_b32_e32 v5, 0x7f800000
	v_cmp_eq_u32_e64 s[20:21], 0, v6
	v_cndmask_b32_e64 v2, v2, v5, s[22:23]
	v_mov_b32_e32 v5, 0x7f800001
	v_add_u32_e32 v4, 0x38000000, v4
	v_cndmask_b32_e64 v2, v5, v2, s[20:21]
	v_cndmask_b32_e64 v4, v4, v2, s[18:19]
.LBB6_7128:                             ;   in Loop: Header=BB6_6784 Depth=2
	s_or_b64 exec, exec, s[90:91]
	v_mul_f32_e32 v2, v3, v4
	v_and_b32_e32 v3, 0x7f800000, v2
	v_mov_b32_e32 v4, v28
	v_cmp_ne_u64_e64 s[18:19], s[58:59], v[3:4]
	v_and_b32_e32 v27, 0x7fffff, v2
                                        ; implicit-def: $vgpr15
	s_and_saveexec_b64 s[20:21], s[18:19]
	s_xor_b64 s[22:23], exec, s[20:21]
	s_cbranch_execz .LBB6_7142
; %bb.7129:                             ;   in Loop: Header=BB6_6784 Depth=2
	v_and_b32_e32 v3, 0x7fffffff, v2
	v_mov_b32_e32 v4, v28
	v_cmp_gt_u64_e64 s[18:19], s[60:61], v[3:4]
	v_and_b32_sdwa v5, v2, s52 dst_sel:DWORD dst_unused:UNUSED_PAD src0_sel:BYTE_3 src1_sel:DWORD
                                        ; implicit-def: $vgpr15
	s_and_saveexec_b64 s[20:21], s[18:19]
	s_xor_b64 s[90:91], exec, s[20:21]
	s_cbranch_execz .LBB6_7139
; %bb.7130:                             ;   in Loop: Header=BB6_6784 Depth=2
	v_mov_b32_e32 v15, 0
	v_cmp_ne_u32_e64 s[18:19], 0, v2
	s_and_saveexec_b64 s[92:93], s[18:19]
	s_cbranch_execz .LBB6_7138
; %bb.7131:                             ;   in Loop: Header=BB6_6784 Depth=2
	v_bfe_u32 v6, v2, 23, 8
	v_cmp_gt_u32_e64 s[20:21], s53, v6
	v_sub_u32_e32 v2, 0x71, v6
	v_cmp_eq_u32_e64 s[18:19], 0, v6
	v_cndmask_b32_e64 v2, 0, v2, s[20:21]
	v_mov_b32_e32 v4, 0x70
	v_cndmask_b32_e64 v15, v2, v4, s[18:19]
	v_add_u32_e32 v4, 21, v15
	v_or_b32_e32 v3, 0x800000, v27
	v_lshlrev_b64 v[32:33], v4, -1
	v_cndmask_b32_e64 v2, v3, v27, s[18:19]
	v_mov_b32_e32 v3, v28
	v_add_u32_e32 v4, 20, v15
	v_bfi_b32 v32, v32, 0, v2
	v_lshlrev_b64 v[34:35], v4, 1
	v_lshrrev_b64 v[2:3], v15, v[2:3]
	v_bfi_b32 v33, v33, 0, 0
	v_cmp_eq_u64_e64 s[20:21], v[32:33], v[34:35]
	v_mov_b32_e32 v4, v3
	v_mov_b32_e32 v3, v2
	s_and_saveexec_b64 s[94:95], s[20:21]
; %bb.7132:                             ;   in Loop: Header=BB6_6784 Depth=2
	v_bfe_u32 v3, v2, 21, 1
	v_add_co_u32_e64 v3, s[20:21], v2, v3
	v_add_co_u32_e64 v3, s[20:21], -1, v3
; %bb.7133:                             ;   in Loop: Header=BB6_6784 Depth=2
	s_or_b64 exec, exec, s[94:95]
	v_add_u32_e32 v4, 0xffffff81, v6
	v_mov_b32_e32 v6, 0xffffff82
	v_cndmask_b32_e64 v4, v4, v6, s[18:19]
	v_lshrrev_b32_e32 v6, 23, v2
	v_add3_u32 v15, v15, v4, v6
	v_add_u32_e32 v6, 14, v15
	v_and_b32_e32 v3, 0x1fffff, v3
	v_add_u32_e32 v27, v3, v2
	v_cmp_ne_u32_e64 s[18:19], 0, v6
                                        ; implicit-def: $vgpr2_vgpr3
                                        ; implicit-def: $vgpr4
	s_and_saveexec_b64 s[20:21], s[18:19]
	s_xor_b64 s[20:21], exec, s[20:21]
; %bb.7134:                             ;   in Loop: Header=BB6_6784 Depth=2
	v_cmp_lt_u64_e64 s[18:19], s[62:63], v[27:28]
	v_add_u32_e32 v2, 15, v15
	v_cndmask_b32_e64 v4, v6, v2, s[18:19]
	v_cndmask_b32_e64 v2, 0, 1, s[18:19]
	v_lshrrev_b64 v[2:3], v2, v[27:28]
; %bb.7135:                             ;   in Loop: Header=BB6_6784 Depth=2
	s_andn2_saveexec_b64 s[18:19], s[20:21]
; %bb.7136:                             ;   in Loop: Header=BB6_6784 Depth=2
	v_mov_b32_e32 v2, v27
	v_mov_b32_e32 v3, v28
	v_bfe_u32 v4, v27, 23, 1
; %bb.7137:                             ;   in Loop: Header=BB6_6784 Depth=2
	s_or_b64 exec, exec, s[18:19]
	v_lshrrev_b64 v[2:3], 21, v[2:3]
	v_cmp_gt_i32_e64 s[18:19], 32, v4
	v_cndmask_b32_e64 v3, 0, v3, s[18:19]
	v_cndmask_b32_e64 v2, 3, v2, s[18:19]
	v_cmp_eq_u64_e64 s[20:21], 0, v[2:3]
	v_min_i32_e32 v3, 31, v4
	v_lshlrev_b32_e32 v3, 2, v3
	v_cmp_eq_u32_e64 s[18:19], 0, v4
	v_and_b32_e32 v3, 0xfc, v3
	v_and_or_b32 v2, v2, 3, v3
	s_and_b64 s[18:19], s[18:19], s[20:21]
	v_cndmask_b32_e64 v2, v2, 0, s[18:19]
	v_or_b32_e32 v15, v2, v5
.LBB6_7138:                             ;   in Loop: Header=BB6_6784 Depth=2
	s_or_b64 exec, exec, s[92:93]
                                        ; implicit-def: $vgpr5
.LBB6_7139:                             ;   in Loop: Header=BB6_6784 Depth=2
	s_andn2_saveexec_b64 s[18:19], s[90:91]
; %bb.7140:                             ;   in Loop: Header=BB6_6784 Depth=2
	v_or_b32_e32 v15, 0x7b, v5
; %bb.7141:                             ;   in Loop: Header=BB6_6784 Depth=2
	s_or_b64 exec, exec, s[18:19]
                                        ; implicit-def: $vgpr2
.LBB6_7142:                             ;   in Loop: Header=BB6_6784 Depth=2
	s_andn2_saveexec_b64 s[20:21], s[22:23]
	s_cbranch_execz .LBB6_7148
; %bb.7143:                             ;   in Loop: Header=BB6_6784 Depth=2
	v_cmp_ne_u64_e64 s[18:19], 0, v[27:28]
                                        ; implicit-def: $vgpr15
	s_and_saveexec_b64 s[22:23], s[18:19]
	s_xor_b64 s[18:19], exec, s[22:23]
; %bb.7144:                             ;   in Loop: Header=BB6_6784 Depth=2
	v_or_b32_sdwa v15, v2, s54 dst_sel:DWORD dst_unused:UNUSED_PAD src0_sel:BYTE_3 src1_sel:DWORD
                                        ; implicit-def: $vgpr2
; %bb.7145:                             ;   in Loop: Header=BB6_6784 Depth=2
	s_andn2_saveexec_b64 s[22:23], s[18:19]
; %bb.7146:                             ;   in Loop: Header=BB6_6784 Depth=2
	v_cmp_lt_i32_e64 s[18:19], -1, v2
	v_bfrev_b32_e32 v2, 0.5
	v_mov_b32_e32 v3, 0x7c
	v_cndmask_b32_e64 v15, v2, v3, s[18:19]
; %bb.7147:                             ;   in Loop: Header=BB6_6784 Depth=2
	s_or_b64 exec, exec, s[22:23]
.LBB6_7148:                             ;   in Loop: Header=BB6_6784 Depth=2
	s_or_b64 exec, exec, s[20:21]
	v_cmp_lt_u32_e64 s[18:19], s57, v16
	v_mov_b32_e32 v3, 0
	s_and_saveexec_b64 s[20:21], s[18:19]
	s_cbranch_execz .LBB6_7156
; %bb.7149:                             ;   in Loop: Header=BB6_6784 Depth=2
	v_lshrrev_b32_e32 v2, 24, v16
	v_cmp_ne_u32_e64 s[18:19], s52, v2
	v_bfrev_b32_e32 v3, 1
	s_and_saveexec_b64 s[22:23], s[18:19]
	s_cbranch_execz .LBB6_7155
; %bb.7150:                             ;   in Loop: Header=BB6_6784 Depth=2
	v_and_b32_e32 v3, 0x7c000000, v16
	v_bfe_u32 v4, v16, 24, 2
	v_cmp_ne_u32_e64 s[18:19], s64, v3
                                        ; implicit-def: $vgpr3
	s_and_saveexec_b64 s[90:91], s[18:19]
	s_xor_b64 s[90:91], exec, s[90:91]
	s_cbranch_execz .LBB6_7152
; %bb.7151:                             ;   in Loop: Header=BB6_6784 Depth=2
	v_ffbh_u32_e32 v3, v4
	v_min_u32_e32 v6, 32, v3
	v_subrev_u32_e32 v3, 29, v6
	v_lshlrev_b64 v[2:3], v3, v[2:3]
	v_bfe_u32 v5, v16, 26, 5
	v_sub_u32_e32 v3, 30, v6
	v_and_b32_e32 v2, 3, v2
	v_cmp_eq_u32_e64 s[18:19], 0, v5
	v_cndmask_b32_e64 v3, v5, v3, s[18:19]
	v_cndmask_b32_e64 v2, v4, v2, s[18:19]
	v_and_b32_e32 v4, 0x80000000, v16
	v_lshl_add_u32 v3, v3, 23, v4
	v_lshl_or_b32 v2, v2, 21, v3
	v_add_u32_e32 v3, 0x38000000, v2
                                        ; implicit-def: $vgpr4
.LBB6_7152:                             ;   in Loop: Header=BB6_6784 Depth=2
	s_andn2_saveexec_b64 s[90:91], s[90:91]
; %bb.7153:                             ;   in Loop: Header=BB6_6784 Depth=2
	v_cmp_lt_i32_e64 s[18:19], -1, v16
	v_mov_b32_e32 v2, 0xff800000
	v_mov_b32_e32 v3, 0x7f800000
	v_cndmask_b32_e64 v2, v2, v3, s[18:19]
	v_cmp_eq_u32_e64 s[18:19], 0, v4
	v_mov_b32_e32 v3, 0x7f800001
	v_cndmask_b32_e64 v3, v3, v2, s[18:19]
; %bb.7154:                             ;   in Loop: Header=BB6_6784 Depth=2
	s_or_b64 exec, exec, s[90:91]
.LBB6_7155:                             ;   in Loop: Header=BB6_6784 Depth=2
	s_or_b64 exec, exec, s[22:23]
.LBB6_7156:                             ;   in Loop: Header=BB6_6784 Depth=2
	s_or_b64 exec, exec, s[20:21]
	v_bfe_u32 v6, v12, 24, 2
	v_and_b32_e32 v4, 0x7c000000, v12
	v_cmp_eq_u32_e64 s[18:19], s64, v4
	v_ffbh_u32_e32 v4, v6
	v_min_u32_e32 v32, 32, v4
	v_lshrrev_b32_e32 v2, 24, v12
	v_subrev_u32_e32 v4, 29, v32
	v_bfe_u32 v27, v12, 26, 5
	v_lshlrev_b64 v[4:5], v4, v[2:3]
	v_cmp_eq_u32_e64 s[20:21], 0, v27
	v_sub_u32_e32 v5, 30, v32
	v_and_b32_e32 v4, 3, v4
	v_cndmask_b32_e64 v5, v27, v5, s[20:21]
	v_and_b32_e32 v27, 0x80000000, v12
	v_cndmask_b32_e64 v4, v6, v4, s[20:21]
	v_lshl_add_u32 v5, v5, 23, v27
	v_lshl_or_b32 v4, v4, 21, v5
	v_cmp_eq_u32_e64 s[20:21], 0, v6
	v_cmp_lt_i32_e64 s[22:23], -1, v12
	v_mov_b32_e32 v5, 0xff800000
	v_mov_b32_e32 v6, 0x7f800000
	v_cndmask_b32_e64 v5, v5, v6, s[22:23]
	v_mov_b32_e32 v6, 0x7f800001
	v_add_u32_e32 v4, 0x38000000, v4
	v_cndmask_b32_e64 v5, v6, v5, s[20:21]
	v_cndmask_b32_e64 v4, v4, v5, s[18:19]
	v_cmp_ne_u32_e64 s[18:19], s52, v2
	v_cndmask_b32_e64 v2, v45, v4, s[18:19]
	v_cmp_lt_u32_e64 s[18:19], s57, v12
	v_cndmask_b32_e64 v2, 0, v2, s[18:19]
	v_mul_f32_e32 v2, v2, v3
	v_and_b32_e32 v3, 0x7f800000, v2
	v_mov_b32_e32 v4, v28
	v_cmp_ne_u64_e64 s[18:19], s[58:59], v[3:4]
	v_and_b32_e32 v27, 0x7fffff, v2
                                        ; implicit-def: $vgpr32
	s_and_saveexec_b64 s[20:21], s[18:19]
	s_xor_b64 s[22:23], exec, s[20:21]
	s_cbranch_execz .LBB6_7170
; %bb.7157:                             ;   in Loop: Header=BB6_6784 Depth=2
	v_and_b32_e32 v3, 0x7fffffff, v2
	v_mov_b32_e32 v4, v28
	v_cmp_gt_u64_e64 s[18:19], s[60:61], v[3:4]
	v_and_b32_sdwa v5, v2, s52 dst_sel:DWORD dst_unused:UNUSED_PAD src0_sel:BYTE_3 src1_sel:DWORD
                                        ; implicit-def: $vgpr32
	s_and_saveexec_b64 s[20:21], s[18:19]
	s_xor_b64 s[90:91], exec, s[20:21]
	s_cbranch_execz .LBB6_7167
; %bb.7158:                             ;   in Loop: Header=BB6_6784 Depth=2
	v_mov_b32_e32 v32, 0
	v_cmp_ne_u32_e64 s[18:19], 0, v2
	s_and_saveexec_b64 s[92:93], s[18:19]
	s_cbranch_execz .LBB6_7166
; %bb.7159:                             ;   in Loop: Header=BB6_6784 Depth=2
	v_bfe_u32 v6, v2, 23, 8
	v_cmp_gt_u32_e64 s[20:21], s53, v6
	v_sub_u32_e32 v2, 0x71, v6
	v_cmp_eq_u32_e64 s[18:19], 0, v6
	v_cndmask_b32_e64 v2, 0, v2, s[20:21]
	v_mov_b32_e32 v4, 0x70
	v_cndmask_b32_e64 v32, v2, v4, s[18:19]
	v_add_u32_e32 v4, 21, v32
	v_or_b32_e32 v3, 0x800000, v27
	v_lshlrev_b64 v[33:34], v4, -1
	v_cndmask_b32_e64 v2, v3, v27, s[18:19]
	v_mov_b32_e32 v3, v28
	v_add_u32_e32 v4, 20, v32
	v_bfi_b32 v33, v33, 0, v2
	v_lshlrev_b64 v[35:36], v4, 1
	v_lshrrev_b64 v[2:3], v32, v[2:3]
	v_bfi_b32 v34, v34, 0, 0
	v_cmp_eq_u64_e64 s[20:21], v[33:34], v[35:36]
	v_mov_b32_e32 v4, v3
	v_mov_b32_e32 v3, v2
	s_and_saveexec_b64 s[94:95], s[20:21]
; %bb.7160:                             ;   in Loop: Header=BB6_6784 Depth=2
	v_bfe_u32 v3, v2, 21, 1
	v_add_co_u32_e64 v3, s[20:21], v2, v3
	v_add_co_u32_e64 v3, s[20:21], -1, v3
; %bb.7161:                             ;   in Loop: Header=BB6_6784 Depth=2
	s_or_b64 exec, exec, s[94:95]
	v_add_u32_e32 v4, 0xffffff81, v6
	v_mov_b32_e32 v6, 0xffffff82
	v_cndmask_b32_e64 v4, v4, v6, s[18:19]
	v_lshrrev_b32_e32 v6, 23, v2
	v_add3_u32 v32, v32, v4, v6
	v_add_u32_e32 v6, 14, v32
	v_and_b32_e32 v3, 0x1fffff, v3
	v_add_u32_e32 v27, v3, v2
	v_cmp_ne_u32_e64 s[18:19], 0, v6
                                        ; implicit-def: $vgpr2_vgpr3
                                        ; implicit-def: $vgpr4
	s_and_saveexec_b64 s[20:21], s[18:19]
	s_xor_b64 s[20:21], exec, s[20:21]
; %bb.7162:                             ;   in Loop: Header=BB6_6784 Depth=2
	v_cmp_lt_u64_e64 s[18:19], s[62:63], v[27:28]
	v_add_u32_e32 v2, 15, v32
	v_cndmask_b32_e64 v4, v6, v2, s[18:19]
	v_cndmask_b32_e64 v2, 0, 1, s[18:19]
	v_lshrrev_b64 v[2:3], v2, v[27:28]
; %bb.7163:                             ;   in Loop: Header=BB6_6784 Depth=2
	s_andn2_saveexec_b64 s[18:19], s[20:21]
; %bb.7164:                             ;   in Loop: Header=BB6_6784 Depth=2
	v_mov_b32_e32 v2, v27
	v_mov_b32_e32 v3, v28
	v_bfe_u32 v4, v27, 23, 1
; %bb.7165:                             ;   in Loop: Header=BB6_6784 Depth=2
	s_or_b64 exec, exec, s[18:19]
	v_lshrrev_b64 v[2:3], 21, v[2:3]
	v_cmp_gt_i32_e64 s[18:19], 32, v4
	v_cndmask_b32_e64 v3, 0, v3, s[18:19]
	v_cndmask_b32_e64 v2, 3, v2, s[18:19]
	v_cmp_eq_u64_e64 s[20:21], 0, v[2:3]
	v_min_i32_e32 v3, 31, v4
	v_lshlrev_b32_e32 v3, 2, v3
	v_cmp_eq_u32_e64 s[18:19], 0, v4
	v_and_b32_e32 v3, 0xfc, v3
	v_and_or_b32 v2, v2, 3, v3
	s_and_b64 s[18:19], s[18:19], s[20:21]
	v_cndmask_b32_e64 v2, v2, 0, s[18:19]
	v_or_b32_e32 v32, v2, v5
.LBB6_7166:                             ;   in Loop: Header=BB6_6784 Depth=2
	s_or_b64 exec, exec, s[92:93]
                                        ; implicit-def: $vgpr5
.LBB6_7167:                             ;   in Loop: Header=BB6_6784 Depth=2
	s_andn2_saveexec_b64 s[18:19], s[90:91]
; %bb.7168:                             ;   in Loop: Header=BB6_6784 Depth=2
	v_or_b32_e32 v32, 0x7b, v5
; %bb.7169:                             ;   in Loop: Header=BB6_6784 Depth=2
	s_or_b64 exec, exec, s[18:19]
                                        ; implicit-def: $vgpr2
.LBB6_7170:                             ;   in Loop: Header=BB6_6784 Depth=2
	s_andn2_saveexec_b64 s[20:21], s[22:23]
	s_cbranch_execz .LBB6_7176
; %bb.7171:                             ;   in Loop: Header=BB6_6784 Depth=2
	v_cmp_ne_u64_e64 s[18:19], 0, v[27:28]
                                        ; implicit-def: $vgpr32
	s_and_saveexec_b64 s[22:23], s[18:19]
	s_xor_b64 s[18:19], exec, s[22:23]
; %bb.7172:                             ;   in Loop: Header=BB6_6784 Depth=2
	v_or_b32_sdwa v32, v2, s54 dst_sel:DWORD dst_unused:UNUSED_PAD src0_sel:BYTE_3 src1_sel:DWORD
                                        ; implicit-def: $vgpr2
; %bb.7173:                             ;   in Loop: Header=BB6_6784 Depth=2
	s_andn2_saveexec_b64 s[22:23], s[18:19]
; %bb.7174:                             ;   in Loop: Header=BB6_6784 Depth=2
	v_cmp_lt_i32_e64 s[18:19], -1, v2
	v_bfrev_b32_e32 v2, 0.5
	v_mov_b32_e32 v3, 0x7c
	v_cndmask_b32_e64 v32, v2, v3, s[18:19]
; %bb.7175:                             ;   in Loop: Header=BB6_6784 Depth=2
	s_or_b64 exec, exec, s[22:23]
.LBB6_7176:                             ;   in Loop: Header=BB6_6784 Depth=2
	s_or_b64 exec, exec, s[20:21]
	v_mov_b32_e32 v27, v17
	v_cmp_ne_u16_sdwa s[18:19], v17, v28 src0_sel:BYTE_0 src1_sel:DWORD
	v_mov_b32_e32 v2, 0
	s_and_saveexec_b64 s[20:21], s[18:19]
	s_cbranch_execz .LBB6_7184
; %bb.7177:                             ;   in Loop: Header=BB6_6784 Depth=2
	v_cmp_ne_u16_sdwa s[18:19], v17, s52 src0_sel:BYTE_0 src1_sel:DWORD
	v_bfrev_b32_e32 v2, 1
	s_and_saveexec_b64 s[22:23], s[18:19]
	s_cbranch_execz .LBB6_7183
; %bb.7178:                             ;   in Loop: Header=BB6_6784 Depth=2
	v_and_b32_e32 v2, 0x7c, v17
	v_and_b32_e32 v3, 3, v17
	v_cmp_ne_u32_e64 s[18:19], s50, v2
                                        ; implicit-def: $vgpr2
	s_and_saveexec_b64 s[90:91], s[18:19]
	s_xor_b64 s[90:91], exec, s[90:91]
	s_cbranch_execz .LBB6_7180
; %bb.7179:                             ;   in Loop: Header=BB6_6784 Depth=2
	v_ffbh_u32_e32 v4, v3
	v_min_u32_e32 v6, 32, v4
	v_subrev_u32_e32 v4, 29, v6
	v_lshlrev_b64 v[4:5], v4, v[27:28]
	v_bfe_u32 v2, v17, 2, 5
	v_and_b32_e32 v4, 3, v4
	v_cmp_eq_u32_e64 s[18:19], 0, v2
	v_sub_u32_e32 v5, 30, v6
	v_cndmask_b32_e64 v3, v3, v4, s[18:19]
	v_lshlrev_b32_e32 v4, 24, v17
	v_cndmask_b32_e64 v2, v2, v5, s[18:19]
	v_and_b32_e32 v4, 0x80000000, v4
	v_lshl_add_u32 v2, v2, 23, v4
	v_lshl_or_b32 v2, v3, 21, v2
	v_add_u32_e32 v2, 0x38000000, v2
                                        ; implicit-def: $vgpr3
.LBB6_7180:                             ;   in Loop: Header=BB6_6784 Depth=2
	s_andn2_saveexec_b64 s[90:91], s[90:91]
; %bb.7181:                             ;   in Loop: Header=BB6_6784 Depth=2
	v_mov_b32_e32 v2, -1
	v_cmp_gt_i16_sdwa s[18:19], sext(v17), v2 src0_sel:BYTE_0 src1_sel:DWORD
	v_mov_b32_e32 v2, 0xff800000
	v_mov_b32_e32 v4, 0x7f800000
	v_cndmask_b32_e64 v2, v2, v4, s[18:19]
	v_cmp_eq_u32_e64 s[18:19], 0, v3
	v_mov_b32_e32 v3, 0x7f800001
	v_cndmask_b32_e64 v2, v3, v2, s[18:19]
; %bb.7182:                             ;   in Loop: Header=BB6_6784 Depth=2
	s_or_b64 exec, exec, s[90:91]
.LBB6_7183:                             ;   in Loop: Header=BB6_6784 Depth=2
	s_or_b64 exec, exec, s[22:23]
.LBB6_7184:                             ;   in Loop: Header=BB6_6784 Depth=2
	s_or_b64 exec, exec, s[20:21]
	v_cmp_gt_i16_sdwa s[20:21], v13, s54 src0_sel:BYTE_0 src1_sel:DWORD
	s_mov_b64 s[18:19], 0
	s_and_saveexec_b64 s[22:23], s[20:21]
	s_xor_b64 s[20:21], exec, s[22:23]
	s_cbranch_execz .LBB6_7188
; %bb.7185:                             ;   in Loop: Header=BB6_6784 Depth=2
	v_cmp_eq_u16_sdwa s[90:91], v13, s52 src0_sel:BYTE_0 src1_sel:DWORD
	s_mov_b64 s[18:19], -1
	s_and_saveexec_b64 s[22:23], s[90:91]
; %bb.7186:                             ;   in Loop: Header=BB6_6784 Depth=2
	s_xor_b64 s[18:19], exec, -1
; %bb.7187:                             ;   in Loop: Header=BB6_6784 Depth=2
	s_or_b64 exec, exec, s[22:23]
	s_and_b64 s[18:19], s[18:19], exec
.LBB6_7188:                             ;   in Loop: Header=BB6_6784 Depth=2
	s_or_saveexec_b64 s[20:21], s[20:21]
	v_bfrev_b32_e32 v3, 1
	s_xor_b64 exec, exec, s[20:21]
; %bb.7189:                             ;   in Loop: Header=BB6_6784 Depth=2
	v_cmp_ne_u16_sdwa s[22:23], v13, v28 src0_sel:BYTE_0 src1_sel:DWORD
	s_andn2_b64 s[18:19], s[18:19], exec
	s_and_b64 s[22:23], s[22:23], exec
	v_mov_b32_e32 v3, 0
	s_or_b64 s[18:19], s[18:19], s[22:23]
; %bb.7190:                             ;   in Loop: Header=BB6_6784 Depth=2
	s_or_b64 exec, exec, s[20:21]
	v_mov_b32_e32 v4, v13
	v_mov_b32_e32 v5, v28
	s_and_saveexec_b64 s[90:91], s[18:19]
	s_cbranch_execz .LBB6_7192
; %bb.7191:                             ;   in Loop: Header=BB6_6784 Depth=2
	v_and_b32_e32 v3, 3, v13
	v_and_b32_e32 v6, 0x7c, v13
	v_cmp_eq_u32_e64 s[18:19], s50, v6
	v_ffbh_u32_e32 v6, v3
	v_min_u32_e32 v34, 32, v6
	v_subrev_u32_e32 v6, 29, v34
	v_bfe_u32 v33, v13, 2, 5
	v_lshlrev_b64 v[5:6], v6, v[4:5]
	v_cmp_eq_u32_e64 s[20:21], 0, v33
	v_sub_u32_e32 v6, 30, v34
	v_cndmask_b32_e64 v6, v33, v6, s[20:21]
	v_lshlrev_b32_e32 v33, 24, v13
	v_and_b32_e32 v5, 3, v5
	v_and_b32_e32 v33, 0x80000000, v33
	v_cndmask_b32_e64 v5, v3, v5, s[20:21]
	v_lshl_add_u32 v6, v6, 23, v33
	v_cmp_eq_u32_e64 s[20:21], 0, v3
	v_mov_b32_e32 v3, -1
	v_lshl_or_b32 v5, v5, 21, v6
	v_cmp_gt_i16_sdwa s[22:23], sext(v13), v3 src0_sel:BYTE_0 src1_sel:DWORD
	v_mov_b32_e32 v3, 0xff800000
	v_mov_b32_e32 v6, 0x7f800000
	v_cndmask_b32_e64 v3, v3, v6, s[22:23]
	v_mov_b32_e32 v6, 0x7f800001
	v_add_u32_e32 v5, 0x38000000, v5
	v_cndmask_b32_e64 v3, v6, v3, s[20:21]
	v_cndmask_b32_e64 v3, v5, v3, s[18:19]
.LBB6_7192:                             ;   in Loop: Header=BB6_6784 Depth=2
	s_or_b64 exec, exec, s[90:91]
	v_mul_f32_e32 v6, v2, v3
	v_and_b32_e32 v33, 0x7f800000, v6
	v_mov_b32_e32 v34, v28
	v_cmp_ne_u64_e64 s[18:19], s[58:59], v[33:34]
	v_and_b32_e32 v2, 0x7fffff, v6
	v_mov_b32_e32 v3, v28
                                        ; implicit-def: $vgpr5
	s_and_saveexec_b64 s[20:21], s[18:19]
	s_xor_b64 s[22:23], exec, s[20:21]
	s_cbranch_execz .LBB6_7206
; %bb.7193:                             ;   in Loop: Header=BB6_6784 Depth=2
	v_and_b32_e32 v33, 0x7fffffff, v6
	v_mov_b32_e32 v34, v28
	v_cmp_gt_u64_e64 s[18:19], s[60:61], v[33:34]
	v_and_b32_sdwa v33, v6, s52 dst_sel:DWORD dst_unused:UNUSED_PAD src0_sel:BYTE_3 src1_sel:DWORD
                                        ; implicit-def: $vgpr5
	s_and_saveexec_b64 s[20:21], s[18:19]
	s_xor_b64 s[90:91], exec, s[20:21]
	s_cbranch_execz .LBB6_7203
; %bb.7194:                             ;   in Loop: Header=BB6_6784 Depth=2
	v_mov_b32_e32 v5, 0
	v_cmp_ne_u32_e64 s[18:19], 0, v6
	s_and_saveexec_b64 s[92:93], s[18:19]
	s_cbranch_execz .LBB6_7202
; %bb.7195:                             ;   in Loop: Header=BB6_6784 Depth=2
	v_bfe_u32 v34, v6, 23, 8
	v_cmp_gt_u32_e64 s[20:21], s53, v34
	v_sub_u32_e32 v5, 0x71, v34
	v_cmp_eq_u32_e64 s[18:19], 0, v34
	v_cndmask_b32_e64 v5, 0, v5, s[20:21]
	v_mov_b32_e32 v35, 0x70
	v_cndmask_b32_e64 v35, v5, v35, s[18:19]
	v_or_b32_e32 v6, 0x800000, v2
	v_add_u32_e32 v5, 21, v35
	v_cndmask_b32_e64 v2, v6, v2, s[18:19]
	v_lshlrev_b64 v[5:6], v5, -1
	v_add_u32_e32 v36, 20, v35
	v_bfi_b32 v5, v5, 0, v2
	v_lshlrev_b64 v[36:37], v36, 1
	v_lshrrev_b64 v[2:3], v35, v[2:3]
	v_bfi_b32 v6, v6, 0, 0
	v_cmp_eq_u64_e64 s[20:21], v[5:6], v[36:37]
	v_mov_b32_e32 v6, v3
	v_mov_b32_e32 v5, v2
	s_and_saveexec_b64 s[94:95], s[20:21]
; %bb.7196:                             ;   in Loop: Header=BB6_6784 Depth=2
	v_bfe_u32 v3, v2, 21, 1
	v_add_co_u32_e64 v3, s[20:21], v2, v3
	v_add_co_u32_e64 v5, s[20:21], -1, v3
; %bb.7197:                             ;   in Loop: Header=BB6_6784 Depth=2
	s_or_b64 exec, exec, s[94:95]
	v_add_u32_e32 v3, 0xffffff81, v34
	v_mov_b32_e32 v6, 0xffffff82
	v_cndmask_b32_e64 v3, v3, v6, s[18:19]
	v_lshrrev_b32_e32 v6, 23, v2
	v_add3_u32 v34, v35, v3, v6
	v_add_u32_e32 v6, 14, v34
	v_and_b32_e32 v3, 0x1fffff, v5
	v_add_u32_e32 v2, v3, v2
	v_mov_b32_e32 v3, v28
	v_cmp_ne_u32_e64 s[18:19], 0, v6
                                        ; implicit-def: $vgpr5
	s_and_saveexec_b64 s[20:21], s[18:19]
	s_xor_b64 s[20:21], exec, s[20:21]
; %bb.7198:                             ;   in Loop: Header=BB6_6784 Depth=2
	v_cmp_lt_u64_e64 s[18:19], s[62:63], v[2:3]
	v_add_u32_e32 v5, 15, v34
	v_cndmask_b32_e64 v5, v6, v5, s[18:19]
	v_cndmask_b32_e64 v6, 0, 1, s[18:19]
	v_lshrrev_b64 v[2:3], v6, v[2:3]
; %bb.7199:                             ;   in Loop: Header=BB6_6784 Depth=2
	s_andn2_saveexec_b64 s[18:19], s[20:21]
; %bb.7200:                             ;   in Loop: Header=BB6_6784 Depth=2
	v_bfe_u32 v5, v2, 23, 1
; %bb.7201:                             ;   in Loop: Header=BB6_6784 Depth=2
	s_or_b64 exec, exec, s[18:19]
	v_lshrrev_b64 v[2:3], 21, v[2:3]
	v_cmp_gt_i32_e64 s[18:19], 32, v5
	v_cndmask_b32_e64 v3, 0, v3, s[18:19]
	v_cndmask_b32_e64 v2, 3, v2, s[18:19]
	v_cmp_eq_u64_e64 s[20:21], 0, v[2:3]
	v_min_i32_e32 v3, 31, v5
	v_lshlrev_b32_e32 v3, 2, v3
	v_cmp_eq_u32_e64 s[18:19], 0, v5
	v_and_b32_e32 v3, 0xfc, v3
	v_and_or_b32 v2, v2, 3, v3
	s_and_b64 s[18:19], s[18:19], s[20:21]
	v_cndmask_b32_e64 v2, v2, 0, s[18:19]
	v_or_b32_e32 v5, v2, v33
.LBB6_7202:                             ;   in Loop: Header=BB6_6784 Depth=2
	s_or_b64 exec, exec, s[92:93]
                                        ; implicit-def: $vgpr33
.LBB6_7203:                             ;   in Loop: Header=BB6_6784 Depth=2
	s_andn2_saveexec_b64 s[18:19], s[90:91]
; %bb.7204:                             ;   in Loop: Header=BB6_6784 Depth=2
	v_or_b32_e32 v5, 0x7b, v33
; %bb.7205:                             ;   in Loop: Header=BB6_6784 Depth=2
	s_or_b64 exec, exec, s[18:19]
                                        ; implicit-def: $vgpr6
                                        ; implicit-def: $vgpr2_vgpr3
.LBB6_7206:                             ;   in Loop: Header=BB6_6784 Depth=2
	s_andn2_saveexec_b64 s[20:21], s[22:23]
	s_cbranch_execz .LBB6_7212
; %bb.7207:                             ;   in Loop: Header=BB6_6784 Depth=2
	v_cmp_ne_u64_e64 s[18:19], 0, v[2:3]
                                        ; implicit-def: $vgpr5
	s_and_saveexec_b64 s[22:23], s[18:19]
	s_xor_b64 s[18:19], exec, s[22:23]
; %bb.7208:                             ;   in Loop: Header=BB6_6784 Depth=2
	v_or_b32_sdwa v5, v6, s54 dst_sel:DWORD dst_unused:UNUSED_PAD src0_sel:BYTE_3 src1_sel:DWORD
                                        ; implicit-def: $vgpr6
; %bb.7209:                             ;   in Loop: Header=BB6_6784 Depth=2
	s_andn2_saveexec_b64 s[22:23], s[18:19]
; %bb.7210:                             ;   in Loop: Header=BB6_6784 Depth=2
	v_cmp_lt_i32_e64 s[18:19], -1, v6
	v_bfrev_b32_e32 v2, 0.5
	v_mov_b32_e32 v3, 0x7c
	v_cndmask_b32_e64 v5, v2, v3, s[18:19]
; %bb.7211:                             ;   in Loop: Header=BB6_6784 Depth=2
	s_or_b64 exec, exec, s[22:23]
.LBB6_7212:                             ;   in Loop: Header=BB6_6784 Depth=2
	s_or_b64 exec, exec, s[20:21]
	v_lshrrev_b16_e32 v2, 8, v27
	v_cmp_ne_u16_e64 s[18:19], 0, v2
	v_mov_b32_e32 v6, 0
	s_and_saveexec_b64 s[20:21], s[18:19]
	s_cbranch_execz .LBB6_7220
; %bb.7213:                             ;   in Loop: Header=BB6_6784 Depth=2
	v_cmp_ne_u16_e64 s[18:19], s52, v2
	v_bfrev_b32_e32 v6, 1
	s_and_saveexec_b64 s[22:23], s[18:19]
	s_cbranch_execz .LBB6_7219
; %bb.7214:                             ;   in Loop: Header=BB6_6784 Depth=2
	v_and_b32_e32 v3, 0x7c, v2
	v_and_b32_e32 v33, 3, v2
	v_cmp_ne_u32_e64 s[18:19], s50, v3
                                        ; implicit-def: $vgpr6
	s_and_saveexec_b64 s[90:91], s[18:19]
	s_xor_b64 s[90:91], exec, s[90:91]
	s_cbranch_execz .LBB6_7216
; %bb.7215:                             ;   in Loop: Header=BB6_6784 Depth=2
	v_ffbh_u32_e32 v34, v33
	v_min_u32_e32 v34, 32, v34
	v_mov_b32_e32 v3, v28
	v_subrev_u32_e32 v35, 29, v34
	v_bfe_u32 v6, v2, 2, 5
	v_lshlrev_b64 v[2:3], v35, v[2:3]
	v_sub_u32_e32 v3, 30, v34
	v_cmp_eq_u32_e64 s[18:19], 0, v6
	v_cndmask_b32_e64 v3, v6, v3, s[18:19]
	v_lshlrev_b32_e32 v6, 16, v27
	v_and_b32_e32 v2, 3, v2
	v_and_b32_e32 v6, 0x80000000, v6
	v_cndmask_b32_e64 v2, v33, v2, s[18:19]
	v_lshl_add_u32 v3, v3, 23, v6
	v_lshl_or_b32 v2, v2, 21, v3
	v_add_u32_e32 v6, 0x38000000, v2
                                        ; implicit-def: $vgpr33
.LBB6_7216:                             ;   in Loop: Header=BB6_6784 Depth=2
	s_andn2_saveexec_b64 s[90:91], s[90:91]
; %bb.7217:                             ;   in Loop: Header=BB6_6784 Depth=2
	v_cmp_lt_i16_e64 s[18:19], -1, v27
	v_mov_b32_e32 v2, 0xff800000
	v_mov_b32_e32 v3, 0x7f800000
	v_cndmask_b32_e64 v2, v2, v3, s[18:19]
	v_cmp_eq_u32_e64 s[18:19], 0, v33
	v_mov_b32_e32 v3, 0x7f800001
	v_cndmask_b32_e64 v6, v3, v2, s[18:19]
; %bb.7218:                             ;   in Loop: Header=BB6_6784 Depth=2
	s_or_b64 exec, exec, s[90:91]
.LBB6_7219:                             ;   in Loop: Header=BB6_6784 Depth=2
	s_or_b64 exec, exec, s[22:23]
.LBB6_7220:                             ;   in Loop: Header=BB6_6784 Depth=2
	s_or_b64 exec, exec, s[20:21]
	v_lshrrev_b16_e32 v2, 8, v4
	v_cmp_lt_i16_e64 s[18:19], s54, v2
	s_mov_b64 s[20:21], 0
	s_and_saveexec_b64 s[22:23], s[18:19]
	s_xor_b64 s[22:23], exec, s[22:23]
	s_cbranch_execz .LBB6_7323
; %bb.7221:                             ;   in Loop: Header=BB6_6784 Depth=2
	v_cmp_eq_u16_e64 s[18:19], s52, v2
	s_mov_b64 s[20:21], -1
	s_and_saveexec_b64 s[90:91], s[18:19]
; %bb.7222:                             ;   in Loop: Header=BB6_6784 Depth=2
	s_xor_b64 s[20:21], exec, -1
; %bb.7223:                             ;   in Loop: Header=BB6_6784 Depth=2
	s_or_b64 exec, exec, s[90:91]
	s_and_b64 s[20:21], s[20:21], exec
	s_or_saveexec_b64 s[22:23], s[22:23]
	v_bfrev_b32_e32 v3, 1
	s_xor_b64 exec, exec, s[22:23]
	s_cbranch_execnz .LBB6_7324
.LBB6_7224:                             ;   in Loop: Header=BB6_6784 Depth=2
	s_or_b64 exec, exec, s[22:23]
	s_and_saveexec_b64 s[90:91], s[20:21]
	s_cbranch_execz .LBB6_7226
.LBB6_7225:                             ;   in Loop: Header=BB6_6784 Depth=2
	v_and_b32_e32 v27, 3, v2
	v_and_b32_e32 v33, 0x7c, v2
	v_cmp_eq_u32_e64 s[18:19], s50, v33
	v_ffbh_u32_e32 v33, v27
	v_min_u32_e32 v36, 32, v33
	v_mov_b32_e32 v3, v28
	v_subrev_u32_e32 v33, 29, v36
	v_bfe_u32 v35, v2, 2, 5
	v_lshlrev_b64 v[33:34], v33, v[2:3]
	v_cmp_eq_u32_e64 s[20:21], 0, v35
	v_sub_u32_e32 v3, 30, v36
	v_lshlrev_b32_e32 v2, 24, v2
	v_and_b32_e32 v33, 3, v33
	v_cndmask_b32_e64 v3, v35, v3, s[20:21]
	v_and_b32_e32 v2, 0x80000000, v2
	v_cndmask_b32_e64 v33, v27, v33, s[20:21]
	v_lshl_add_u32 v2, v3, 23, v2
	v_cmp_lt_i16_e64 s[22:23], -1, v4
	v_mov_b32_e32 v3, 0xff800000
	v_mov_b32_e32 v4, 0x7f800000
	v_lshl_or_b32 v2, v33, 21, v2
	v_cmp_eq_u32_e64 s[20:21], 0, v27
	v_cndmask_b32_e64 v3, v3, v4, s[22:23]
	v_mov_b32_e32 v4, 0x7f800001
	v_add_u32_e32 v2, 0x38000000, v2
	v_cndmask_b32_e64 v3, v4, v3, s[20:21]
	v_cndmask_b32_e64 v3, v2, v3, s[18:19]
.LBB6_7226:                             ;   in Loop: Header=BB6_6784 Depth=2
	s_or_b64 exec, exec, s[90:91]
	v_mul_f32_e32 v2, v6, v3
	v_and_b32_e32 v3, 0x7f800000, v2
	v_mov_b32_e32 v4, v28
	v_cmp_ne_u64_e64 s[18:19], s[58:59], v[3:4]
	v_and_b32_e32 v27, 0x7fffff, v2
                                        ; implicit-def: $vgpr6
	s_and_saveexec_b64 s[20:21], s[18:19]
	s_xor_b64 s[22:23], exec, s[20:21]
	s_cbranch_execz .LBB6_7240
; %bb.7227:                             ;   in Loop: Header=BB6_6784 Depth=2
	v_and_b32_e32 v3, 0x7fffffff, v2
	v_mov_b32_e32 v4, v28
	v_cmp_gt_u64_e64 s[18:19], s[60:61], v[3:4]
	v_and_b32_sdwa v33, v2, s52 dst_sel:DWORD dst_unused:UNUSED_PAD src0_sel:BYTE_3 src1_sel:DWORD
                                        ; implicit-def: $vgpr6
	s_and_saveexec_b64 s[20:21], s[18:19]
	s_xor_b64 s[90:91], exec, s[20:21]
	s_cbranch_execz .LBB6_7237
; %bb.7228:                             ;   in Loop: Header=BB6_6784 Depth=2
	v_mov_b32_e32 v6, 0
	v_cmp_ne_u32_e64 s[18:19], 0, v2
	s_and_saveexec_b64 s[92:93], s[18:19]
	s_cbranch_execz .LBB6_7236
; %bb.7229:                             ;   in Loop: Header=BB6_6784 Depth=2
	v_bfe_u32 v6, v2, 23, 8
	v_cmp_gt_u32_e64 s[20:21], s53, v6
	v_sub_u32_e32 v2, 0x71, v6
	v_cmp_eq_u32_e64 s[18:19], 0, v6
	v_cndmask_b32_e64 v2, 0, v2, s[20:21]
	v_mov_b32_e32 v4, 0x70
	v_cndmask_b32_e64 v34, v2, v4, s[18:19]
	v_add_u32_e32 v4, 21, v34
	v_or_b32_e32 v3, 0x800000, v27
	v_lshlrev_b64 v[35:36], v4, -1
	v_cndmask_b32_e64 v2, v3, v27, s[18:19]
	v_mov_b32_e32 v3, v28
	v_add_u32_e32 v4, 20, v34
	v_bfi_b32 v35, v35, 0, v2
	v_lshlrev_b64 v[37:38], v4, 1
	v_lshrrev_b64 v[2:3], v34, v[2:3]
	v_bfi_b32 v36, v36, 0, 0
	v_cmp_eq_u64_e64 s[20:21], v[35:36], v[37:38]
	v_mov_b32_e32 v4, v3
	v_mov_b32_e32 v3, v2
	s_and_saveexec_b64 s[94:95], s[20:21]
; %bb.7230:                             ;   in Loop: Header=BB6_6784 Depth=2
	v_bfe_u32 v3, v2, 21, 1
	v_add_co_u32_e64 v3, s[20:21], v2, v3
	v_add_co_u32_e64 v3, s[20:21], -1, v3
; %bb.7231:                             ;   in Loop: Header=BB6_6784 Depth=2
	s_or_b64 exec, exec, s[94:95]
	v_add_u32_e32 v4, 0xffffff81, v6
	v_mov_b32_e32 v6, 0xffffff82
	v_cndmask_b32_e64 v4, v4, v6, s[18:19]
	v_lshrrev_b32_e32 v6, 23, v2
	v_add3_u32 v34, v34, v4, v6
	v_add_u32_e32 v6, 14, v34
	v_and_b32_e32 v3, 0x1fffff, v3
	v_add_u32_e32 v27, v3, v2
	v_cmp_ne_u32_e64 s[18:19], 0, v6
                                        ; implicit-def: $vgpr2_vgpr3
                                        ; implicit-def: $vgpr4
	s_and_saveexec_b64 s[20:21], s[18:19]
	s_xor_b64 s[20:21], exec, s[20:21]
; %bb.7232:                             ;   in Loop: Header=BB6_6784 Depth=2
	v_cmp_lt_u64_e64 s[18:19], s[62:63], v[27:28]
	v_add_u32_e32 v2, 15, v34
	v_cndmask_b32_e64 v4, v6, v2, s[18:19]
	v_cndmask_b32_e64 v2, 0, 1, s[18:19]
	v_lshrrev_b64 v[2:3], v2, v[27:28]
; %bb.7233:                             ;   in Loop: Header=BB6_6784 Depth=2
	s_andn2_saveexec_b64 s[18:19], s[20:21]
; %bb.7234:                             ;   in Loop: Header=BB6_6784 Depth=2
	v_mov_b32_e32 v2, v27
	v_mov_b32_e32 v3, v28
	v_bfe_u32 v4, v27, 23, 1
; %bb.7235:                             ;   in Loop: Header=BB6_6784 Depth=2
	s_or_b64 exec, exec, s[18:19]
	v_lshrrev_b64 v[2:3], 21, v[2:3]
	v_cmp_gt_i32_e64 s[18:19], 32, v4
	v_cndmask_b32_e64 v3, 0, v3, s[18:19]
	v_cndmask_b32_e64 v2, 3, v2, s[18:19]
	v_cmp_eq_u64_e64 s[20:21], 0, v[2:3]
	v_min_i32_e32 v3, 31, v4
	v_lshlrev_b32_e32 v3, 2, v3
	v_cmp_eq_u32_e64 s[18:19], 0, v4
	v_and_b32_e32 v3, 0xfc, v3
	v_and_or_b32 v2, v2, 3, v3
	s_and_b64 s[18:19], s[18:19], s[20:21]
	v_cndmask_b32_e64 v2, v2, 0, s[18:19]
	v_or_b32_e32 v6, v2, v33
.LBB6_7236:                             ;   in Loop: Header=BB6_6784 Depth=2
	s_or_b64 exec, exec, s[92:93]
                                        ; implicit-def: $vgpr33
.LBB6_7237:                             ;   in Loop: Header=BB6_6784 Depth=2
	s_andn2_saveexec_b64 s[18:19], s[90:91]
; %bb.7238:                             ;   in Loop: Header=BB6_6784 Depth=2
	v_or_b32_e32 v6, 0x7b, v33
; %bb.7239:                             ;   in Loop: Header=BB6_6784 Depth=2
	s_or_b64 exec, exec, s[18:19]
                                        ; implicit-def: $vgpr2
.LBB6_7240:                             ;   in Loop: Header=BB6_6784 Depth=2
	s_andn2_saveexec_b64 s[20:21], s[22:23]
	s_cbranch_execz .LBB6_7246
; %bb.7241:                             ;   in Loop: Header=BB6_6784 Depth=2
	v_cmp_ne_u64_e64 s[18:19], 0, v[27:28]
                                        ; implicit-def: $vgpr6
	s_and_saveexec_b64 s[22:23], s[18:19]
	s_xor_b64 s[18:19], exec, s[22:23]
; %bb.7242:                             ;   in Loop: Header=BB6_6784 Depth=2
	v_or_b32_sdwa v6, v2, s54 dst_sel:DWORD dst_unused:UNUSED_PAD src0_sel:BYTE_3 src1_sel:DWORD
                                        ; implicit-def: $vgpr2
; %bb.7243:                             ;   in Loop: Header=BB6_6784 Depth=2
	s_andn2_saveexec_b64 s[22:23], s[18:19]
; %bb.7244:                             ;   in Loop: Header=BB6_6784 Depth=2
	v_cmp_lt_i32_e64 s[18:19], -1, v2
	v_bfrev_b32_e32 v2, 0.5
	v_mov_b32_e32 v3, 0x7c
	v_cndmask_b32_e64 v6, v2, v3, s[18:19]
; %bb.7245:                             ;   in Loop: Header=BB6_6784 Depth=2
	s_or_b64 exec, exec, s[22:23]
.LBB6_7246:                             ;   in Loop: Header=BB6_6784 Depth=2
	s_or_b64 exec, exec, s[20:21]
	v_lshrrev_b32_e32 v2, 16, v17
	v_cmp_ne_u16_sdwa s[18:19], v2, v28 src0_sel:BYTE_0 src1_sel:DWORD
	v_mov_b32_e32 v3, 0
	s_and_saveexec_b64 s[20:21], s[18:19]
	s_cbranch_execz .LBB6_7254
; %bb.7247:                             ;   in Loop: Header=BB6_6784 Depth=2
	v_cmp_ne_u16_sdwa s[18:19], v2, s52 src0_sel:BYTE_0 src1_sel:DWORD
	v_bfrev_b32_e32 v3, 1
	s_and_saveexec_b64 s[22:23], s[18:19]
	s_cbranch_execz .LBB6_7253
; %bb.7248:                             ;   in Loop: Header=BB6_6784 Depth=2
	v_and_b32_e32 v3, 0x7c0000, v17
	v_bfe_u32 v4, v17, 16, 2
	v_cmp_ne_u32_e64 s[18:19], s55, v3
                                        ; implicit-def: $vgpr3
	s_and_saveexec_b64 s[90:91], s[18:19]
	s_xor_b64 s[90:91], exec, s[90:91]
	s_cbranch_execz .LBB6_7250
; %bb.7249:                             ;   in Loop: Header=BB6_6784 Depth=2
	v_ffbh_u32_e32 v3, v4
	v_min_u32_e32 v33, 32, v3
	v_subrev_u32_e32 v3, 29, v33
	v_lshlrev_b64 v[2:3], v3, v[2:3]
	v_bfe_u32 v27, v17, 18, 5
	v_and_b32_e32 v2, 3, v2
	v_cmp_eq_u32_e64 s[18:19], 0, v27
	v_sub_u32_e32 v3, 30, v33
	v_cndmask_b32_e64 v2, v4, v2, s[18:19]
	v_lshlrev_b32_e32 v4, 8, v17
	v_cndmask_b32_e64 v3, v27, v3, s[18:19]
	v_and_b32_e32 v4, 0x80000000, v4
	v_lshl_add_u32 v3, v3, 23, v4
	v_lshl_or_b32 v2, v2, 21, v3
	v_add_u32_e32 v3, 0x38000000, v2
                                        ; implicit-def: $vgpr4
                                        ; implicit-def: $vgpr2
.LBB6_7250:                             ;   in Loop: Header=BB6_6784 Depth=2
	s_andn2_saveexec_b64 s[90:91], s[90:91]
; %bb.7251:                             ;   in Loop: Header=BB6_6784 Depth=2
	v_mov_b32_e32 v3, -1
	v_cmp_gt_i16_sdwa s[18:19], sext(v2), v3 src0_sel:BYTE_0 src1_sel:DWORD
	v_mov_b32_e32 v2, 0xff800000
	v_mov_b32_e32 v3, 0x7f800000
	v_cndmask_b32_e64 v2, v2, v3, s[18:19]
	v_cmp_eq_u32_e64 s[18:19], 0, v4
	v_mov_b32_e32 v3, 0x7f800001
	v_cndmask_b32_e64 v3, v3, v2, s[18:19]
; %bb.7252:                             ;   in Loop: Header=BB6_6784 Depth=2
	s_or_b64 exec, exec, s[90:91]
.LBB6_7253:                             ;   in Loop: Header=BB6_6784 Depth=2
	s_or_b64 exec, exec, s[22:23]
.LBB6_7254:                             ;   in Loop: Header=BB6_6784 Depth=2
	s_or_b64 exec, exec, s[20:21]
	v_lshrrev_b32_e32 v2, 16, v13
	v_cmp_gt_i16_sdwa s[20:21], v2, s54 src0_sel:BYTE_0 src1_sel:DWORD
	s_mov_b64 s[18:19], 0
	s_and_saveexec_b64 s[22:23], s[20:21]
	s_xor_b64 s[20:21], exec, s[22:23]
	s_cbranch_execz .LBB6_7325
; %bb.7255:                             ;   in Loop: Header=BB6_6784 Depth=2
	v_cmp_eq_u16_sdwa s[90:91], v2, s52 src0_sel:BYTE_0 src1_sel:DWORD
	s_mov_b64 s[18:19], -1
	s_and_saveexec_b64 s[22:23], s[90:91]
; %bb.7256:                             ;   in Loop: Header=BB6_6784 Depth=2
	s_xor_b64 s[18:19], exec, -1
; %bb.7257:                             ;   in Loop: Header=BB6_6784 Depth=2
	s_or_b64 exec, exec, s[22:23]
	s_and_b64 s[18:19], s[18:19], exec
	s_or_saveexec_b64 s[20:21], s[20:21]
	v_bfrev_b32_e32 v4, 1
	s_xor_b64 exec, exec, s[20:21]
	s_cbranch_execnz .LBB6_7326
.LBB6_7258:                             ;   in Loop: Header=BB6_6784 Depth=2
	s_or_b64 exec, exec, s[20:21]
	s_and_saveexec_b64 s[90:91], s[18:19]
	s_cbranch_execz .LBB6_7260
.LBB6_7259:                             ;   in Loop: Header=BB6_6784 Depth=2
	v_and_b32_e32 v4, 3, v2
	v_and_b32_e32 v33, 0x7c0000, v13
	v_cmp_eq_u32_e64 s[18:19], s55, v33
	v_ffbh_u32_e32 v33, v4
	v_min_u32_e32 v35, 32, v33
	v_subrev_u32_e32 v33, 29, v35
	v_bfe_u32 v27, v13, 18, 5
	v_lshlrev_b64 v[33:34], v33, v[2:3]
	v_cmp_eq_u32_e64 s[20:21], 0, v27
	v_sub_u32_e32 v34, 30, v35
	v_and_b32_e32 v33, 3, v33
	v_cndmask_b32_e64 v27, v27, v34, s[20:21]
	v_lshlrev_b32_e32 v34, 24, v2
	v_cndmask_b32_e64 v33, v4, v33, s[20:21]
	v_and_b32_e32 v34, 0x80000000, v34
	v_cmp_eq_u32_e64 s[20:21], 0, v4
	v_mov_b32_e32 v4, -1
	v_lshl_add_u32 v27, v27, 23, v34
	v_cmp_gt_i16_sdwa s[22:23], sext(v2), v4 src0_sel:BYTE_0 src1_sel:DWORD
	v_mov_b32_e32 v2, 0xff800000
	v_mov_b32_e32 v4, 0x7f800000
	v_lshl_or_b32 v27, v33, 21, v27
	v_cndmask_b32_e64 v2, v2, v4, s[22:23]
	v_mov_b32_e32 v4, 0x7f800001
	v_add_u32_e32 v27, 0x38000000, v27
	v_cndmask_b32_e64 v2, v4, v2, s[20:21]
	v_cndmask_b32_e64 v4, v27, v2, s[18:19]
.LBB6_7260:                             ;   in Loop: Header=BB6_6784 Depth=2
	s_or_b64 exec, exec, s[90:91]
	v_mul_f32_e32 v2, v3, v4
	v_and_b32_e32 v3, 0x7f800000, v2
	v_mov_b32_e32 v4, v28
	v_cmp_ne_u64_e64 s[18:19], s[58:59], v[3:4]
	v_and_b32_e32 v27, 0x7fffff, v2
                                        ; implicit-def: $vgpr33
	s_and_saveexec_b64 s[20:21], s[18:19]
	s_xor_b64 s[22:23], exec, s[20:21]
	s_cbranch_execz .LBB6_7274
; %bb.7261:                             ;   in Loop: Header=BB6_6784 Depth=2
	v_and_b32_e32 v3, 0x7fffffff, v2
	v_mov_b32_e32 v4, v28
	v_cmp_gt_u64_e64 s[18:19], s[60:61], v[3:4]
	v_and_b32_sdwa v34, v2, s52 dst_sel:DWORD dst_unused:UNUSED_PAD src0_sel:BYTE_3 src1_sel:DWORD
                                        ; implicit-def: $vgpr33
	s_and_saveexec_b64 s[20:21], s[18:19]
	s_xor_b64 s[90:91], exec, s[20:21]
	s_cbranch_execz .LBB6_7271
; %bb.7262:                             ;   in Loop: Header=BB6_6784 Depth=2
	v_mov_b32_e32 v33, 0
	v_cmp_ne_u32_e64 s[18:19], 0, v2
	s_and_saveexec_b64 s[92:93], s[18:19]
	s_cbranch_execz .LBB6_7270
; %bb.7263:                             ;   in Loop: Header=BB6_6784 Depth=2
	v_bfe_u32 v33, v2, 23, 8
	v_cmp_gt_u32_e64 s[20:21], s53, v33
	v_sub_u32_e32 v2, 0x71, v33
	v_cmp_eq_u32_e64 s[18:19], 0, v33
	v_cndmask_b32_e64 v2, 0, v2, s[20:21]
	v_mov_b32_e32 v4, 0x70
	v_cndmask_b32_e64 v35, v2, v4, s[18:19]
	v_add_u32_e32 v4, 21, v35
	v_or_b32_e32 v3, 0x800000, v27
	v_lshlrev_b64 v[36:37], v4, -1
	v_cndmask_b32_e64 v2, v3, v27, s[18:19]
	v_mov_b32_e32 v3, v28
	v_add_u32_e32 v4, 20, v35
	v_bfi_b32 v36, v36, 0, v2
	v_lshlrev_b64 v[38:39], v4, 1
	v_lshrrev_b64 v[2:3], v35, v[2:3]
	v_bfi_b32 v37, v37, 0, 0
	v_cmp_eq_u64_e64 s[20:21], v[36:37], v[38:39]
	v_mov_b32_e32 v4, v3
	v_mov_b32_e32 v3, v2
	s_and_saveexec_b64 s[94:95], s[20:21]
; %bb.7264:                             ;   in Loop: Header=BB6_6784 Depth=2
	v_bfe_u32 v3, v2, 21, 1
	v_add_co_u32_e64 v3, s[20:21], v2, v3
	v_add_co_u32_e64 v3, s[20:21], -1, v3
; %bb.7265:                             ;   in Loop: Header=BB6_6784 Depth=2
	s_or_b64 exec, exec, s[94:95]
	v_add_u32_e32 v4, 0xffffff81, v33
	v_mov_b32_e32 v27, 0xffffff82
	v_cndmask_b32_e64 v4, v4, v27, s[18:19]
	v_lshrrev_b32_e32 v27, 23, v2
	v_add3_u32 v35, v35, v4, v27
	v_add_u32_e32 v33, 14, v35
	v_and_b32_e32 v3, 0x1fffff, v3
	v_add_u32_e32 v27, v3, v2
	v_cmp_ne_u32_e64 s[18:19], 0, v33
                                        ; implicit-def: $vgpr2_vgpr3
                                        ; implicit-def: $vgpr4
	s_and_saveexec_b64 s[20:21], s[18:19]
	s_xor_b64 s[20:21], exec, s[20:21]
; %bb.7266:                             ;   in Loop: Header=BB6_6784 Depth=2
	v_cmp_lt_u64_e64 s[18:19], s[62:63], v[27:28]
	v_add_u32_e32 v2, 15, v35
	v_cndmask_b32_e64 v4, v33, v2, s[18:19]
	v_cndmask_b32_e64 v2, 0, 1, s[18:19]
	v_lshrrev_b64 v[2:3], v2, v[27:28]
; %bb.7267:                             ;   in Loop: Header=BB6_6784 Depth=2
	s_andn2_saveexec_b64 s[18:19], s[20:21]
; %bb.7268:                             ;   in Loop: Header=BB6_6784 Depth=2
	v_mov_b32_e32 v2, v27
	v_mov_b32_e32 v3, v28
	v_bfe_u32 v4, v27, 23, 1
; %bb.7269:                             ;   in Loop: Header=BB6_6784 Depth=2
	s_or_b64 exec, exec, s[18:19]
	v_lshrrev_b64 v[2:3], 21, v[2:3]
	v_cmp_gt_i32_e64 s[18:19], 32, v4
	v_cndmask_b32_e64 v3, 0, v3, s[18:19]
	v_cndmask_b32_e64 v2, 3, v2, s[18:19]
	v_cmp_eq_u64_e64 s[20:21], 0, v[2:3]
	v_min_i32_e32 v3, 31, v4
	v_lshlrev_b32_e32 v3, 2, v3
	v_cmp_eq_u32_e64 s[18:19], 0, v4
	v_and_b32_e32 v3, 0xfc, v3
	v_and_or_b32 v2, v2, 3, v3
	s_and_b64 s[18:19], s[18:19], s[20:21]
	v_cndmask_b32_e64 v2, v2, 0, s[18:19]
	v_or_b32_e32 v33, v2, v34
.LBB6_7270:                             ;   in Loop: Header=BB6_6784 Depth=2
	s_or_b64 exec, exec, s[92:93]
                                        ; implicit-def: $vgpr34
.LBB6_7271:                             ;   in Loop: Header=BB6_6784 Depth=2
	s_andn2_saveexec_b64 s[18:19], s[90:91]
; %bb.7272:                             ;   in Loop: Header=BB6_6784 Depth=2
	v_or_b32_e32 v33, 0x7b, v34
; %bb.7273:                             ;   in Loop: Header=BB6_6784 Depth=2
	s_or_b64 exec, exec, s[18:19]
                                        ; implicit-def: $vgpr2
.LBB6_7274:                             ;   in Loop: Header=BB6_6784 Depth=2
	s_andn2_saveexec_b64 s[20:21], s[22:23]
	s_cbranch_execz .LBB6_7280
; %bb.7275:                             ;   in Loop: Header=BB6_6784 Depth=2
	v_cmp_ne_u64_e64 s[18:19], 0, v[27:28]
                                        ; implicit-def: $vgpr33
	s_and_saveexec_b64 s[22:23], s[18:19]
	s_xor_b64 s[18:19], exec, s[22:23]
; %bb.7276:                             ;   in Loop: Header=BB6_6784 Depth=2
	v_or_b32_sdwa v33, v2, s54 dst_sel:DWORD dst_unused:UNUSED_PAD src0_sel:BYTE_3 src1_sel:DWORD
                                        ; implicit-def: $vgpr2
; %bb.7277:                             ;   in Loop: Header=BB6_6784 Depth=2
	s_andn2_saveexec_b64 s[22:23], s[18:19]
; %bb.7278:                             ;   in Loop: Header=BB6_6784 Depth=2
	v_cmp_lt_i32_e64 s[18:19], -1, v2
	v_bfrev_b32_e32 v2, 0.5
	v_mov_b32_e32 v3, 0x7c
	v_cndmask_b32_e64 v33, v2, v3, s[18:19]
; %bb.7279:                             ;   in Loop: Header=BB6_6784 Depth=2
	s_or_b64 exec, exec, s[22:23]
.LBB6_7280:                             ;   in Loop: Header=BB6_6784 Depth=2
	s_or_b64 exec, exec, s[20:21]
	v_cmp_lt_u64_e64 s[18:19], s[56:57], v[16:17]
	v_mov_b32_e32 v3, 0
	s_and_saveexec_b64 s[20:21], s[18:19]
	s_cbranch_execz .LBB6_7288
; %bb.7281:                             ;   in Loop: Header=BB6_6784 Depth=2
	v_lshrrev_b32_e32 v2, 24, v17
	v_cmp_ne_u32_e64 s[18:19], s52, v2
	v_bfrev_b32_e32 v3, 1
	s_and_saveexec_b64 s[22:23], s[18:19]
	s_cbranch_execz .LBB6_7287
; %bb.7282:                             ;   in Loop: Header=BB6_6784 Depth=2
	v_and_b32_e32 v3, 0x7c000000, v17
	v_bfe_u32 v4, v17, 24, 2
	v_cmp_ne_u32_e64 s[18:19], s64, v3
                                        ; implicit-def: $vgpr3
	s_and_saveexec_b64 s[90:91], s[18:19]
	s_xor_b64 s[90:91], exec, s[90:91]
	s_cbranch_execz .LBB6_7284
; %bb.7283:                             ;   in Loop: Header=BB6_6784 Depth=2
	v_ffbh_u32_e32 v3, v4
	v_min_u32_e32 v27, 32, v3
	v_subrev_u32_e32 v3, 29, v27
	v_lshlrev_b64 v[2:3], v3, v[2:3]
	v_bfe_u32 v16, v17, 26, 5
	v_sub_u32_e32 v3, 30, v27
	v_and_b32_e32 v2, 3, v2
	v_cmp_eq_u32_e64 s[18:19], 0, v16
	v_cndmask_b32_e64 v3, v16, v3, s[18:19]
	v_cndmask_b32_e64 v2, v4, v2, s[18:19]
	v_and_b32_e32 v4, 0x80000000, v17
	v_lshl_add_u32 v3, v3, 23, v4
	v_lshl_or_b32 v2, v2, 21, v3
	v_add_u32_e32 v3, 0x38000000, v2
                                        ; implicit-def: $vgpr4
                                        ; implicit-def: $vgpr16_vgpr17
.LBB6_7284:                             ;   in Loop: Header=BB6_6784 Depth=2
	s_andn2_saveexec_b64 s[90:91], s[90:91]
; %bb.7285:                             ;   in Loop: Header=BB6_6784 Depth=2
	v_cmp_lt_i64_e64 s[18:19], -1, v[16:17]
	v_mov_b32_e32 v2, 0xff800000
	v_mov_b32_e32 v3, 0x7f800000
	v_cndmask_b32_e64 v2, v2, v3, s[18:19]
	v_cmp_eq_u32_e64 s[18:19], 0, v4
	v_mov_b32_e32 v3, 0x7f800001
	v_cndmask_b32_e64 v3, v3, v2, s[18:19]
; %bb.7286:                             ;   in Loop: Header=BB6_6784 Depth=2
	s_or_b64 exec, exec, s[90:91]
.LBB6_7287:                             ;   in Loop: Header=BB6_6784 Depth=2
	s_or_b64 exec, exec, s[22:23]
.LBB6_7288:                             ;   in Loop: Header=BB6_6784 Depth=2
	s_or_b64 exec, exec, s[20:21]
	v_bfe_u32 v4, v13, 24, 2
	v_and_b32_e32 v16, 0x7c000000, v13
	v_cmp_eq_u32_e64 s[18:19], s64, v16
	v_ffbh_u32_e32 v16, v4
	v_min_u32_e32 v34, 32, v16
	v_lshrrev_b32_e32 v2, 24, v13
	v_subrev_u32_e32 v16, 29, v34
	v_bfe_u32 v27, v13, 26, 5
	v_lshlrev_b64 v[16:17], v16, v[2:3]
	v_cmp_eq_u32_e64 s[20:21], 0, v27
	v_sub_u32_e32 v17, 30, v34
	v_and_b32_e32 v16, 3, v16
	v_cndmask_b32_e64 v17, v27, v17, s[20:21]
	v_and_b32_e32 v27, 0x80000000, v13
	v_cndmask_b32_e64 v16, v4, v16, s[20:21]
	v_lshl_add_u32 v17, v17, 23, v27
	v_cmp_lt_i64_e64 s[22:23], -1, v[12:13]
	v_lshl_or_b32 v16, v16, 21, v17
	v_cmp_eq_u32_e64 s[20:21], 0, v4
	v_mov_b32_e32 v4, 0xff800000
	v_mov_b32_e32 v17, 0x7f800000
	v_cndmask_b32_e64 v4, v4, v17, s[22:23]
	v_mov_b32_e32 v17, 0x7f800001
	v_add_u32_e32 v16, 0x38000000, v16
	v_cndmask_b32_e64 v4, v17, v4, s[20:21]
	v_cndmask_b32_e64 v4, v16, v4, s[18:19]
	v_cmp_ne_u32_e64 s[18:19], s52, v2
	v_cndmask_b32_e64 v2, v45, v4, s[18:19]
	v_cmp_lt_u64_e64 s[18:19], s[56:57], v[12:13]
	v_mov_b32_e32 v13, v28
	v_cndmask_b32_e64 v2, 0, v2, s[18:19]
	v_mul_f32_e32 v3, v2, v3
	v_and_b32_e32 v12, 0x7f800000, v3
	v_cmp_ne_u64_e64 s[18:19], s[58:59], v[12:13]
	v_and_b32_e32 v27, 0x7fffff, v3
                                        ; implicit-def: $vgpr2
	s_and_saveexec_b64 s[20:21], s[18:19]
	s_xor_b64 s[22:23], exec, s[20:21]
	s_cbranch_execz .LBB6_7302
; %bb.7289:                             ;   in Loop: Header=BB6_6784 Depth=2
	v_and_b32_e32 v12, 0x7fffffff, v3
	v_mov_b32_e32 v13, v28
	v_cmp_gt_u64_e64 s[18:19], s[60:61], v[12:13]
	v_and_b32_sdwa v12, v3, s52 dst_sel:DWORD dst_unused:UNUSED_PAD src0_sel:BYTE_3 src1_sel:DWORD
                                        ; implicit-def: $vgpr2
	s_and_saveexec_b64 s[20:21], s[18:19]
	s_xor_b64 s[90:91], exec, s[20:21]
	s_cbranch_execz .LBB6_7299
; %bb.7290:                             ;   in Loop: Header=BB6_6784 Depth=2
	v_mov_b32_e32 v2, 0
	v_cmp_ne_u32_e64 s[18:19], 0, v3
	s_and_saveexec_b64 s[92:93], s[18:19]
	s_cbranch_execz .LBB6_7298
; %bb.7291:                             ;   in Loop: Header=BB6_6784 Depth=2
	v_bfe_u32 v13, v3, 23, 8
	v_cmp_gt_u32_e64 s[20:21], s53, v13
	v_sub_u32_e32 v2, 0x71, v13
	v_cmp_eq_u32_e64 s[18:19], 0, v13
	v_cndmask_b32_e64 v2, 0, v2, s[20:21]
	v_mov_b32_e32 v4, 0x70
	v_cndmask_b32_e64 v16, v2, v4, s[18:19]
	v_add_u32_e32 v4, 21, v16
	v_or_b32_e32 v3, 0x800000, v27
	v_lshlrev_b64 v[34:35], v4, -1
	v_cndmask_b32_e64 v2, v3, v27, s[18:19]
	v_mov_b32_e32 v3, v28
	v_add_u32_e32 v4, 20, v16
	v_bfi_b32 v34, v34, 0, v2
	v_lshlrev_b64 v[36:37], v4, 1
	v_lshrrev_b64 v[2:3], v16, v[2:3]
	v_bfi_b32 v35, v35, 0, 0
	v_cmp_eq_u64_e64 s[20:21], v[34:35], v[36:37]
	v_mov_b32_e32 v4, v3
	v_mov_b32_e32 v3, v2
	s_and_saveexec_b64 s[94:95], s[20:21]
; %bb.7292:                             ;   in Loop: Header=BB6_6784 Depth=2
	v_bfe_u32 v3, v2, 21, 1
	v_add_co_u32_e64 v3, s[20:21], v2, v3
	v_add_co_u32_e64 v3, s[20:21], -1, v3
; %bb.7293:                             ;   in Loop: Header=BB6_6784 Depth=2
	s_or_b64 exec, exec, s[94:95]
	v_add_u32_e32 v4, 0xffffff81, v13
	v_mov_b32_e32 v13, 0xffffff82
	v_cndmask_b32_e64 v4, v4, v13, s[18:19]
	v_lshrrev_b32_e32 v13, 23, v2
	v_add3_u32 v16, v16, v4, v13
	v_add_u32_e32 v13, 14, v16
	v_and_b32_e32 v3, 0x1fffff, v3
	v_add_u32_e32 v27, v3, v2
	v_cmp_ne_u32_e64 s[18:19], 0, v13
                                        ; implicit-def: $vgpr2_vgpr3
                                        ; implicit-def: $vgpr4
	s_and_saveexec_b64 s[20:21], s[18:19]
	s_xor_b64 s[20:21], exec, s[20:21]
; %bb.7294:                             ;   in Loop: Header=BB6_6784 Depth=2
	v_cmp_lt_u64_e64 s[18:19], s[62:63], v[27:28]
	v_add_u32_e32 v2, 15, v16
	v_cndmask_b32_e64 v4, v13, v2, s[18:19]
	v_cndmask_b32_e64 v2, 0, 1, s[18:19]
	v_lshrrev_b64 v[2:3], v2, v[27:28]
; %bb.7295:                             ;   in Loop: Header=BB6_6784 Depth=2
	s_andn2_saveexec_b64 s[18:19], s[20:21]
; %bb.7296:                             ;   in Loop: Header=BB6_6784 Depth=2
	v_mov_b32_e32 v2, v27
	v_mov_b32_e32 v3, v28
	v_bfe_u32 v4, v27, 23, 1
; %bb.7297:                             ;   in Loop: Header=BB6_6784 Depth=2
	s_or_b64 exec, exec, s[18:19]
	v_lshrrev_b64 v[2:3], 21, v[2:3]
	v_cmp_gt_i32_e64 s[18:19], 32, v4
	v_cndmask_b32_e64 v3, 0, v3, s[18:19]
	v_cndmask_b32_e64 v2, 3, v2, s[18:19]
	v_cmp_eq_u64_e64 s[20:21], 0, v[2:3]
	v_min_i32_e32 v3, 31, v4
	v_lshlrev_b32_e32 v3, 2, v3
	v_cmp_eq_u32_e64 s[18:19], 0, v4
	v_and_b32_e32 v3, 0xfc, v3
	v_and_or_b32 v2, v2, 3, v3
	s_and_b64 s[18:19], s[18:19], s[20:21]
	v_cndmask_b32_e64 v2, v2, 0, s[18:19]
	v_or_b32_e32 v2, v2, v12
.LBB6_7298:                             ;   in Loop: Header=BB6_6784 Depth=2
	s_or_b64 exec, exec, s[92:93]
                                        ; implicit-def: $vgpr12
.LBB6_7299:                             ;   in Loop: Header=BB6_6784 Depth=2
	s_andn2_saveexec_b64 s[18:19], s[90:91]
; %bb.7300:                             ;   in Loop: Header=BB6_6784 Depth=2
	v_or_b32_e32 v2, 0x7b, v12
; %bb.7301:                             ;   in Loop: Header=BB6_6784 Depth=2
	s_or_b64 exec, exec, s[18:19]
                                        ; implicit-def: $vgpr3
.LBB6_7302:                             ;   in Loop: Header=BB6_6784 Depth=2
	s_andn2_saveexec_b64 s[20:21], s[22:23]
	s_cbranch_execz .LBB6_6783
; %bb.7303:                             ;   in Loop: Header=BB6_6784 Depth=2
	v_cmp_ne_u64_e64 s[18:19], 0, v[27:28]
                                        ; implicit-def: $vgpr2
	s_and_saveexec_b64 s[22:23], s[18:19]
	s_xor_b64 s[18:19], exec, s[22:23]
; %bb.7304:                             ;   in Loop: Header=BB6_6784 Depth=2
	v_or_b32_sdwa v2, v3, s54 dst_sel:DWORD dst_unused:UNUSED_PAD src0_sel:BYTE_3 src1_sel:DWORD
                                        ; implicit-def: $vgpr3
; %bb.7305:                             ;   in Loop: Header=BB6_6784 Depth=2
	s_andn2_saveexec_b64 s[22:23], s[18:19]
	s_cbranch_execz .LBB6_6782
; %bb.7306:                             ;   in Loop: Header=BB6_6784 Depth=2
	v_cmp_lt_i32_e64 s[18:19], -1, v3
	v_bfrev_b32_e32 v2, 0.5
	v_mov_b32_e32 v3, 0x7c
	v_cndmask_b32_e64 v2, v2, v3, s[18:19]
	s_branch .LBB6_6782
.LBB6_7307:                             ;   in Loop: Header=BB6_6784 Depth=2
	s_or_saveexec_b64 s[20:21], s[20:21]
	v_bfrev_b32_e32 v3, 1
	s_xor_b64 exec, exec, s[20:21]
	s_cbranch_execz .LBB6_6796
.LBB6_7308:                             ;   in Loop: Header=BB6_6784 Depth=2
	v_cmp_ne_u16_sdwa s[22:23], v10, v28 src0_sel:BYTE_0 src1_sel:DWORD
	s_andn2_b64 s[18:19], s[18:19], exec
	s_and_b64 s[22:23], s[22:23], exec
	v_mov_b32_e32 v3, 0
	s_or_b64 s[18:19], s[18:19], s[22:23]
	s_or_b64 exec, exec, s[20:21]
	s_and_saveexec_b64 s[90:91], s[18:19]
	s_cbranch_execnz .LBB6_6797
	s_branch .LBB6_6798
.LBB6_7309:                             ;   in Loop: Header=BB6_6784 Depth=2
	s_or_saveexec_b64 s[22:23], s[22:23]
	v_bfrev_b32_e32 v3, 1
	s_xor_b64 exec, exec, s[22:23]
	s_cbranch_execz .LBB6_6830
.LBB6_7310:                             ;   in Loop: Header=BB6_6784 Depth=2
	v_cmp_ne_u16_e64 s[18:19], 0, v2
	s_andn2_b64 s[20:21], s[20:21], exec
	s_and_b64 s[18:19], s[18:19], exec
	v_mov_b32_e32 v3, 0
	s_or_b64 s[20:21], s[20:21], s[18:19]
	s_or_b64 exec, exec, s[22:23]
	s_and_saveexec_b64 s[90:91], s[20:21]
	s_cbranch_execnz .LBB6_6831
	s_branch .LBB6_6832
.LBB6_7311:                             ;   in Loop: Header=BB6_6784 Depth=2
	s_or_saveexec_b64 s[20:21], s[20:21]
	v_bfrev_b32_e32 v4, 1
	s_xor_b64 exec, exec, s[20:21]
	s_cbranch_execz .LBB6_6864
.LBB6_7312:                             ;   in Loop: Header=BB6_6784 Depth=2
	v_cmp_ne_u16_sdwa s[22:23], v2, v28 src0_sel:BYTE_0 src1_sel:DWORD
	s_andn2_b64 s[18:19], s[18:19], exec
	s_and_b64 s[22:23], s[22:23], exec
	v_mov_b32_e32 v4, 0
	s_or_b64 s[18:19], s[18:19], s[22:23]
	s_or_b64 exec, exec, s[20:21]
	s_and_saveexec_b64 s[90:91], s[18:19]
	s_cbranch_execnz .LBB6_6865
	s_branch .LBB6_6866
.LBB6_7313:                             ;   in Loop: Header=BB6_6784 Depth=2
	s_or_saveexec_b64 s[22:23], s[22:23]
	v_bfrev_b32_e32 v3, 1
	s_xor_b64 exec, exec, s[22:23]
	s_cbranch_execz .LBB6_6962
.LBB6_7314:                             ;   in Loop: Header=BB6_6784 Depth=2
	v_cmp_ne_u16_e64 s[18:19], 0, v2
	s_andn2_b64 s[20:21], s[20:21], exec
	s_and_b64 s[18:19], s[18:19], exec
	v_mov_b32_e32 v3, 0
	s_or_b64 s[20:21], s[20:21], s[18:19]
	s_or_b64 exec, exec, s[22:23]
	s_and_saveexec_b64 s[90:91], s[20:21]
	s_cbranch_execnz .LBB6_6963
	s_branch .LBB6_6964
.LBB6_7315:                             ;   in Loop: Header=BB6_6784 Depth=2
	s_or_saveexec_b64 s[20:21], s[20:21]
	v_bfrev_b32_e32 v4, 1
	s_xor_b64 exec, exec, s[20:21]
	s_cbranch_execz .LBB6_6996
.LBB6_7316:                             ;   in Loop: Header=BB6_6784 Depth=2
	v_cmp_ne_u16_sdwa s[22:23], v2, v28 src0_sel:BYTE_0 src1_sel:DWORD
	s_andn2_b64 s[18:19], s[18:19], exec
	s_and_b64 s[22:23], s[22:23], exec
	v_mov_b32_e32 v4, 0
	s_or_b64 s[18:19], s[18:19], s[22:23]
	s_or_b64 exec, exec, s[20:21]
	s_and_saveexec_b64 s[90:91], s[18:19]
	s_cbranch_execnz .LBB6_6997
	s_branch .LBB6_6998
.LBB6_7317:                             ;   in Loop: Header=BB6_6784 Depth=2
	s_or_saveexec_b64 s[20:21], s[20:21]
	v_bfrev_b32_e32 v3, 1
	s_xor_b64 exec, exec, s[20:21]
	s_cbranch_execz .LBB6_7058
.LBB6_7318:                             ;   in Loop: Header=BB6_6784 Depth=2
	v_cmp_ne_u16_sdwa s[22:23], v12, v28 src0_sel:BYTE_0 src1_sel:DWORD
	s_andn2_b64 s[18:19], s[18:19], exec
	s_and_b64 s[22:23], s[22:23], exec
	v_mov_b32_e32 v3, 0
	s_or_b64 s[18:19], s[18:19], s[22:23]
	s_or_b64 exec, exec, s[20:21]
	s_and_saveexec_b64 s[90:91], s[18:19]
	s_cbranch_execnz .LBB6_7059
	s_branch .LBB6_7060
.LBB6_7319:                             ;   in Loop: Header=BB6_6784 Depth=2
	s_or_saveexec_b64 s[22:23], s[22:23]
	v_bfrev_b32_e32 v3, 1
	s_xor_b64 exec, exec, s[22:23]
	s_cbranch_execz .LBB6_7092
.LBB6_7320:                             ;   in Loop: Header=BB6_6784 Depth=2
	v_cmp_ne_u16_e64 s[18:19], 0, v2
	s_andn2_b64 s[20:21], s[20:21], exec
	s_and_b64 s[18:19], s[18:19], exec
	v_mov_b32_e32 v3, 0
	s_or_b64 s[20:21], s[20:21], s[18:19]
	s_or_b64 exec, exec, s[22:23]
	s_and_saveexec_b64 s[90:91], s[20:21]
	s_cbranch_execnz .LBB6_7093
	s_branch .LBB6_7094
.LBB6_7321:                             ;   in Loop: Header=BB6_6784 Depth=2
	s_or_saveexec_b64 s[20:21], s[20:21]
	v_bfrev_b32_e32 v4, 1
	s_xor_b64 exec, exec, s[20:21]
	s_cbranch_execz .LBB6_7126
.LBB6_7322:                             ;   in Loop: Header=BB6_6784 Depth=2
	v_cmp_ne_u16_sdwa s[22:23], v2, v28 src0_sel:BYTE_0 src1_sel:DWORD
	s_andn2_b64 s[18:19], s[18:19], exec
	s_and_b64 s[22:23], s[22:23], exec
	v_mov_b32_e32 v4, 0
	s_or_b64 s[18:19], s[18:19], s[22:23]
	s_or_b64 exec, exec, s[20:21]
	s_and_saveexec_b64 s[90:91], s[18:19]
	s_cbranch_execnz .LBB6_7127
	s_branch .LBB6_7128
.LBB6_7323:                             ;   in Loop: Header=BB6_6784 Depth=2
	s_or_saveexec_b64 s[22:23], s[22:23]
	v_bfrev_b32_e32 v3, 1
	s_xor_b64 exec, exec, s[22:23]
	s_cbranch_execz .LBB6_7224
.LBB6_7324:                             ;   in Loop: Header=BB6_6784 Depth=2
	v_cmp_ne_u16_e64 s[18:19], 0, v2
	s_andn2_b64 s[20:21], s[20:21], exec
	s_and_b64 s[18:19], s[18:19], exec
	v_mov_b32_e32 v3, 0
	s_or_b64 s[20:21], s[20:21], s[18:19]
	s_or_b64 exec, exec, s[22:23]
	s_and_saveexec_b64 s[90:91], s[20:21]
	s_cbranch_execnz .LBB6_7225
	s_branch .LBB6_7226
.LBB6_7325:                             ;   in Loop: Header=BB6_6784 Depth=2
	s_or_saveexec_b64 s[20:21], s[20:21]
	v_bfrev_b32_e32 v4, 1
	s_xor_b64 exec, exec, s[20:21]
	s_cbranch_execz .LBB6_7258
.LBB6_7326:                             ;   in Loop: Header=BB6_6784 Depth=2
	v_cmp_ne_u16_sdwa s[22:23], v2, v28 src0_sel:BYTE_0 src1_sel:DWORD
	s_andn2_b64 s[18:19], s[18:19], exec
	s_and_b64 s[22:23], s[22:23], exec
	v_mov_b32_e32 v4, 0
	s_or_b64 s[18:19], s[18:19], s[22:23]
	s_or_b64 exec, exec, s[20:21]
	s_and_saveexec_b64 s[90:91], s[18:19]
	s_cbranch_execnz .LBB6_7259
	s_branch .LBB6_7260
.LBB6_7327:                             ;   in Loop: Header=BB6_4399 Depth=1
	s_or_b64 exec, exec, s[88:89]
.LBB6_7328:                             ;   in Loop: Header=BB6_4399 Depth=1
	s_or_b64 exec, exec, s[78:79]
	v_and_b32_e32 v2, 15, v56
	v_cndmask_b32_e32 v5, v7, v2, vcc
	v_mov_b32_e32 v6, 0
	v_cmp_ne_u32_e64 s[18:19], 0, v5
	s_mov_b64 s[20:21], 0
                                        ; implicit-def: $vgpr7
                                        ; implicit-def: $vgpr2
	s_and_saveexec_b64 s[22:23], s[18:19]
	s_cbranch_execz .LBB6_7330
; %bb.7329:                             ;   in Loop: Header=BB6_4399 Depth=1
	v_and_b32_e32 v2, 0x3f0, v56
	v_cndmask_b32_e32 v2, 0, v2, vcc
	v_cmp_lt_i32_e32 vcc, 0, v1
	v_and_or_b32 v6, v56, s65, v2
	v_cndmask_b32_e32 v2, 0, v62, vcc
	v_sub_u32_e32 v1, v2, v1
	v_lshl_add_u32 v7, v1, 6, v0
	v_ashrrev_i32_e32 v0, 31, v7
	v_lshrrev_b32_e32 v0, 26, v0
	v_add_u32_e32 v0, v7, v0
	s_mov_b64 s[20:21], exec
	v_ashrrev_i32_e32 v2, 6, v0
.LBB6_7330:                             ;   in Loop: Header=BB6_4399 Depth=1
	s_or_b64 exec, exec, s[22:23]
	s_and_b64 s[18:19], s[20:21], exec
.LBB6_7331:                             ;   in Loop: Header=BB6_4399 Depth=1
	s_or_b64 exec, exec, s[76:77]
	buffer_load_dword v3, off, s[0:3], s33 offset:388 ; 4-byte Folded Reload
	buffer_load_dword v4, off, s[0:3], s33 offset:392 ; 4-byte Folded Reload
	s_and_saveexec_b64 s[20:21], s[18:19]
	s_cbranch_execz .LBB6_8660
.LBB6_7332:                             ;   in Loop: Header=BB6_4399 Depth=1
	v_lshrrev_b32_e32 v0, 11, v5
	v_sub_u32_e32 v31, v0, v2
	v_ashrrev_i32_e32 v0, 31, v7
	v_cmp_lt_i32_e32 vcc, 0, v31
	v_lshrrev_b32_e32 v1, 26, v0
	s_and_saveexec_b64 s[22:23], vcc
	s_cbranch_execz .LBB6_8616
; %bb.7333:                             ;   in Loop: Header=BB6_4399 Depth=1
	v_add_u32_e32 v0, v7, v1
	v_and_b32_e32 v0, 0xffffffc0, v0
	buffer_store_dword v5, off, s[0:3], s33 offset:240 ; 4-byte Folded Spill
	buffer_store_dword v56, off, s[0:3], s33 offset:380 ; 4-byte Folded Spill
	;; [unrolled: 1-line block ×4, first 2 shown]
	s_nop 0
	buffer_store_dword v47, off, s[0:3], s33 offset:340 ; 4-byte Folded Spill
	buffer_store_dword v43, off, s[0:3], s33 offset:284 ; 4-byte Folded Spill
	s_nop 0
	buffer_store_dword v44, off, s[0:3], s33 offset:288 ; 4-byte Folded Spill
	buffer_store_dword v52, off, s[0:3], s33 offset:320 ; 4-byte Folded Spill
	;; [unrolled: 3-line block ×3, first 2 shown]
	buffer_store_dword v55, off, s[0:3], s33 offset:332 ; 4-byte Folded Spill
	buffer_store_dword v49, off, s[0:3], s33 offset:376 ; 4-byte Folded Spill
	;; [unrolled: 1-line block ×3, first 2 shown]
	v_sub_u32_e32 v0, v7, v0
	v_lshlrev_b32_e32 v1, 11, v2
	buffer_store_dword v7, off, s[0:3], s33 offset:256 ; 4-byte Folded Spill
	buffer_store_dword v6, off, s[0:3], s33 offset:236 ; 4-byte Folded Spill
	v_add3_u32 v2, v6, v0, v1
	s_trap 2
	ds_read_b64 v[0:1], v0
	s_waitcnt vmcnt(15)
	v_mov_b32_e32 v5, v4
	v_mov_b32_e32 v4, v3
	v_ashrrev_i32_e32 v3, 31, v2
	v_add_co_u32_e32 v10, vcc, v2, v4
	v_addc_co_u32_e32 v11, vcc, v3, v5, vcc
	s_waitcnt lgkmcnt(0)
	v_add_co_u32_e32 v12, vcc, v0, v2
	v_addc_co_u32_e32 v13, vcc, v1, v3, vcc
	v_add_co_u32_e32 v0, vcc, 0x7c0, v59
	v_addc_co_u32_e32 v1, vcc, 0, v60, vcc
	;; [unrolled: 2-line block ×3, first 2 shown]
	s_mov_b64 s[76:77], 0
	s_branch .LBB6_7336
.LBB6_7334:                             ;   in Loop: Header=BB6_7336 Depth=2
	s_or_b64 exec, exec, s[78:79]
.LBB6_7335:                             ;   in Loop: Header=BB6_7336 Depth=2
	s_or_b64 exec, exec, s[18:19]
	v_add_co_u32_e32 v51, vcc, 0xfffff840, v0
	s_waitcnt vmcnt(0)
	v_addc_co_u32_e32 v52, vcc, -1, v1, vcc
	flat_store_byte v[51:52], v26 glc slc
	v_add_co_u32_e32 v26, vcc, 0xfffff880, v0
	v_addc_co_u32_e32 v27, vcc, -1, v1, vcc
	flat_store_byte v[26:27], v25 glc slc
	v_add_co_u32_e32 v25, vcc, 0xfffff8c0, v0
	;; [unrolled: 3-line block ×13, first 2 shown]
	v_addc_co_u32_e32 v7, vcc, -1, v1, vcc
	v_add_co_u32_e32 v4, vcc, 0xfffffbc0, v0
	flat_store_byte v[6:7], v5 glc slc
	v_addc_co_u32_e32 v5, vcc, -1, v1, vcc
	flat_store_byte v[4:5], v8 glc slc
	v_add_co_u32_e32 v4, vcc, 0xfffffc00, v0
	v_addc_co_u32_e32 v5, vcc, -1, v1, vcc
	flat_store_byte v[4:5], v15 glc slc
	v_add_co_u32_e32 v4, vcc, 0xfffffc40, v0
	;; [unrolled: 3-line block ×16, first 2 shown]
	v_addc_co_u32_e32 v5, vcc, -1, v1, vcc
	flat_store_byte v[4:5], v50 glc slc
	flat_store_byte v[0:1], v3 glc slc
	buffer_load_dword v2, off, s[0:3], s33 offset:260 ; 4-byte Folded Reload
	v_sub_u32_e32 v31, v31, v62
	s_waitcnt vmcnt(0)
	v_add_co_u32_e32 v10, vcc, v10, v2
	v_addc_co_u32_e32 v11, vcc, 0, v11, vcc
	v_add_co_u32_e32 v12, vcc, v12, v2
	v_addc_co_u32_e32 v13, vcc, 0, v13, vcc
	v_cmp_gt_i32_e32 vcc, 1, v31
	s_or_b64 s[76:77], vcc, s[76:77]
	v_add_co_u32_e32 v0, vcc, v0, v2
	v_addc_co_u32_e32 v1, vcc, 0, v1, vcc
	s_andn2_b64 exec, exec, s[76:77]
	s_cbranch_execz .LBB6_8615
.LBB6_7336:                             ;   Parent Loop BB6_4399 Depth=1
                                        ; =>  This Inner Loop Header: Depth=2
	flat_load_sbyte v25, v[10:11] glc slc
	flat_load_sbyte v29, v[10:11] offset:64 glc slc
	flat_load_sbyte v23, v[10:11] offset:128 glc slc
	;; [unrolled: 1-line block ×22, first 2 shown]
	v_mov_b32_e32 v9, 0
	s_waitcnt vmcnt(0) lgkmcnt(0)
	buffer_store_dword v2, off, s[0:3], s33 offset:228 ; 4-byte Folded Spill
	s_nop 0
	buffer_store_dword v3, off, s[0:3], s33 offset:232 ; 4-byte Folded Spill
	flat_load_sbyte v2, v[10:11] offset:1472 glc slc
	v_cmp_ne_u16_e32 vcc, 0, v25
	s_waitcnt vmcnt(0) lgkmcnt(0)
	buffer_store_dword v2, off, s[0:3], s33 offset:220 ; 4-byte Folded Spill
	s_nop 0
	buffer_store_dword v3, off, s[0:3], s33 offset:224 ; 4-byte Folded Spill
	flat_load_sbyte v2, v[10:11] offset:1536 glc slc
	v_mov_b32_e32 v3, 0
	s_waitcnt vmcnt(0) lgkmcnt(0)
	buffer_store_dword v2, off, s[0:3], s33 offset:204 ; 4-byte Folded Spill
	s_nop 0
	buffer_store_dword v3, off, s[0:3], s33 offset:208 ; 4-byte Folded Spill
	flat_load_sbyte v2, v[10:11] offset:1600 glc slc
	s_waitcnt vmcnt(0) lgkmcnt(0)
	buffer_store_dword v2, off, s[0:3], s33 offset:188 ; 4-byte Folded Spill
	s_nop 0
	buffer_store_dword v3, off, s[0:3], s33 offset:192 ; 4-byte Folded Spill
	flat_load_sbyte v2, v[10:11] offset:1664 glc slc
	;; [unrolled: 5-line block ×7, first 2 shown]
	s_waitcnt vmcnt(0) lgkmcnt(0)
	buffer_store_dword v2, off, s[0:3], s33 offset:92 ; 4-byte Folded Spill
	s_nop 0
	buffer_store_dword v3, off, s[0:3], s33 offset:96 ; 4-byte Folded Spill
	flat_load_sbyte v2, v[12:13] glc slc
	s_nop 0
	flat_load_sbyte v24, v[12:13] offset:64 glc slc
	flat_load_sbyte v22, v[12:13] offset:128 glc slc
	;; [unrolled: 1-line block ×23, first 2 shown]
	s_waitcnt vmcnt(0) lgkmcnt(0)
	buffer_store_dword v26, off, s[0:3], s33 offset:212 ; 4-byte Folded Spill
	s_nop 0
	buffer_store_dword v27, off, s[0:3], s33 offset:216 ; 4-byte Folded Spill
	flat_load_sbyte v26, v[12:13] offset:1536 glc slc
	s_waitcnt vmcnt(0) lgkmcnt(0)
	buffer_store_dword v26, off, s[0:3], s33 offset:196 ; 4-byte Folded Spill
	s_nop 0
	buffer_store_dword v27, off, s[0:3], s33 offset:200 ; 4-byte Folded Spill
	flat_load_sbyte v26, v[12:13] offset:1600 glc slc
	;; [unrolled: 5-line block ×8, first 2 shown]
	s_waitcnt vmcnt(0) lgkmcnt(0)
	buffer_store_dword v26, off, s[0:3], s33 offset:84 ; 4-byte Folded Spill
	s_nop 0
	buffer_store_dword v27, off, s[0:3], s33 offset:88 ; 4-byte Folded Spill
	s_mov_b64 s[18:19], exec
	s_and_b64 s[78:79], s[18:19], vcc
	v_mov_b32_e32 v26, v32
	buffer_store_dword v26, off, s[0:3], s33 offset:76 ; 4-byte Folded Spill
	s_nop 0
	buffer_store_dword v27, off, s[0:3], s33 offset:80 ; 4-byte Folded Spill
	s_mov_b64 exec, s[78:79]
	s_cbranch_execz .LBB6_7344
; %bb.7337:                             ;   in Loop: Header=BB6_7336 Depth=2
	v_cmp_ne_u16_e32 vcc, s49, v25
	v_bfrev_b32_e32 v9, 1
	s_and_saveexec_b64 s[78:79], vcc
	s_cbranch_execz .LBB6_7343
; %bb.7338:                             ;   in Loop: Header=BB6_7336 Depth=2
	v_and_b32_e32 v9, 0x7c, v25
	v_and_b32_e32 v27, 3, v25
	v_cmp_ne_u32_e32 vcc, s50, v9
                                        ; implicit-def: $vgpr9
	s_and_saveexec_b64 s[88:89], vcc
	s_xor_b64 s[88:89], exec, s[88:89]
	s_cbranch_execz .LBB6_7340
; %bb.7339:                             ;   in Loop: Header=BB6_7336 Depth=2
	v_ffbh_u32_e32 v30, v27
	v_min_u32_e32 v30, 32, v30
	v_mov_b32_e32 v26, v28
	v_subrev_u32_e32 v32, 29, v30
	v_lshlrev_b64 v[32:33], v32, v[25:26]
	v_sub_u32_e32 v26, 30, v30
	v_and_b32_e32 v30, 3, v32
	buffer_load_dword v32, off, s[0:3], s33 offset:76 ; 4-byte Folded Reload
	buffer_load_dword v33, off, s[0:3], s33 offset:80 ; 4-byte Folded Reload
	v_and_b32_e32 v9, 0xff, v25
	v_bfe_u32 v9, v9, 2, 5
	v_cmp_eq_u32_e32 vcc, 0, v9
	v_cndmask_b32_e32 v9, v9, v26, vcc
	v_and_b32_sdwa v25, sext(v25), s51 dst_sel:DWORD dst_unused:UNUSED_PAD src0_sel:WORD_0 src1_sel:DWORD
	v_cndmask_b32_e32 v26, v27, v30, vcc
	v_lshl_add_u32 v9, v9, 23, v25
	v_lshl_or_b32 v9, v26, 21, v9
	v_add_u32_e32 v9, 0x38000000, v9
                                        ; implicit-def: $vgpr27
                                        ; implicit-def: $vgpr25
.LBB6_7340:                             ;   in Loop: Header=BB6_7336 Depth=2
	s_andn2_saveexec_b64 s[88:89], s[88:89]
; %bb.7341:                             ;   in Loop: Header=BB6_7336 Depth=2
	v_cmp_lt_i16_e32 vcc, -1, v25
	v_mov_b32_e32 v9, 0xff800000
	v_mov_b32_e32 v25, 0x7f800000
	v_cndmask_b32_e32 v9, v9, v25, vcc
	v_cmp_eq_u32_e32 vcc, 0, v27
	v_mov_b32_e32 v25, 0x7f800001
	v_cndmask_b32_e32 v9, v25, v9, vcc
; %bb.7342:                             ;   in Loop: Header=BB6_7336 Depth=2
	s_or_b64 exec, exec, s[88:89]
.LBB6_7343:                             ;   in Loop: Header=BB6_7336 Depth=2
	s_or_b64 exec, exec, s[78:79]
.LBB6_7344:                             ;   in Loop: Header=BB6_7336 Depth=2
	s_or_b64 exec, exec, s[18:19]
	v_cmp_ne_u16_e32 vcc, 0, v2
	s_and_saveexec_b64 s[18:19], vcc
	s_cbranch_execz .LBB6_7352
; %bb.7345:                             ;   in Loop: Header=BB6_7336 Depth=2
	v_cmp_ne_u16_e32 vcc, s49, v2
	v_bfrev_b32_e32 v3, 1
	s_and_saveexec_b64 s[78:79], vcc
	s_cbranch_execz .LBB6_7351
; %bb.7346:                             ;   in Loop: Header=BB6_7336 Depth=2
	v_and_b32_e32 v3, 0x7c, v2
	v_and_b32_e32 v25, 3, v2
	v_cmp_ne_u32_e32 vcc, s50, v3
                                        ; implicit-def: $vgpr3
	s_and_saveexec_b64 s[88:89], vcc
	s_xor_b64 s[88:89], exec, s[88:89]
	s_cbranch_execz .LBB6_7348
; %bb.7347:                             ;   in Loop: Header=BB6_7336 Depth=2
	v_and_b32_e32 v26, 0xff, v2
	v_bfe_u32 v30, v26, 2, 5
	v_ffbh_u32_e32 v26, v25
	s_waitcnt vmcnt(1)
	v_min_u32_e32 v32, 32, v26
	v_mov_b32_e32 v3, v28
	v_subrev_u32_e32 v26, 29, v32
	v_lshlrev_b64 v[26:27], v26, v[2:3]
	v_sub_u32_e32 v3, 30, v32
	buffer_load_dword v32, off, s[0:3], s33 offset:76 ; 4-byte Folded Reload
	buffer_load_dword v33, off, s[0:3], s33 offset:80 ; 4-byte Folded Reload
	v_cmp_eq_u32_e32 vcc, 0, v30
	v_and_b32_e32 v26, 3, v26
	v_cndmask_b32_e32 v3, v30, v3, vcc
	v_and_b32_sdwa v2, sext(v2), s51 dst_sel:DWORD dst_unused:UNUSED_PAD src0_sel:WORD_0 src1_sel:DWORD
	v_cndmask_b32_e32 v25, v25, v26, vcc
	v_lshl_add_u32 v2, v3, 23, v2
	v_lshl_or_b32 v2, v25, 21, v2
	v_add_u32_e32 v3, 0x38000000, v2
                                        ; implicit-def: $vgpr25
                                        ; implicit-def: $vgpr2
.LBB6_7348:                             ;   in Loop: Header=BB6_7336 Depth=2
	s_andn2_saveexec_b64 s[88:89], s[88:89]
; %bb.7349:                             ;   in Loop: Header=BB6_7336 Depth=2
	v_cmp_lt_i16_e32 vcc, -1, v2
	v_mov_b32_e32 v2, 0xff800000
	v_mov_b32_e32 v3, 0x7f800000
	v_cndmask_b32_e32 v2, v2, v3, vcc
	v_cmp_eq_u32_e32 vcc, 0, v25
	v_mov_b32_e32 v3, 0x7f800001
	v_cndmask_b32_e32 v3, v3, v2, vcc
; %bb.7350:                             ;   in Loop: Header=BB6_7336 Depth=2
	s_or_b64 exec, exec, s[88:89]
.LBB6_7351:                             ;   in Loop: Header=BB6_7336 Depth=2
	s_or_b64 exec, exec, s[78:79]
.LBB6_7352:                             ;   in Loop: Header=BB6_7336 Depth=2
	s_or_b64 exec, exec, s[18:19]
	v_mul_f32_e32 v2, v9, v3
	v_and_b32_e32 v25, 0x7f800000, v2
	v_mov_b32_e32 v26, v28
	v_cmp_ne_u64_e32 vcc, s[58:59], v[25:26]
	v_and_b32_e32 v27, 0x7fffff, v2
                                        ; implicit-def: $vgpr26
	s_and_saveexec_b64 s[18:19], vcc
	s_xor_b64 s[78:79], exec, s[18:19]
	s_cbranch_execz .LBB6_7370
; %bb.7353:                             ;   in Loop: Header=BB6_7336 Depth=2
	v_and_b32_e32 v25, 0x7fffffff, v2
	v_mov_b32_e32 v26, v28
	v_cmp_gt_u64_e32 vcc, s[60:61], v[25:26]
	v_and_b32_sdwa v9, v2, s52 dst_sel:DWORD dst_unused:UNUSED_PAD src0_sel:BYTE_3 src1_sel:DWORD
                                        ; implicit-def: $vgpr26
	s_and_saveexec_b64 s[18:19], vcc
	s_xor_b64 s[88:89], exec, s[18:19]
	s_cbranch_execz .LBB6_7367
; %bb.7354:                             ;   in Loop: Header=BB6_7336 Depth=2
	v_cmp_ne_u32_e32 vcc, 0, v2
	v_mov_b32_e32 v26, 0
	s_and_saveexec_b64 s[90:91], vcc
	s_cbranch_execz .LBB6_7366
; %bb.7355:                             ;   in Loop: Header=BB6_7336 Depth=2
	v_bfe_u32 v30, v2, 23, 8
	v_cmp_gt_u32_e64 s[18:19], s53, v30
	v_sub_u32_e32 v2, 0x71, v30
	v_cmp_eq_u32_e32 vcc, 0, v30
	v_cndmask_b32_e64 v2, 0, v2, s[18:19]
	v_mov_b32_e32 v25, 0x70
	v_cndmask_b32_e32 v41, v2, v25, vcc
	v_add_u32_e32 v25, 21, v41
	v_or_b32_e32 v3, 0x800000, v27
	v_lshlrev_b64 v[25:26], v25, -1
	v_cndmask_b32_e32 v2, v3, v27, vcc
	v_mov_b32_e32 v3, v28
	v_add_u32_e32 v27, 20, v41
	v_bfi_b32 v25, v25, 0, v2
	s_waitcnt vmcnt(0)
	v_lshlrev_b64 v[32:33], v27, 1
	v_lshrrev_b64 v[2:3], v41, v[2:3]
	v_bfi_b32 v26, v26, 0, 0
	v_cmp_eq_u64_e64 s[18:19], v[25:26], v[32:33]
	v_mov_b32_e32 v26, v3
	v_mov_b32_e32 v25, v2
	s_and_saveexec_b64 s[92:93], s[18:19]
; %bb.7356:                             ;   in Loop: Header=BB6_7336 Depth=2
	v_bfe_u32 v3, v2, 21, 1
	v_add_co_u32_e64 v3, s[18:19], v2, v3
	v_add_co_u32_e64 v25, s[18:19], -1, v3
; %bb.7357:                             ;   in Loop: Header=BB6_7336 Depth=2
	s_or_b64 exec, exec, s[92:93]
	v_add_u32_e32 v3, 0xffffff81, v30
	v_mov_b32_e32 v26, 0xffffff82
	v_cndmask_b32_e32 v3, v3, v26, vcc
	v_lshrrev_b32_e32 v26, 23, v2
	v_add3_u32 v30, v41, v3, v26
	v_add_u32_e32 v26, 14, v30
	v_and_b32_e32 v3, 0x1fffff, v25
	v_add_u32_e32 v27, v3, v2
	v_cmp_ne_u32_e32 vcc, 0, v26
                                        ; implicit-def: $vgpr2_vgpr3
                                        ; implicit-def: $vgpr25
	s_and_saveexec_b64 s[18:19], vcc
	s_xor_b64 s[18:19], exec, s[18:19]
; %bb.7358:                             ;   in Loop: Header=BB6_7336 Depth=2
	v_cmp_lt_u64_e32 vcc, s[62:63], v[27:28]
	v_add_u32_e32 v2, 15, v30
	v_cndmask_b32_e32 v25, v26, v2, vcc
	v_cndmask_b32_e64 v2, 0, 1, vcc
	v_lshrrev_b64 v[2:3], v2, v[27:28]
; %bb.7359:                             ;   in Loop: Header=BB6_7336 Depth=2
	s_or_saveexec_b64 s[18:19], s[18:19]
	buffer_load_dword v32, off, s[0:3], s33 offset:76 ; 4-byte Folded Reload
	buffer_load_dword v33, off, s[0:3], s33 offset:80 ; 4-byte Folded Reload
	s_xor_b64 exec, exec, s[18:19]
; %bb.7360:                             ;   in Loop: Header=BB6_7336 Depth=2
	v_mov_b32_e32 v2, v27
	v_mov_b32_e32 v3, v28
	v_bfe_u32 v25, v27, 23, 1
; %bb.7361:                             ;   in Loop: Header=BB6_7336 Depth=2
	s_or_b64 exec, exec, s[18:19]
	v_lshrrev_b64 v[2:3], 21, v[2:3]
	v_cmp_gt_i32_e32 vcc, 32, v25
	v_cndmask_b32_e32 v3, 0, v3, vcc
	v_cndmask_b32_e32 v2, 3, v2, vcc
	v_cmp_ne_u64_e32 vcc, 0, v[2:3]
	v_cmp_ne_u32_e64 s[18:19], 0, v25
	s_or_b64 s[18:19], s[18:19], vcc
                                        ; implicit-def: $vgpr26
	s_and_saveexec_b64 s[92:93], s[18:19]
	s_xor_b64 s[18:19], exec, s[92:93]
; %bb.7362:                             ;   in Loop: Header=BB6_7336 Depth=2
	v_min_i32_e32 v3, 31, v25
	v_lshl_or_b32 v3, v3, 2, v9
	v_and_or_b32 v26, v2, 3, v3
                                        ; implicit-def: $vgpr9
; %bb.7363:                             ;   in Loop: Header=BB6_7336 Depth=2
	s_andn2_saveexec_b64 s[18:19], s[18:19]
; %bb.7364:                             ;   in Loop: Header=BB6_7336 Depth=2
	v_mov_b32_e32 v26, v9
; %bb.7365:                             ;   in Loop: Header=BB6_7336 Depth=2
	s_or_b64 exec, exec, s[18:19]
.LBB6_7366:                             ;   in Loop: Header=BB6_7336 Depth=2
	s_or_b64 exec, exec, s[90:91]
                                        ; implicit-def: $vgpr9
.LBB6_7367:                             ;   in Loop: Header=BB6_7336 Depth=2
	s_andn2_saveexec_b64 s[18:19], s[88:89]
; %bb.7368:                             ;   in Loop: Header=BB6_7336 Depth=2
	v_or_b32_e32 v26, 0x7b, v9
; %bb.7369:                             ;   in Loop: Header=BB6_7336 Depth=2
	s_or_b64 exec, exec, s[18:19]
                                        ; implicit-def: $vgpr2
.LBB6_7370:                             ;   in Loop: Header=BB6_7336 Depth=2
	s_andn2_saveexec_b64 s[18:19], s[78:79]
	s_cbranch_execz .LBB6_7376
; %bb.7371:                             ;   in Loop: Header=BB6_7336 Depth=2
	v_cmp_ne_u64_e32 vcc, 0, v[27:28]
                                        ; implicit-def: $vgpr26
	s_and_saveexec_b64 s[78:79], vcc
	s_xor_b64 s[78:79], exec, s[78:79]
; %bb.7372:                             ;   in Loop: Header=BB6_7336 Depth=2
	v_or_b32_sdwa v26, v2, s54 dst_sel:DWORD dst_unused:UNUSED_PAD src0_sel:BYTE_3 src1_sel:DWORD
                                        ; implicit-def: $vgpr2
; %bb.7373:                             ;   in Loop: Header=BB6_7336 Depth=2
	s_andn2_saveexec_b64 s[78:79], s[78:79]
; %bb.7374:                             ;   in Loop: Header=BB6_7336 Depth=2
	v_cmp_lt_i32_e32 vcc, -1, v2
	v_mov_b32_e32 v2, 0x7c
	v_cndmask_b32_e32 v26, -4, v2, vcc
; %bb.7375:                             ;   in Loop: Header=BB6_7336 Depth=2
	s_or_b64 exec, exec, s[78:79]
.LBB6_7376:                             ;   in Loop: Header=BB6_7336 Depth=2
	s_or_b64 exec, exec, s[18:19]
	v_cmp_ne_u16_e32 vcc, 0, v29
	v_mov_b32_e32 v2, 0
	v_mov_b32_e32 v3, 0
	s_and_saveexec_b64 s[18:19], vcc
	s_cbranch_execz .LBB6_7384
; %bb.7377:                             ;   in Loop: Header=BB6_7336 Depth=2
	v_cmp_ne_u16_e32 vcc, s49, v29
	v_bfrev_b32_e32 v3, 1
	s_and_saveexec_b64 s[78:79], vcc
	s_cbranch_execz .LBB6_7383
; %bb.7378:                             ;   in Loop: Header=BB6_7336 Depth=2
	v_and_b32_e32 v3, 0x7c, v29
	v_and_b32_e32 v9, 3, v29
	v_cmp_ne_u32_e32 vcc, s50, v3
                                        ; implicit-def: $vgpr3
	s_and_saveexec_b64 s[88:89], vcc
	s_xor_b64 s[88:89], exec, s[88:89]
	s_cbranch_execz .LBB6_7380
; %bb.7379:                             ;   in Loop: Header=BB6_7336 Depth=2
	v_ffbh_u32_e32 v25, v9
	v_min_u32_e32 v25, 32, v25
	v_mov_b32_e32 v30, v28
	v_subrev_u32_e32 v27, 29, v25
	s_waitcnt vmcnt(0)
	v_lshlrev_b64 v[32:33], v27, v[29:30]
	v_and_b32_e32 v3, 0xff, v29
	v_and_b32_e32 v27, 3, v32
	buffer_load_dword v32, off, s[0:3], s33 offset:76 ; 4-byte Folded Reload
	buffer_load_dword v33, off, s[0:3], s33 offset:80 ; 4-byte Folded Reload
	v_bfe_u32 v3, v3, 2, 5
	v_sub_u32_e32 v25, 30, v25
	v_cmp_eq_u32_e32 vcc, 0, v3
	v_cndmask_b32_e32 v3, v3, v25, vcc
	v_and_b32_sdwa v25, sext(v29), s51 dst_sel:DWORD dst_unused:UNUSED_PAD src0_sel:WORD_0 src1_sel:DWORD
	v_cndmask_b32_e32 v9, v9, v27, vcc
	v_lshl_add_u32 v3, v3, 23, v25
	v_lshl_or_b32 v3, v9, 21, v3
	v_add_u32_e32 v3, 0x38000000, v3
                                        ; implicit-def: $vgpr9
                                        ; implicit-def: $vgpr29
.LBB6_7380:                             ;   in Loop: Header=BB6_7336 Depth=2
	s_andn2_saveexec_b64 s[88:89], s[88:89]
; %bb.7381:                             ;   in Loop: Header=BB6_7336 Depth=2
	v_cmp_lt_i16_e32 vcc, -1, v29
	v_mov_b32_e32 v3, 0xff800000
	v_mov_b32_e32 v25, 0x7f800000
	v_cndmask_b32_e32 v3, v3, v25, vcc
	v_cmp_eq_u32_e32 vcc, 0, v9
	v_mov_b32_e32 v9, 0x7f800001
	v_cndmask_b32_e32 v3, v9, v3, vcc
; %bb.7382:                             ;   in Loop: Header=BB6_7336 Depth=2
	s_or_b64 exec, exec, s[88:89]
.LBB6_7383:                             ;   in Loop: Header=BB6_7336 Depth=2
	s_or_b64 exec, exec, s[78:79]
.LBB6_7384:                             ;   in Loop: Header=BB6_7336 Depth=2
	s_or_b64 exec, exec, s[18:19]
	v_cmp_ne_u16_e32 vcc, 0, v24
	s_and_saveexec_b64 s[18:19], vcc
	s_cbranch_execz .LBB6_7392
; %bb.7385:                             ;   in Loop: Header=BB6_7336 Depth=2
	v_cmp_ne_u16_e32 vcc, s49, v24
	v_bfrev_b32_e32 v2, 1
	s_and_saveexec_b64 s[78:79], vcc
	s_cbranch_execz .LBB6_7391
; %bb.7386:                             ;   in Loop: Header=BB6_7336 Depth=2
	v_and_b32_e32 v2, 0x7c, v24
	v_and_b32_e32 v9, 3, v24
	v_cmp_ne_u32_e32 vcc, s50, v2
                                        ; implicit-def: $vgpr2
	s_and_saveexec_b64 s[88:89], vcc
	s_xor_b64 s[88:89], exec, s[88:89]
	s_cbranch_execz .LBB6_7388
; %bb.7387:                             ;   in Loop: Header=BB6_7336 Depth=2
	v_ffbh_u32_e32 v27, v9
	v_min_u32_e32 v27, 32, v27
	v_and_b32_e32 v2, 0xff, v24
	v_mov_b32_e32 v25, v28
	v_subrev_u32_e32 v29, 29, v27
	v_bfe_u32 v2, v2, 2, 5
	v_lshlrev_b64 v[29:30], v29, v[24:25]
	v_sub_u32_e32 v25, 30, v27
	v_cmp_eq_u32_e32 vcc, 0, v2
	v_and_b32_e32 v27, 3, v29
	v_cndmask_b32_e32 v2, v2, v25, vcc
	v_and_b32_sdwa v24, sext(v24), s51 dst_sel:DWORD dst_unused:UNUSED_PAD src0_sel:WORD_0 src1_sel:DWORD
	v_cndmask_b32_e32 v9, v9, v27, vcc
	v_lshl_add_u32 v2, v2, 23, v24
	v_lshl_or_b32 v2, v9, 21, v2
	v_add_u32_e32 v2, 0x38000000, v2
                                        ; implicit-def: $vgpr9
                                        ; implicit-def: $vgpr24
.LBB6_7388:                             ;   in Loop: Header=BB6_7336 Depth=2
	s_andn2_saveexec_b64 s[88:89], s[88:89]
; %bb.7389:                             ;   in Loop: Header=BB6_7336 Depth=2
	v_cmp_lt_i16_e32 vcc, -1, v24
	v_mov_b32_e32 v2, 0xff800000
	v_mov_b32_e32 v24, 0x7f800000
	v_cndmask_b32_e32 v2, v2, v24, vcc
	v_cmp_eq_u32_e32 vcc, 0, v9
	v_mov_b32_e32 v9, 0x7f800001
	v_cndmask_b32_e32 v2, v9, v2, vcc
; %bb.7390:                             ;   in Loop: Header=BB6_7336 Depth=2
	s_or_b64 exec, exec, s[88:89]
.LBB6_7391:                             ;   in Loop: Header=BB6_7336 Depth=2
	s_or_b64 exec, exec, s[78:79]
.LBB6_7392:                             ;   in Loop: Header=BB6_7336 Depth=2
	s_or_b64 exec, exec, s[18:19]
	v_mul_f32_e32 v2, v3, v2
	v_and_b32_e32 v24, 0x7f800000, v2
	v_mov_b32_e32 v25, v28
	v_cmp_ne_u64_e32 vcc, s[58:59], v[24:25]
	v_and_b32_e32 v27, 0x7fffff, v2
                                        ; implicit-def: $vgpr25
	s_and_saveexec_b64 s[18:19], vcc
	s_xor_b64 s[78:79], exec, s[18:19]
	s_cbranch_execz .LBB6_7410
; %bb.7393:                             ;   in Loop: Header=BB6_7336 Depth=2
	v_and_b32_e32 v24, 0x7fffffff, v2
	v_mov_b32_e32 v25, v28
	v_cmp_gt_u64_e32 vcc, s[60:61], v[24:25]
	v_and_b32_sdwa v9, v2, s52 dst_sel:DWORD dst_unused:UNUSED_PAD src0_sel:BYTE_3 src1_sel:DWORD
                                        ; implicit-def: $vgpr25
	s_and_saveexec_b64 s[18:19], vcc
	s_xor_b64 s[88:89], exec, s[18:19]
	s_cbranch_execz .LBB6_7407
; %bb.7394:                             ;   in Loop: Header=BB6_7336 Depth=2
	v_cmp_ne_u32_e32 vcc, 0, v2
	v_mov_b32_e32 v25, 0
	s_and_saveexec_b64 s[90:91], vcc
	s_cbranch_execz .LBB6_7406
; %bb.7395:                             ;   in Loop: Header=BB6_7336 Depth=2
	v_bfe_u32 v29, v2, 23, 8
	v_cmp_gt_u32_e64 s[18:19], s53, v29
	v_sub_u32_e32 v2, 0x71, v29
	v_cmp_eq_u32_e32 vcc, 0, v29
	v_cndmask_b32_e64 v2, 0, v2, s[18:19]
	v_mov_b32_e32 v24, 0x70
	v_cndmask_b32_e32 v30, v2, v24, vcc
	v_add_u32_e32 v24, 21, v30
	v_or_b32_e32 v3, 0x800000, v27
	v_lshlrev_b64 v[24:25], v24, -1
	v_cndmask_b32_e32 v2, v3, v27, vcc
	v_mov_b32_e32 v3, v28
	v_add_u32_e32 v27, 20, v30
	v_bfi_b32 v24, v24, 0, v2
	s_waitcnt vmcnt(0)
	v_lshlrev_b64 v[32:33], v27, 1
	v_lshrrev_b64 v[2:3], v30, v[2:3]
	v_bfi_b32 v25, v25, 0, 0
	v_cmp_eq_u64_e64 s[18:19], v[24:25], v[32:33]
	v_mov_b32_e32 v25, v3
	v_mov_b32_e32 v24, v2
	s_and_saveexec_b64 s[92:93], s[18:19]
; %bb.7396:                             ;   in Loop: Header=BB6_7336 Depth=2
	v_bfe_u32 v3, v2, 21, 1
	v_add_co_u32_e64 v3, s[18:19], v2, v3
	v_add_co_u32_e64 v24, s[18:19], -1, v3
; %bb.7397:                             ;   in Loop: Header=BB6_7336 Depth=2
	s_or_b64 exec, exec, s[92:93]
	v_add_u32_e32 v3, 0xffffff81, v29
	v_mov_b32_e32 v25, 0xffffff82
	v_cndmask_b32_e32 v3, v3, v25, vcc
	v_lshrrev_b32_e32 v25, 23, v2
	v_add3_u32 v29, v30, v3, v25
	v_add_u32_e32 v25, 14, v29
	v_and_b32_e32 v3, 0x1fffff, v24
	v_add_u32_e32 v27, v3, v2
	v_cmp_ne_u32_e32 vcc, 0, v25
                                        ; implicit-def: $vgpr2_vgpr3
                                        ; implicit-def: $vgpr24
	s_and_saveexec_b64 s[18:19], vcc
	s_xor_b64 s[18:19], exec, s[18:19]
; %bb.7398:                             ;   in Loop: Header=BB6_7336 Depth=2
	v_cmp_lt_u64_e32 vcc, s[62:63], v[27:28]
	v_add_u32_e32 v2, 15, v29
	v_cndmask_b32_e32 v24, v25, v2, vcc
	v_cndmask_b32_e64 v2, 0, 1, vcc
	v_lshrrev_b64 v[2:3], v2, v[27:28]
; %bb.7399:                             ;   in Loop: Header=BB6_7336 Depth=2
	s_or_saveexec_b64 s[18:19], s[18:19]
	buffer_load_dword v32, off, s[0:3], s33 offset:76 ; 4-byte Folded Reload
	buffer_load_dword v33, off, s[0:3], s33 offset:80 ; 4-byte Folded Reload
	s_xor_b64 exec, exec, s[18:19]
; %bb.7400:                             ;   in Loop: Header=BB6_7336 Depth=2
	v_mov_b32_e32 v2, v27
	v_mov_b32_e32 v3, v28
	v_bfe_u32 v24, v27, 23, 1
; %bb.7401:                             ;   in Loop: Header=BB6_7336 Depth=2
	s_or_b64 exec, exec, s[18:19]
	v_lshrrev_b64 v[2:3], 21, v[2:3]
	v_cmp_gt_i32_e32 vcc, 32, v24
	v_cndmask_b32_e32 v3, 0, v3, vcc
	v_cndmask_b32_e32 v2, 3, v2, vcc
	v_cmp_ne_u64_e32 vcc, 0, v[2:3]
	v_cmp_ne_u32_e64 s[18:19], 0, v24
	s_or_b64 s[18:19], s[18:19], vcc
                                        ; implicit-def: $vgpr25
	s_and_saveexec_b64 s[92:93], s[18:19]
	s_xor_b64 s[18:19], exec, s[92:93]
; %bb.7402:                             ;   in Loop: Header=BB6_7336 Depth=2
	v_min_i32_e32 v3, 31, v24
	v_lshl_or_b32 v3, v3, 2, v9
	v_and_or_b32 v25, v2, 3, v3
                                        ; implicit-def: $vgpr9
; %bb.7403:                             ;   in Loop: Header=BB6_7336 Depth=2
	s_andn2_saveexec_b64 s[18:19], s[18:19]
; %bb.7404:                             ;   in Loop: Header=BB6_7336 Depth=2
	v_mov_b32_e32 v25, v9
; %bb.7405:                             ;   in Loop: Header=BB6_7336 Depth=2
	s_or_b64 exec, exec, s[18:19]
.LBB6_7406:                             ;   in Loop: Header=BB6_7336 Depth=2
	s_or_b64 exec, exec, s[90:91]
                                        ; implicit-def: $vgpr9
.LBB6_7407:                             ;   in Loop: Header=BB6_7336 Depth=2
	s_andn2_saveexec_b64 s[18:19], s[88:89]
; %bb.7408:                             ;   in Loop: Header=BB6_7336 Depth=2
	v_or_b32_e32 v25, 0x7b, v9
; %bb.7409:                             ;   in Loop: Header=BB6_7336 Depth=2
	s_or_b64 exec, exec, s[18:19]
                                        ; implicit-def: $vgpr2
.LBB6_7410:                             ;   in Loop: Header=BB6_7336 Depth=2
	s_andn2_saveexec_b64 s[18:19], s[78:79]
	s_cbranch_execz .LBB6_7416
; %bb.7411:                             ;   in Loop: Header=BB6_7336 Depth=2
	v_cmp_ne_u64_e32 vcc, 0, v[27:28]
                                        ; implicit-def: $vgpr25
	s_and_saveexec_b64 s[78:79], vcc
	s_xor_b64 s[78:79], exec, s[78:79]
; %bb.7412:                             ;   in Loop: Header=BB6_7336 Depth=2
	v_or_b32_sdwa v25, v2, s54 dst_sel:DWORD dst_unused:UNUSED_PAD src0_sel:BYTE_3 src1_sel:DWORD
                                        ; implicit-def: $vgpr2
; %bb.7413:                             ;   in Loop: Header=BB6_7336 Depth=2
	s_andn2_saveexec_b64 s[78:79], s[78:79]
; %bb.7414:                             ;   in Loop: Header=BB6_7336 Depth=2
	v_cmp_lt_i32_e32 vcc, -1, v2
	v_mov_b32_e32 v2, 0x7c
	v_cndmask_b32_e32 v25, -4, v2, vcc
; %bb.7415:                             ;   in Loop: Header=BB6_7336 Depth=2
	s_or_b64 exec, exec, s[78:79]
.LBB6_7416:                             ;   in Loop: Header=BB6_7336 Depth=2
	s_or_b64 exec, exec, s[18:19]
	v_cmp_ne_u16_e32 vcc, 0, v23
	v_mov_b32_e32 v2, 0
	v_mov_b32_e32 v3, 0
	s_and_saveexec_b64 s[18:19], vcc
	s_cbranch_execz .LBB6_7424
; %bb.7417:                             ;   in Loop: Header=BB6_7336 Depth=2
	v_cmp_ne_u16_e32 vcc, s49, v23
	v_bfrev_b32_e32 v3, 1
	s_and_saveexec_b64 s[78:79], vcc
	s_cbranch_execz .LBB6_7423
; %bb.7418:                             ;   in Loop: Header=BB6_7336 Depth=2
	v_and_b32_e32 v3, 0x7c, v23
	v_and_b32_e32 v9, 3, v23
	v_cmp_ne_u32_e32 vcc, s50, v3
                                        ; implicit-def: $vgpr3
	s_and_saveexec_b64 s[88:89], vcc
	s_xor_b64 s[88:89], exec, s[88:89]
	s_cbranch_execz .LBB6_7420
; %bb.7419:                             ;   in Loop: Header=BB6_7336 Depth=2
	v_ffbh_u32_e32 v27, v9
	v_min_u32_e32 v27, 32, v27
	v_and_b32_e32 v3, 0xff, v23
	v_mov_b32_e32 v24, v28
	v_subrev_u32_e32 v29, 29, v27
	v_bfe_u32 v3, v3, 2, 5
	v_lshlrev_b64 v[29:30], v29, v[23:24]
	v_sub_u32_e32 v24, 30, v27
	v_cmp_eq_u32_e32 vcc, 0, v3
	v_and_b32_e32 v27, 3, v29
	v_cndmask_b32_e32 v3, v3, v24, vcc
	v_and_b32_sdwa v23, sext(v23), s51 dst_sel:DWORD dst_unused:UNUSED_PAD src0_sel:WORD_0 src1_sel:DWORD
	v_cndmask_b32_e32 v9, v9, v27, vcc
	v_lshl_add_u32 v3, v3, 23, v23
	v_lshl_or_b32 v3, v9, 21, v3
	v_add_u32_e32 v3, 0x38000000, v3
                                        ; implicit-def: $vgpr9
                                        ; implicit-def: $vgpr23
.LBB6_7420:                             ;   in Loop: Header=BB6_7336 Depth=2
	s_andn2_saveexec_b64 s[88:89], s[88:89]
; %bb.7421:                             ;   in Loop: Header=BB6_7336 Depth=2
	v_cmp_lt_i16_e32 vcc, -1, v23
	v_mov_b32_e32 v3, 0xff800000
	v_mov_b32_e32 v23, 0x7f800000
	v_cndmask_b32_e32 v3, v3, v23, vcc
	v_cmp_eq_u32_e32 vcc, 0, v9
	v_mov_b32_e32 v9, 0x7f800001
	v_cndmask_b32_e32 v3, v9, v3, vcc
; %bb.7422:                             ;   in Loop: Header=BB6_7336 Depth=2
	s_or_b64 exec, exec, s[88:89]
.LBB6_7423:                             ;   in Loop: Header=BB6_7336 Depth=2
	s_or_b64 exec, exec, s[78:79]
.LBB6_7424:                             ;   in Loop: Header=BB6_7336 Depth=2
	s_or_b64 exec, exec, s[18:19]
	v_cmp_ne_u16_e32 vcc, 0, v22
	s_and_saveexec_b64 s[18:19], vcc
	s_cbranch_execz .LBB6_7432
; %bb.7425:                             ;   in Loop: Header=BB6_7336 Depth=2
	v_cmp_ne_u16_e32 vcc, s49, v22
	v_bfrev_b32_e32 v2, 1
	s_and_saveexec_b64 s[78:79], vcc
	s_cbranch_execz .LBB6_7431
; %bb.7426:                             ;   in Loop: Header=BB6_7336 Depth=2
	v_and_b32_e32 v2, 0x7c, v22
	v_and_b32_e32 v9, 3, v22
	v_cmp_ne_u32_e32 vcc, s50, v2
                                        ; implicit-def: $vgpr2
	s_and_saveexec_b64 s[88:89], vcc
	s_xor_b64 s[88:89], exec, s[88:89]
	s_cbranch_execz .LBB6_7428
; %bb.7427:                             ;   in Loop: Header=BB6_7336 Depth=2
	v_ffbh_u32_e32 v24, v9
	v_min_u32_e32 v27, 32, v24
	v_and_b32_e32 v2, 0xff, v22
	v_mov_b32_e32 v23, v28
	v_subrev_u32_e32 v24, 29, v27
	v_bfe_u32 v2, v2, 2, 5
	v_lshlrev_b64 v[23:24], v24, v[22:23]
	v_sub_u32_e32 v24, 30, v27
	v_cmp_eq_u32_e32 vcc, 0, v2
	v_and_b32_e32 v23, 3, v23
	v_cndmask_b32_e32 v2, v2, v24, vcc
	v_and_b32_sdwa v22, sext(v22), s51 dst_sel:DWORD dst_unused:UNUSED_PAD src0_sel:WORD_0 src1_sel:DWORD
	v_cndmask_b32_e32 v9, v9, v23, vcc
	v_lshl_add_u32 v2, v2, 23, v22
	v_lshl_or_b32 v2, v9, 21, v2
	v_add_u32_e32 v2, 0x38000000, v2
                                        ; implicit-def: $vgpr9
                                        ; implicit-def: $vgpr22
.LBB6_7428:                             ;   in Loop: Header=BB6_7336 Depth=2
	s_andn2_saveexec_b64 s[88:89], s[88:89]
; %bb.7429:                             ;   in Loop: Header=BB6_7336 Depth=2
	v_cmp_lt_i16_e32 vcc, -1, v22
	v_mov_b32_e32 v2, 0xff800000
	v_mov_b32_e32 v22, 0x7f800000
	v_cndmask_b32_e32 v2, v2, v22, vcc
	v_cmp_eq_u32_e32 vcc, 0, v9
	v_mov_b32_e32 v9, 0x7f800001
	v_cndmask_b32_e32 v2, v9, v2, vcc
; %bb.7430:                             ;   in Loop: Header=BB6_7336 Depth=2
	s_or_b64 exec, exec, s[88:89]
.LBB6_7431:                             ;   in Loop: Header=BB6_7336 Depth=2
	s_or_b64 exec, exec, s[78:79]
.LBB6_7432:                             ;   in Loop: Header=BB6_7336 Depth=2
	s_or_b64 exec, exec, s[18:19]
	v_mul_f32_e32 v2, v3, v2
	v_and_b32_e32 v22, 0x7f800000, v2
	v_mov_b32_e32 v23, v28
	v_cmp_ne_u64_e32 vcc, s[58:59], v[22:23]
	v_and_b32_e32 v27, 0x7fffff, v2
                                        ; implicit-def: $vgpr23
	s_and_saveexec_b64 s[18:19], vcc
	s_xor_b64 s[78:79], exec, s[18:19]
	s_cbranch_execz .LBB6_7450
; %bb.7433:                             ;   in Loop: Header=BB6_7336 Depth=2
	v_and_b32_e32 v22, 0x7fffffff, v2
	v_mov_b32_e32 v23, v28
	v_cmp_gt_u64_e32 vcc, s[60:61], v[22:23]
	v_and_b32_sdwa v9, v2, s52 dst_sel:DWORD dst_unused:UNUSED_PAD src0_sel:BYTE_3 src1_sel:DWORD
                                        ; implicit-def: $vgpr23
	s_and_saveexec_b64 s[18:19], vcc
	s_xor_b64 s[88:89], exec, s[18:19]
	s_cbranch_execz .LBB6_7447
; %bb.7434:                             ;   in Loop: Header=BB6_7336 Depth=2
	v_cmp_ne_u32_e32 vcc, 0, v2
	v_mov_b32_e32 v23, 0
	s_and_saveexec_b64 s[90:91], vcc
	s_cbranch_execz .LBB6_7446
; %bb.7435:                             ;   in Loop: Header=BB6_7336 Depth=2
	v_bfe_u32 v24, v2, 23, 8
	v_cmp_gt_u32_e64 s[18:19], s53, v24
	v_sub_u32_e32 v2, 0x71, v24
	v_cmp_eq_u32_e32 vcc, 0, v24
	v_cndmask_b32_e64 v2, 0, v2, s[18:19]
	v_mov_b32_e32 v22, 0x70
	v_cndmask_b32_e32 v29, v2, v22, vcc
	v_add_u32_e32 v22, 21, v29
	v_or_b32_e32 v3, 0x800000, v27
	v_lshlrev_b64 v[22:23], v22, -1
	v_cndmask_b32_e32 v2, v3, v27, vcc
	v_mov_b32_e32 v3, v28
	v_add_u32_e32 v27, 20, v29
	v_bfi_b32 v22, v22, 0, v2
	s_waitcnt vmcnt(0)
	v_lshlrev_b64 v[32:33], v27, 1
	v_lshrrev_b64 v[2:3], v29, v[2:3]
	v_bfi_b32 v23, v23, 0, 0
	v_cmp_eq_u64_e64 s[18:19], v[22:23], v[32:33]
	v_mov_b32_e32 v23, v3
	v_mov_b32_e32 v22, v2
	s_and_saveexec_b64 s[92:93], s[18:19]
; %bb.7436:                             ;   in Loop: Header=BB6_7336 Depth=2
	v_bfe_u32 v3, v2, 21, 1
	v_add_co_u32_e64 v3, s[18:19], v2, v3
	v_add_co_u32_e64 v22, s[18:19], -1, v3
; %bb.7437:                             ;   in Loop: Header=BB6_7336 Depth=2
	s_or_b64 exec, exec, s[92:93]
	v_add_u32_e32 v3, 0xffffff81, v24
	v_mov_b32_e32 v23, 0xffffff82
	v_cndmask_b32_e32 v3, v3, v23, vcc
	v_lshrrev_b32_e32 v23, 23, v2
	v_add3_u32 v24, v29, v3, v23
	v_add_u32_e32 v23, 14, v24
	v_and_b32_e32 v3, 0x1fffff, v22
	v_add_u32_e32 v27, v3, v2
	v_cmp_ne_u32_e32 vcc, 0, v23
                                        ; implicit-def: $vgpr2_vgpr3
                                        ; implicit-def: $vgpr22
	s_and_saveexec_b64 s[18:19], vcc
	s_xor_b64 s[18:19], exec, s[18:19]
; %bb.7438:                             ;   in Loop: Header=BB6_7336 Depth=2
	v_cmp_lt_u64_e32 vcc, s[62:63], v[27:28]
	v_add_u32_e32 v2, 15, v24
	v_cndmask_b32_e32 v22, v23, v2, vcc
	v_cndmask_b32_e64 v2, 0, 1, vcc
	v_lshrrev_b64 v[2:3], v2, v[27:28]
; %bb.7439:                             ;   in Loop: Header=BB6_7336 Depth=2
	s_or_saveexec_b64 s[18:19], s[18:19]
	buffer_load_dword v32, off, s[0:3], s33 offset:76 ; 4-byte Folded Reload
	buffer_load_dword v33, off, s[0:3], s33 offset:80 ; 4-byte Folded Reload
	s_xor_b64 exec, exec, s[18:19]
; %bb.7440:                             ;   in Loop: Header=BB6_7336 Depth=2
	v_mov_b32_e32 v2, v27
	v_mov_b32_e32 v3, v28
	v_bfe_u32 v22, v27, 23, 1
; %bb.7441:                             ;   in Loop: Header=BB6_7336 Depth=2
	s_or_b64 exec, exec, s[18:19]
	v_lshrrev_b64 v[2:3], 21, v[2:3]
	v_cmp_gt_i32_e32 vcc, 32, v22
	v_cndmask_b32_e32 v3, 0, v3, vcc
	v_cndmask_b32_e32 v2, 3, v2, vcc
	v_cmp_ne_u64_e32 vcc, 0, v[2:3]
	v_cmp_ne_u32_e64 s[18:19], 0, v22
	s_or_b64 s[18:19], s[18:19], vcc
                                        ; implicit-def: $vgpr23
	s_and_saveexec_b64 s[92:93], s[18:19]
	s_xor_b64 s[18:19], exec, s[92:93]
; %bb.7442:                             ;   in Loop: Header=BB6_7336 Depth=2
	v_min_i32_e32 v3, 31, v22
	v_lshl_or_b32 v3, v3, 2, v9
	v_and_or_b32 v23, v2, 3, v3
                                        ; implicit-def: $vgpr9
; %bb.7443:                             ;   in Loop: Header=BB6_7336 Depth=2
	s_andn2_saveexec_b64 s[18:19], s[18:19]
; %bb.7444:                             ;   in Loop: Header=BB6_7336 Depth=2
	v_mov_b32_e32 v23, v9
; %bb.7445:                             ;   in Loop: Header=BB6_7336 Depth=2
	s_or_b64 exec, exec, s[18:19]
.LBB6_7446:                             ;   in Loop: Header=BB6_7336 Depth=2
	s_or_b64 exec, exec, s[90:91]
                                        ; implicit-def: $vgpr9
.LBB6_7447:                             ;   in Loop: Header=BB6_7336 Depth=2
	s_andn2_saveexec_b64 s[18:19], s[88:89]
; %bb.7448:                             ;   in Loop: Header=BB6_7336 Depth=2
	v_or_b32_e32 v23, 0x7b, v9
; %bb.7449:                             ;   in Loop: Header=BB6_7336 Depth=2
	s_or_b64 exec, exec, s[18:19]
                                        ; implicit-def: $vgpr2
.LBB6_7450:                             ;   in Loop: Header=BB6_7336 Depth=2
	s_andn2_saveexec_b64 s[18:19], s[78:79]
	s_cbranch_execz .LBB6_7456
; %bb.7451:                             ;   in Loop: Header=BB6_7336 Depth=2
	v_cmp_ne_u64_e32 vcc, 0, v[27:28]
                                        ; implicit-def: $vgpr23
	s_and_saveexec_b64 s[78:79], vcc
	s_xor_b64 s[78:79], exec, s[78:79]
; %bb.7452:                             ;   in Loop: Header=BB6_7336 Depth=2
	v_or_b32_sdwa v23, v2, s54 dst_sel:DWORD dst_unused:UNUSED_PAD src0_sel:BYTE_3 src1_sel:DWORD
                                        ; implicit-def: $vgpr2
; %bb.7453:                             ;   in Loop: Header=BB6_7336 Depth=2
	s_andn2_saveexec_b64 s[78:79], s[78:79]
; %bb.7454:                             ;   in Loop: Header=BB6_7336 Depth=2
	v_cmp_lt_i32_e32 vcc, -1, v2
	v_mov_b32_e32 v2, 0x7c
	v_cndmask_b32_e32 v23, -4, v2, vcc
; %bb.7455:                             ;   in Loop: Header=BB6_7336 Depth=2
	s_or_b64 exec, exec, s[78:79]
.LBB6_7456:                             ;   in Loop: Header=BB6_7336 Depth=2
	s_or_b64 exec, exec, s[18:19]
	v_cmp_ne_u16_e32 vcc, 0, v21
	v_mov_b32_e32 v2, 0
	v_mov_b32_e32 v3, 0
	s_and_saveexec_b64 s[18:19], vcc
	s_cbranch_execz .LBB6_7464
; %bb.7457:                             ;   in Loop: Header=BB6_7336 Depth=2
	v_cmp_ne_u16_e32 vcc, s49, v21
	v_bfrev_b32_e32 v3, 1
	s_and_saveexec_b64 s[78:79], vcc
	s_cbranch_execz .LBB6_7463
; %bb.7458:                             ;   in Loop: Header=BB6_7336 Depth=2
	v_and_b32_e32 v3, 0x7c, v21
	v_and_b32_e32 v9, 3, v21
	v_cmp_ne_u32_e32 vcc, s50, v3
                                        ; implicit-def: $vgpr3
	s_and_saveexec_b64 s[88:89], vcc
	s_xor_b64 s[88:89], exec, s[88:89]
	s_cbranch_execz .LBB6_7460
; %bb.7459:                             ;   in Loop: Header=BB6_7336 Depth=2
	v_ffbh_u32_e32 v24, v9
	v_min_u32_e32 v24, 32, v24
	v_and_b32_e32 v3, 0xff, v21
	v_mov_b32_e32 v22, v28
	v_subrev_u32_e32 v27, 29, v24
	v_bfe_u32 v3, v3, 2, 5
	v_lshlrev_b64 v[29:30], v27, v[21:22]
	v_sub_u32_e32 v22, 30, v24
	v_cmp_eq_u32_e32 vcc, 0, v3
	v_and_b32_e32 v24, 3, v29
	v_cndmask_b32_e32 v3, v3, v22, vcc
	v_and_b32_sdwa v21, sext(v21), s51 dst_sel:DWORD dst_unused:UNUSED_PAD src0_sel:WORD_0 src1_sel:DWORD
	v_cndmask_b32_e32 v9, v9, v24, vcc
	v_lshl_add_u32 v3, v3, 23, v21
	v_lshl_or_b32 v3, v9, 21, v3
	v_add_u32_e32 v3, 0x38000000, v3
                                        ; implicit-def: $vgpr9
                                        ; implicit-def: $vgpr21
.LBB6_7460:                             ;   in Loop: Header=BB6_7336 Depth=2
	s_andn2_saveexec_b64 s[88:89], s[88:89]
; %bb.7461:                             ;   in Loop: Header=BB6_7336 Depth=2
	v_cmp_lt_i16_e32 vcc, -1, v21
	v_mov_b32_e32 v3, 0xff800000
	v_mov_b32_e32 v21, 0x7f800000
	v_cndmask_b32_e32 v3, v3, v21, vcc
	v_cmp_eq_u32_e32 vcc, 0, v9
	v_mov_b32_e32 v9, 0x7f800001
	v_cndmask_b32_e32 v3, v9, v3, vcc
; %bb.7462:                             ;   in Loop: Header=BB6_7336 Depth=2
	s_or_b64 exec, exec, s[88:89]
.LBB6_7463:                             ;   in Loop: Header=BB6_7336 Depth=2
	s_or_b64 exec, exec, s[78:79]
.LBB6_7464:                             ;   in Loop: Header=BB6_7336 Depth=2
	s_or_b64 exec, exec, s[18:19]
	v_cmp_ne_u16_e32 vcc, 0, v20
	s_and_saveexec_b64 s[18:19], vcc
	s_cbranch_execz .LBB6_7472
; %bb.7465:                             ;   in Loop: Header=BB6_7336 Depth=2
	v_cmp_ne_u16_e32 vcc, s49, v20
	v_bfrev_b32_e32 v2, 1
	s_and_saveexec_b64 s[78:79], vcc
	s_cbranch_execz .LBB6_7471
; %bb.7466:                             ;   in Loop: Header=BB6_7336 Depth=2
	v_and_b32_e32 v2, 0x7c, v20
	v_and_b32_e32 v9, 3, v20
	v_cmp_ne_u32_e32 vcc, s50, v2
                                        ; implicit-def: $vgpr2
	s_and_saveexec_b64 s[88:89], vcc
	s_xor_b64 s[88:89], exec, s[88:89]
	s_cbranch_execz .LBB6_7468
; %bb.7467:                             ;   in Loop: Header=BB6_7336 Depth=2
	v_ffbh_u32_e32 v22, v9
	v_min_u32_e32 v24, 32, v22
	v_and_b32_e32 v2, 0xff, v20
	v_mov_b32_e32 v21, v28
	v_subrev_u32_e32 v22, 29, v24
	v_bfe_u32 v2, v2, 2, 5
	v_lshlrev_b64 v[21:22], v22, v[20:21]
	v_sub_u32_e32 v22, 30, v24
	v_cmp_eq_u32_e32 vcc, 0, v2
	v_and_b32_e32 v21, 3, v21
	v_cndmask_b32_e32 v2, v2, v22, vcc
	v_and_b32_sdwa v20, sext(v20), s51 dst_sel:DWORD dst_unused:UNUSED_PAD src0_sel:WORD_0 src1_sel:DWORD
	v_cndmask_b32_e32 v9, v9, v21, vcc
	v_lshl_add_u32 v2, v2, 23, v20
	v_lshl_or_b32 v2, v9, 21, v2
	v_add_u32_e32 v2, 0x38000000, v2
                                        ; implicit-def: $vgpr9
                                        ; implicit-def: $vgpr20
.LBB6_7468:                             ;   in Loop: Header=BB6_7336 Depth=2
	s_andn2_saveexec_b64 s[88:89], s[88:89]
; %bb.7469:                             ;   in Loop: Header=BB6_7336 Depth=2
	v_cmp_lt_i16_e32 vcc, -1, v20
	v_mov_b32_e32 v2, 0xff800000
	v_mov_b32_e32 v20, 0x7f800000
	v_cndmask_b32_e32 v2, v2, v20, vcc
	v_cmp_eq_u32_e32 vcc, 0, v9
	v_mov_b32_e32 v9, 0x7f800001
	v_cndmask_b32_e32 v2, v9, v2, vcc
; %bb.7470:                             ;   in Loop: Header=BB6_7336 Depth=2
	s_or_b64 exec, exec, s[88:89]
.LBB6_7471:                             ;   in Loop: Header=BB6_7336 Depth=2
	s_or_b64 exec, exec, s[78:79]
.LBB6_7472:                             ;   in Loop: Header=BB6_7336 Depth=2
	s_or_b64 exec, exec, s[18:19]
	v_mul_f32_e32 v2, v3, v2
	v_and_b32_e32 v20, 0x7f800000, v2
	v_mov_b32_e32 v21, v28
	v_cmp_ne_u64_e32 vcc, s[58:59], v[20:21]
	v_and_b32_e32 v27, 0x7fffff, v2
                                        ; implicit-def: $vgpr21
	s_and_saveexec_b64 s[18:19], vcc
	s_xor_b64 s[78:79], exec, s[18:19]
	s_cbranch_execz .LBB6_7490
; %bb.7473:                             ;   in Loop: Header=BB6_7336 Depth=2
	v_and_b32_e32 v20, 0x7fffffff, v2
	v_mov_b32_e32 v21, v28
	v_cmp_gt_u64_e32 vcc, s[60:61], v[20:21]
	v_and_b32_sdwa v9, v2, s52 dst_sel:DWORD dst_unused:UNUSED_PAD src0_sel:BYTE_3 src1_sel:DWORD
                                        ; implicit-def: $vgpr21
	s_and_saveexec_b64 s[18:19], vcc
	s_xor_b64 s[88:89], exec, s[18:19]
	s_cbranch_execz .LBB6_7487
; %bb.7474:                             ;   in Loop: Header=BB6_7336 Depth=2
	v_cmp_ne_u32_e32 vcc, 0, v2
	v_mov_b32_e32 v21, 0
	s_and_saveexec_b64 s[90:91], vcc
	s_cbranch_execz .LBB6_7486
; %bb.7475:                             ;   in Loop: Header=BB6_7336 Depth=2
	v_bfe_u32 v22, v2, 23, 8
	v_cmp_gt_u32_e64 s[18:19], s53, v22
	v_sub_u32_e32 v2, 0x71, v22
	v_cmp_eq_u32_e32 vcc, 0, v22
	v_cndmask_b32_e64 v2, 0, v2, s[18:19]
	v_mov_b32_e32 v20, 0x70
	v_cndmask_b32_e32 v24, v2, v20, vcc
	v_add_u32_e32 v20, 21, v24
	v_or_b32_e32 v3, 0x800000, v27
	v_lshlrev_b64 v[20:21], v20, -1
	v_cndmask_b32_e32 v2, v3, v27, vcc
	v_mov_b32_e32 v3, v28
	v_add_u32_e32 v27, 20, v24
	v_bfi_b32 v20, v20, 0, v2
	v_lshlrev_b64 v[29:30], v27, 1
	v_lshrrev_b64 v[2:3], v24, v[2:3]
	v_bfi_b32 v21, v21, 0, 0
	v_cmp_eq_u64_e64 s[18:19], v[20:21], v[29:30]
	v_mov_b32_e32 v21, v3
	v_mov_b32_e32 v20, v2
	s_and_saveexec_b64 s[92:93], s[18:19]
; %bb.7476:                             ;   in Loop: Header=BB6_7336 Depth=2
	v_bfe_u32 v3, v2, 21, 1
	v_add_co_u32_e64 v3, s[18:19], v2, v3
	v_add_co_u32_e64 v20, s[18:19], -1, v3
; %bb.7477:                             ;   in Loop: Header=BB6_7336 Depth=2
	s_or_b64 exec, exec, s[92:93]
	v_add_u32_e32 v3, 0xffffff81, v22
	v_mov_b32_e32 v21, 0xffffff82
	v_cndmask_b32_e32 v3, v3, v21, vcc
	v_lshrrev_b32_e32 v21, 23, v2
	v_add3_u32 v22, v24, v3, v21
	v_add_u32_e32 v21, 14, v22
	v_and_b32_e32 v3, 0x1fffff, v20
	v_add_u32_e32 v27, v3, v2
	v_cmp_ne_u32_e32 vcc, 0, v21
                                        ; implicit-def: $vgpr2_vgpr3
                                        ; implicit-def: $vgpr20
	s_and_saveexec_b64 s[18:19], vcc
	s_xor_b64 s[18:19], exec, s[18:19]
; %bb.7478:                             ;   in Loop: Header=BB6_7336 Depth=2
	v_cmp_lt_u64_e32 vcc, s[62:63], v[27:28]
	v_add_u32_e32 v2, 15, v22
	v_cndmask_b32_e32 v20, v21, v2, vcc
	v_cndmask_b32_e64 v2, 0, 1, vcc
	v_lshrrev_b64 v[2:3], v2, v[27:28]
; %bb.7479:                             ;   in Loop: Header=BB6_7336 Depth=2
	s_andn2_saveexec_b64 s[18:19], s[18:19]
; %bb.7480:                             ;   in Loop: Header=BB6_7336 Depth=2
	v_mov_b32_e32 v2, v27
	v_mov_b32_e32 v3, v28
	v_bfe_u32 v20, v27, 23, 1
; %bb.7481:                             ;   in Loop: Header=BB6_7336 Depth=2
	s_or_b64 exec, exec, s[18:19]
	v_lshrrev_b64 v[2:3], 21, v[2:3]
	v_cmp_gt_i32_e32 vcc, 32, v20
	v_cndmask_b32_e32 v3, 0, v3, vcc
	v_cndmask_b32_e32 v2, 3, v2, vcc
	v_cmp_ne_u64_e32 vcc, 0, v[2:3]
	v_cmp_ne_u32_e64 s[18:19], 0, v20
	s_or_b64 s[18:19], s[18:19], vcc
                                        ; implicit-def: $vgpr21
	s_and_saveexec_b64 s[92:93], s[18:19]
	s_xor_b64 s[18:19], exec, s[92:93]
; %bb.7482:                             ;   in Loop: Header=BB6_7336 Depth=2
	v_min_i32_e32 v3, 31, v20
	v_lshl_or_b32 v3, v3, 2, v9
	v_and_or_b32 v21, v2, 3, v3
                                        ; implicit-def: $vgpr9
; %bb.7483:                             ;   in Loop: Header=BB6_7336 Depth=2
	s_andn2_saveexec_b64 s[18:19], s[18:19]
; %bb.7484:                             ;   in Loop: Header=BB6_7336 Depth=2
	v_mov_b32_e32 v21, v9
; %bb.7485:                             ;   in Loop: Header=BB6_7336 Depth=2
	s_or_b64 exec, exec, s[18:19]
.LBB6_7486:                             ;   in Loop: Header=BB6_7336 Depth=2
	s_or_b64 exec, exec, s[90:91]
                                        ; implicit-def: $vgpr9
.LBB6_7487:                             ;   in Loop: Header=BB6_7336 Depth=2
	s_andn2_saveexec_b64 s[18:19], s[88:89]
; %bb.7488:                             ;   in Loop: Header=BB6_7336 Depth=2
	v_or_b32_e32 v21, 0x7b, v9
; %bb.7489:                             ;   in Loop: Header=BB6_7336 Depth=2
	s_or_b64 exec, exec, s[18:19]
                                        ; implicit-def: $vgpr2
.LBB6_7490:                             ;   in Loop: Header=BB6_7336 Depth=2
	s_andn2_saveexec_b64 s[18:19], s[78:79]
	s_cbranch_execz .LBB6_7496
; %bb.7491:                             ;   in Loop: Header=BB6_7336 Depth=2
	v_cmp_ne_u64_e32 vcc, 0, v[27:28]
                                        ; implicit-def: $vgpr21
	s_and_saveexec_b64 s[78:79], vcc
	s_xor_b64 s[78:79], exec, s[78:79]
; %bb.7492:                             ;   in Loop: Header=BB6_7336 Depth=2
	v_or_b32_sdwa v21, v2, s54 dst_sel:DWORD dst_unused:UNUSED_PAD src0_sel:BYTE_3 src1_sel:DWORD
                                        ; implicit-def: $vgpr2
; %bb.7493:                             ;   in Loop: Header=BB6_7336 Depth=2
	s_andn2_saveexec_b64 s[78:79], s[78:79]
; %bb.7494:                             ;   in Loop: Header=BB6_7336 Depth=2
	v_cmp_lt_i32_e32 vcc, -1, v2
	v_mov_b32_e32 v2, 0x7c
	v_cndmask_b32_e32 v21, -4, v2, vcc
; %bb.7495:                             ;   in Loop: Header=BB6_7336 Depth=2
	s_or_b64 exec, exec, s[78:79]
.LBB6_7496:                             ;   in Loop: Header=BB6_7336 Depth=2
	s_or_b64 exec, exec, s[18:19]
	v_cmp_ne_u16_e32 vcc, 0, v19
	v_mov_b32_e32 v2, 0
	v_mov_b32_e32 v3, 0
	s_and_saveexec_b64 s[18:19], vcc
	s_cbranch_execz .LBB6_7504
; %bb.7497:                             ;   in Loop: Header=BB6_7336 Depth=2
	v_cmp_ne_u16_e32 vcc, s49, v19
	v_bfrev_b32_e32 v3, 1
	s_and_saveexec_b64 s[78:79], vcc
	s_cbranch_execz .LBB6_7503
; %bb.7498:                             ;   in Loop: Header=BB6_7336 Depth=2
	v_and_b32_e32 v3, 0x7c, v19
	v_and_b32_e32 v9, 3, v19
	v_cmp_ne_u32_e32 vcc, s50, v3
                                        ; implicit-def: $vgpr3
	s_and_saveexec_b64 s[88:89], vcc
	s_xor_b64 s[88:89], exec, s[88:89]
	s_cbranch_execz .LBB6_7500
; %bb.7499:                             ;   in Loop: Header=BB6_7336 Depth=2
	v_ffbh_u32_e32 v22, v9
	v_min_u32_e32 v22, 32, v22
	v_and_b32_e32 v3, 0xff, v19
	v_mov_b32_e32 v20, v28
	v_subrev_u32_e32 v24, 29, v22
	v_bfe_u32 v3, v3, 2, 5
	v_lshlrev_b64 v[29:30], v24, v[19:20]
	v_sub_u32_e32 v20, 30, v22
	v_cmp_eq_u32_e32 vcc, 0, v3
	v_and_b32_e32 v22, 3, v29
	v_cndmask_b32_e32 v3, v3, v20, vcc
	v_and_b32_sdwa v19, sext(v19), s51 dst_sel:DWORD dst_unused:UNUSED_PAD src0_sel:WORD_0 src1_sel:DWORD
	v_cndmask_b32_e32 v9, v9, v22, vcc
	v_lshl_add_u32 v3, v3, 23, v19
	v_lshl_or_b32 v3, v9, 21, v3
	v_add_u32_e32 v3, 0x38000000, v3
                                        ; implicit-def: $vgpr9
                                        ; implicit-def: $vgpr19
.LBB6_7500:                             ;   in Loop: Header=BB6_7336 Depth=2
	s_andn2_saveexec_b64 s[88:89], s[88:89]
; %bb.7501:                             ;   in Loop: Header=BB6_7336 Depth=2
	v_cmp_lt_i16_e32 vcc, -1, v19
	v_mov_b32_e32 v3, 0xff800000
	v_mov_b32_e32 v19, 0x7f800000
	v_cndmask_b32_e32 v3, v3, v19, vcc
	v_cmp_eq_u32_e32 vcc, 0, v9
	v_mov_b32_e32 v9, 0x7f800001
	v_cndmask_b32_e32 v3, v9, v3, vcc
; %bb.7502:                             ;   in Loop: Header=BB6_7336 Depth=2
	s_or_b64 exec, exec, s[88:89]
.LBB6_7503:                             ;   in Loop: Header=BB6_7336 Depth=2
	s_or_b64 exec, exec, s[78:79]
.LBB6_7504:                             ;   in Loop: Header=BB6_7336 Depth=2
	s_or_b64 exec, exec, s[18:19]
	v_cmp_ne_u16_e32 vcc, 0, v46
	s_and_saveexec_b64 s[18:19], vcc
	s_cbranch_execz .LBB6_7512
; %bb.7505:                             ;   in Loop: Header=BB6_7336 Depth=2
	v_cmp_ne_u16_e32 vcc, s49, v46
	v_bfrev_b32_e32 v2, 1
	s_and_saveexec_b64 s[78:79], vcc
	s_cbranch_execz .LBB6_7511
; %bb.7506:                             ;   in Loop: Header=BB6_7336 Depth=2
	v_and_b32_e32 v2, 0x7c, v46
	v_and_b32_e32 v9, 3, v46
	v_cmp_ne_u32_e32 vcc, s50, v2
                                        ; implicit-def: $vgpr2
	s_and_saveexec_b64 s[88:89], vcc
	s_xor_b64 s[88:89], exec, s[88:89]
	s_cbranch_execz .LBB6_7508
; %bb.7507:                             ;   in Loop: Header=BB6_7336 Depth=2
	v_ffbh_u32_e32 v19, v9
	v_min_u32_e32 v22, 32, v19
	v_mov_b32_e32 v47, v28
	v_subrev_u32_e32 v19, 29, v22
	v_and_b32_e32 v2, 0xff, v46
	v_lshlrev_b64 v[19:20], v19, v[46:47]
	v_bfe_u32 v2, v2, 2, 5
	v_sub_u32_e32 v20, 30, v22
	v_and_b32_e32 v19, 3, v19
	v_cmp_eq_u32_e32 vcc, 0, v2
	v_cndmask_b32_e32 v2, v2, v20, vcc
	v_cndmask_b32_e32 v9, v9, v19, vcc
	v_and_b32_sdwa v19, sext(v46), s51 dst_sel:DWORD dst_unused:UNUSED_PAD src0_sel:WORD_0 src1_sel:DWORD
	v_lshl_add_u32 v2, v2, 23, v19
	v_lshl_or_b32 v2, v9, 21, v2
	v_add_u32_e32 v2, 0x38000000, v2
                                        ; implicit-def: $vgpr9
                                        ; implicit-def: $vgpr46
.LBB6_7508:                             ;   in Loop: Header=BB6_7336 Depth=2
	s_andn2_saveexec_b64 s[88:89], s[88:89]
; %bb.7509:                             ;   in Loop: Header=BB6_7336 Depth=2
	v_cmp_lt_i16_e32 vcc, -1, v46
	v_mov_b32_e32 v2, 0xff800000
	v_mov_b32_e32 v19, 0x7f800000
	v_cndmask_b32_e32 v2, v2, v19, vcc
	v_cmp_eq_u32_e32 vcc, 0, v9
	v_mov_b32_e32 v9, 0x7f800001
	v_cndmask_b32_e32 v2, v9, v2, vcc
; %bb.7510:                             ;   in Loop: Header=BB6_7336 Depth=2
	s_or_b64 exec, exec, s[88:89]
.LBB6_7511:                             ;   in Loop: Header=BB6_7336 Depth=2
	s_or_b64 exec, exec, s[78:79]
.LBB6_7512:                             ;   in Loop: Header=BB6_7336 Depth=2
	s_or_b64 exec, exec, s[18:19]
	v_mul_f32_e32 v2, v3, v2
	v_and_b32_e32 v19, 0x7f800000, v2
	v_mov_b32_e32 v20, v28
	v_cmp_ne_u64_e32 vcc, s[58:59], v[19:20]
	v_and_b32_e32 v27, 0x7fffff, v2
                                        ; implicit-def: $vgpr20
	s_and_saveexec_b64 s[18:19], vcc
	s_xor_b64 s[78:79], exec, s[18:19]
	s_cbranch_execz .LBB6_7530
; %bb.7513:                             ;   in Loop: Header=BB6_7336 Depth=2
	v_and_b32_e32 v19, 0x7fffffff, v2
	v_mov_b32_e32 v20, v28
	v_cmp_gt_u64_e32 vcc, s[60:61], v[19:20]
	v_and_b32_sdwa v9, v2, s52 dst_sel:DWORD dst_unused:UNUSED_PAD src0_sel:BYTE_3 src1_sel:DWORD
                                        ; implicit-def: $vgpr20
	s_and_saveexec_b64 s[18:19], vcc
	s_xor_b64 s[88:89], exec, s[18:19]
	s_cbranch_execz .LBB6_7527
; %bb.7514:                             ;   in Loop: Header=BB6_7336 Depth=2
	v_cmp_ne_u32_e32 vcc, 0, v2
	v_mov_b32_e32 v20, 0
	s_and_saveexec_b64 s[90:91], vcc
	s_cbranch_execz .LBB6_7526
; %bb.7515:                             ;   in Loop: Header=BB6_7336 Depth=2
	v_bfe_u32 v22, v2, 23, 8
	v_cmp_gt_u32_e64 s[18:19], s53, v22
	v_sub_u32_e32 v2, 0x71, v22
	v_cmp_eq_u32_e32 vcc, 0, v22
	v_cndmask_b32_e64 v2, 0, v2, s[18:19]
	v_mov_b32_e32 v19, 0x70
	v_cndmask_b32_e32 v24, v2, v19, vcc
	v_add_u32_e32 v19, 21, v24
	v_or_b32_e32 v3, 0x800000, v27
	v_lshlrev_b64 v[19:20], v19, -1
	v_cndmask_b32_e32 v2, v3, v27, vcc
	v_mov_b32_e32 v3, v28
	v_add_u32_e32 v27, 20, v24
	v_bfi_b32 v19, v19, 0, v2
	v_lshlrev_b64 v[29:30], v27, 1
	v_lshrrev_b64 v[2:3], v24, v[2:3]
	v_bfi_b32 v20, v20, 0, 0
	v_cmp_eq_u64_e64 s[18:19], v[19:20], v[29:30]
	v_mov_b32_e32 v20, v3
	v_mov_b32_e32 v19, v2
	s_and_saveexec_b64 s[92:93], s[18:19]
; %bb.7516:                             ;   in Loop: Header=BB6_7336 Depth=2
	v_bfe_u32 v3, v2, 21, 1
	v_add_co_u32_e64 v3, s[18:19], v2, v3
	v_add_co_u32_e64 v19, s[18:19], -1, v3
; %bb.7517:                             ;   in Loop: Header=BB6_7336 Depth=2
	s_or_b64 exec, exec, s[92:93]
	v_add_u32_e32 v3, 0xffffff81, v22
	v_mov_b32_e32 v20, 0xffffff82
	v_cndmask_b32_e32 v3, v3, v20, vcc
	v_lshrrev_b32_e32 v20, 23, v2
	v_add3_u32 v22, v24, v3, v20
	v_add_u32_e32 v20, 14, v22
	v_and_b32_e32 v3, 0x1fffff, v19
	v_add_u32_e32 v27, v3, v2
	v_cmp_ne_u32_e32 vcc, 0, v20
                                        ; implicit-def: $vgpr2_vgpr3
                                        ; implicit-def: $vgpr19
	s_and_saveexec_b64 s[18:19], vcc
	s_xor_b64 s[18:19], exec, s[18:19]
; %bb.7518:                             ;   in Loop: Header=BB6_7336 Depth=2
	v_cmp_lt_u64_e32 vcc, s[62:63], v[27:28]
	v_add_u32_e32 v2, 15, v22
	v_cndmask_b32_e32 v19, v20, v2, vcc
	v_cndmask_b32_e64 v2, 0, 1, vcc
	v_lshrrev_b64 v[2:3], v2, v[27:28]
; %bb.7519:                             ;   in Loop: Header=BB6_7336 Depth=2
	s_andn2_saveexec_b64 s[18:19], s[18:19]
; %bb.7520:                             ;   in Loop: Header=BB6_7336 Depth=2
	v_mov_b32_e32 v2, v27
	v_mov_b32_e32 v3, v28
	v_bfe_u32 v19, v27, 23, 1
; %bb.7521:                             ;   in Loop: Header=BB6_7336 Depth=2
	s_or_b64 exec, exec, s[18:19]
	v_lshrrev_b64 v[2:3], 21, v[2:3]
	v_cmp_gt_i32_e32 vcc, 32, v19
	v_cndmask_b32_e32 v3, 0, v3, vcc
	v_cndmask_b32_e32 v2, 3, v2, vcc
	v_cmp_ne_u64_e32 vcc, 0, v[2:3]
	v_cmp_ne_u32_e64 s[18:19], 0, v19
	s_or_b64 s[18:19], s[18:19], vcc
                                        ; implicit-def: $vgpr20
	s_and_saveexec_b64 s[92:93], s[18:19]
	s_xor_b64 s[18:19], exec, s[92:93]
; %bb.7522:                             ;   in Loop: Header=BB6_7336 Depth=2
	v_min_i32_e32 v3, 31, v19
	v_lshl_or_b32 v3, v3, 2, v9
	v_and_or_b32 v20, v2, 3, v3
                                        ; implicit-def: $vgpr9
; %bb.7523:                             ;   in Loop: Header=BB6_7336 Depth=2
	s_andn2_saveexec_b64 s[18:19], s[18:19]
; %bb.7524:                             ;   in Loop: Header=BB6_7336 Depth=2
	v_mov_b32_e32 v20, v9
; %bb.7525:                             ;   in Loop: Header=BB6_7336 Depth=2
	s_or_b64 exec, exec, s[18:19]
.LBB6_7526:                             ;   in Loop: Header=BB6_7336 Depth=2
	s_or_b64 exec, exec, s[90:91]
                                        ; implicit-def: $vgpr9
.LBB6_7527:                             ;   in Loop: Header=BB6_7336 Depth=2
	s_andn2_saveexec_b64 s[18:19], s[88:89]
; %bb.7528:                             ;   in Loop: Header=BB6_7336 Depth=2
	v_or_b32_e32 v20, 0x7b, v9
; %bb.7529:                             ;   in Loop: Header=BB6_7336 Depth=2
	s_or_b64 exec, exec, s[18:19]
                                        ; implicit-def: $vgpr2
.LBB6_7530:                             ;   in Loop: Header=BB6_7336 Depth=2
	s_andn2_saveexec_b64 s[18:19], s[78:79]
	s_cbranch_execz .LBB6_7536
; %bb.7531:                             ;   in Loop: Header=BB6_7336 Depth=2
	v_cmp_ne_u64_e32 vcc, 0, v[27:28]
                                        ; implicit-def: $vgpr20
	s_and_saveexec_b64 s[78:79], vcc
	s_xor_b64 s[78:79], exec, s[78:79]
; %bb.7532:                             ;   in Loop: Header=BB6_7336 Depth=2
	v_or_b32_sdwa v20, v2, s54 dst_sel:DWORD dst_unused:UNUSED_PAD src0_sel:BYTE_3 src1_sel:DWORD
                                        ; implicit-def: $vgpr2
; %bb.7533:                             ;   in Loop: Header=BB6_7336 Depth=2
	s_andn2_saveexec_b64 s[78:79], s[78:79]
; %bb.7534:                             ;   in Loop: Header=BB6_7336 Depth=2
	v_cmp_lt_i32_e32 vcc, -1, v2
	v_mov_b32_e32 v2, 0x7c
	v_cndmask_b32_e32 v20, -4, v2, vcc
; %bb.7535:                             ;   in Loop: Header=BB6_7336 Depth=2
	s_or_b64 exec, exec, s[78:79]
.LBB6_7536:                             ;   in Loop: Header=BB6_7336 Depth=2
	s_or_b64 exec, exec, s[18:19]
	v_cmp_ne_u16_e32 vcc, 0, v45
	v_mov_b32_e32 v2, 0
	v_mov_b32_e32 v3, 0
	s_and_saveexec_b64 s[18:19], vcc
	s_cbranch_execz .LBB6_7544
; %bb.7537:                             ;   in Loop: Header=BB6_7336 Depth=2
	v_cmp_ne_u16_e32 vcc, s49, v45
	v_bfrev_b32_e32 v3, 1
	s_and_saveexec_b64 s[78:79], vcc
	s_cbranch_execz .LBB6_7543
; %bb.7538:                             ;   in Loop: Header=BB6_7336 Depth=2
	v_and_b32_e32 v3, 0x7c, v45
	v_and_b32_e32 v9, 3, v45
	v_cmp_ne_u32_e32 vcc, s50, v3
                                        ; implicit-def: $vgpr3
	s_and_saveexec_b64 s[88:89], vcc
	s_xor_b64 s[88:89], exec, s[88:89]
	s_cbranch_execz .LBB6_7540
; %bb.7539:                             ;   in Loop: Header=BB6_7336 Depth=2
	v_ffbh_u32_e32 v19, v9
	v_min_u32_e32 v19, 32, v19
	v_and_b32_e32 v3, 0xff, v45
	v_mov_b32_e32 v46, v28
	v_subrev_u32_e32 v22, 29, v19
	v_bfe_u32 v3, v3, 2, 5
	v_lshlrev_b64 v[29:30], v22, v[45:46]
	v_sub_u32_e32 v19, 30, v19
	v_cmp_eq_u32_e32 vcc, 0, v3
	v_and_b32_e32 v22, 3, v29
	v_cndmask_b32_e32 v3, v3, v19, vcc
	v_and_b32_sdwa v19, sext(v45), s51 dst_sel:DWORD dst_unused:UNUSED_PAD src0_sel:WORD_0 src1_sel:DWORD
	v_cndmask_b32_e32 v9, v9, v22, vcc
	v_lshl_add_u32 v3, v3, 23, v19
	v_lshl_or_b32 v3, v9, 21, v3
	v_add_u32_e32 v3, 0x38000000, v3
                                        ; implicit-def: $vgpr9
                                        ; implicit-def: $vgpr45
.LBB6_7540:                             ;   in Loop: Header=BB6_7336 Depth=2
	s_andn2_saveexec_b64 s[88:89], s[88:89]
; %bb.7541:                             ;   in Loop: Header=BB6_7336 Depth=2
	v_cmp_lt_i16_e32 vcc, -1, v45
	v_mov_b32_e32 v3, 0xff800000
	v_mov_b32_e32 v19, 0x7f800000
	v_cndmask_b32_e32 v3, v3, v19, vcc
	v_cmp_eq_u32_e32 vcc, 0, v9
	v_mov_b32_e32 v9, 0x7f800001
	v_cndmask_b32_e32 v3, v9, v3, vcc
; %bb.7542:                             ;   in Loop: Header=BB6_7336 Depth=2
	s_or_b64 exec, exec, s[88:89]
.LBB6_7543:                             ;   in Loop: Header=BB6_7336 Depth=2
	s_or_b64 exec, exec, s[78:79]
.LBB6_7544:                             ;   in Loop: Header=BB6_7336 Depth=2
	s_or_b64 exec, exec, s[18:19]
	v_cmp_ne_u16_e32 vcc, 0, v18
	s_and_saveexec_b64 s[18:19], vcc
	s_cbranch_execz .LBB6_7552
; %bb.7545:                             ;   in Loop: Header=BB6_7336 Depth=2
	v_cmp_ne_u16_e32 vcc, s49, v18
	v_bfrev_b32_e32 v2, 1
	s_and_saveexec_b64 s[78:79], vcc
	s_cbranch_execz .LBB6_7551
; %bb.7546:                             ;   in Loop: Header=BB6_7336 Depth=2
	v_and_b32_e32 v2, 0x7c, v18
	v_and_b32_e32 v9, 3, v18
	v_cmp_ne_u32_e32 vcc, s50, v2
                                        ; implicit-def: $vgpr2
	s_and_saveexec_b64 s[88:89], vcc
	s_xor_b64 s[88:89], exec, s[88:89]
	s_cbranch_execz .LBB6_7548
; %bb.7547:                             ;   in Loop: Header=BB6_7336 Depth=2
	v_ffbh_u32_e32 v22, v9
	v_min_u32_e32 v22, 32, v22
	v_and_b32_e32 v2, 0xff, v18
	v_mov_b32_e32 v19, v28
	v_subrev_u32_e32 v24, 29, v22
	v_bfe_u32 v2, v2, 2, 5
	v_lshlrev_b64 v[29:30], v24, v[18:19]
	v_sub_u32_e32 v19, 30, v22
	v_cmp_eq_u32_e32 vcc, 0, v2
	v_and_b32_e32 v22, 3, v29
	v_cndmask_b32_e32 v2, v2, v19, vcc
	v_and_b32_sdwa v18, sext(v18), s51 dst_sel:DWORD dst_unused:UNUSED_PAD src0_sel:WORD_0 src1_sel:DWORD
	v_cndmask_b32_e32 v9, v9, v22, vcc
	v_lshl_add_u32 v2, v2, 23, v18
	v_lshl_or_b32 v2, v9, 21, v2
	v_add_u32_e32 v2, 0x38000000, v2
                                        ; implicit-def: $vgpr9
                                        ; implicit-def: $vgpr18
.LBB6_7548:                             ;   in Loop: Header=BB6_7336 Depth=2
	s_andn2_saveexec_b64 s[88:89], s[88:89]
; %bb.7549:                             ;   in Loop: Header=BB6_7336 Depth=2
	v_cmp_lt_i16_e32 vcc, -1, v18
	v_mov_b32_e32 v2, 0xff800000
	v_mov_b32_e32 v18, 0x7f800000
	v_cndmask_b32_e32 v2, v2, v18, vcc
	v_cmp_eq_u32_e32 vcc, 0, v9
	v_mov_b32_e32 v9, 0x7f800001
	v_cndmask_b32_e32 v2, v9, v2, vcc
; %bb.7550:                             ;   in Loop: Header=BB6_7336 Depth=2
	s_or_b64 exec, exec, s[88:89]
.LBB6_7551:                             ;   in Loop: Header=BB6_7336 Depth=2
	s_or_b64 exec, exec, s[78:79]
.LBB6_7552:                             ;   in Loop: Header=BB6_7336 Depth=2
	s_or_b64 exec, exec, s[18:19]
	v_mul_f32_e32 v2, v3, v2
	v_and_b32_e32 v18, 0x7f800000, v2
	v_mov_b32_e32 v19, v28
	v_cmp_ne_u64_e32 vcc, s[58:59], v[18:19]
	v_and_b32_e32 v27, 0x7fffff, v2
                                        ; implicit-def: $vgpr19
	s_and_saveexec_b64 s[18:19], vcc
	s_xor_b64 s[78:79], exec, s[18:19]
	s_cbranch_execz .LBB6_7570
; %bb.7553:                             ;   in Loop: Header=BB6_7336 Depth=2
	v_and_b32_e32 v18, 0x7fffffff, v2
	v_mov_b32_e32 v19, v28
	v_cmp_gt_u64_e32 vcc, s[60:61], v[18:19]
	v_and_b32_sdwa v9, v2, s52 dst_sel:DWORD dst_unused:UNUSED_PAD src0_sel:BYTE_3 src1_sel:DWORD
                                        ; implicit-def: $vgpr19
	s_and_saveexec_b64 s[18:19], vcc
	s_xor_b64 s[88:89], exec, s[18:19]
	s_cbranch_execz .LBB6_7567
; %bb.7554:                             ;   in Loop: Header=BB6_7336 Depth=2
	v_cmp_ne_u32_e32 vcc, 0, v2
	v_mov_b32_e32 v19, 0
	s_and_saveexec_b64 s[90:91], vcc
	s_cbranch_execz .LBB6_7566
; %bb.7555:                             ;   in Loop: Header=BB6_7336 Depth=2
	v_bfe_u32 v22, v2, 23, 8
	v_cmp_gt_u32_e64 s[18:19], s53, v22
	v_sub_u32_e32 v2, 0x71, v22
	v_cmp_eq_u32_e32 vcc, 0, v22
	v_cndmask_b32_e64 v2, 0, v2, s[18:19]
	v_mov_b32_e32 v18, 0x70
	v_cndmask_b32_e32 v24, v2, v18, vcc
	v_add_u32_e32 v18, 21, v24
	v_or_b32_e32 v3, 0x800000, v27
	v_lshlrev_b64 v[18:19], v18, -1
	v_cndmask_b32_e32 v2, v3, v27, vcc
	v_mov_b32_e32 v3, v28
	v_add_u32_e32 v27, 20, v24
	v_bfi_b32 v18, v18, 0, v2
	v_lshlrev_b64 v[29:30], v27, 1
	v_lshrrev_b64 v[2:3], v24, v[2:3]
	v_bfi_b32 v19, v19, 0, 0
	v_cmp_eq_u64_e64 s[18:19], v[18:19], v[29:30]
	v_mov_b32_e32 v19, v3
	v_mov_b32_e32 v18, v2
	s_and_saveexec_b64 s[92:93], s[18:19]
; %bb.7556:                             ;   in Loop: Header=BB6_7336 Depth=2
	v_bfe_u32 v3, v2, 21, 1
	v_add_co_u32_e64 v3, s[18:19], v2, v3
	v_add_co_u32_e64 v18, s[18:19], -1, v3
; %bb.7557:                             ;   in Loop: Header=BB6_7336 Depth=2
	s_or_b64 exec, exec, s[92:93]
	v_add_u32_e32 v3, 0xffffff81, v22
	v_mov_b32_e32 v19, 0xffffff82
	v_cndmask_b32_e32 v3, v3, v19, vcc
	v_lshrrev_b32_e32 v19, 23, v2
	v_add3_u32 v22, v24, v3, v19
	v_add_u32_e32 v19, 14, v22
	v_and_b32_e32 v3, 0x1fffff, v18
	v_add_u32_e32 v27, v3, v2
	v_cmp_ne_u32_e32 vcc, 0, v19
                                        ; implicit-def: $vgpr2_vgpr3
                                        ; implicit-def: $vgpr18
	s_and_saveexec_b64 s[18:19], vcc
	s_xor_b64 s[18:19], exec, s[18:19]
; %bb.7558:                             ;   in Loop: Header=BB6_7336 Depth=2
	v_cmp_lt_u64_e32 vcc, s[62:63], v[27:28]
	v_add_u32_e32 v2, 15, v22
	v_cndmask_b32_e32 v18, v19, v2, vcc
	v_cndmask_b32_e64 v2, 0, 1, vcc
	v_lshrrev_b64 v[2:3], v2, v[27:28]
; %bb.7559:                             ;   in Loop: Header=BB6_7336 Depth=2
	s_andn2_saveexec_b64 s[18:19], s[18:19]
; %bb.7560:                             ;   in Loop: Header=BB6_7336 Depth=2
	v_mov_b32_e32 v2, v27
	v_mov_b32_e32 v3, v28
	v_bfe_u32 v18, v27, 23, 1
; %bb.7561:                             ;   in Loop: Header=BB6_7336 Depth=2
	s_or_b64 exec, exec, s[18:19]
	v_lshrrev_b64 v[2:3], 21, v[2:3]
	v_cmp_gt_i32_e32 vcc, 32, v18
	v_cndmask_b32_e32 v3, 0, v3, vcc
	v_cndmask_b32_e32 v2, 3, v2, vcc
	v_cmp_ne_u64_e32 vcc, 0, v[2:3]
	v_cmp_ne_u32_e64 s[18:19], 0, v18
	s_or_b64 s[18:19], s[18:19], vcc
                                        ; implicit-def: $vgpr19
	s_and_saveexec_b64 s[92:93], s[18:19]
	s_xor_b64 s[18:19], exec, s[92:93]
; %bb.7562:                             ;   in Loop: Header=BB6_7336 Depth=2
	v_min_i32_e32 v3, 31, v18
	v_lshl_or_b32 v3, v3, 2, v9
	v_and_or_b32 v19, v2, 3, v3
                                        ; implicit-def: $vgpr9
; %bb.7563:                             ;   in Loop: Header=BB6_7336 Depth=2
	s_andn2_saveexec_b64 s[18:19], s[18:19]
; %bb.7564:                             ;   in Loop: Header=BB6_7336 Depth=2
	v_mov_b32_e32 v19, v9
; %bb.7565:                             ;   in Loop: Header=BB6_7336 Depth=2
	s_or_b64 exec, exec, s[18:19]
.LBB6_7566:                             ;   in Loop: Header=BB6_7336 Depth=2
	s_or_b64 exec, exec, s[90:91]
                                        ; implicit-def: $vgpr9
.LBB6_7567:                             ;   in Loop: Header=BB6_7336 Depth=2
	s_andn2_saveexec_b64 s[18:19], s[88:89]
; %bb.7568:                             ;   in Loop: Header=BB6_7336 Depth=2
	v_or_b32_e32 v19, 0x7b, v9
; %bb.7569:                             ;   in Loop: Header=BB6_7336 Depth=2
	s_or_b64 exec, exec, s[18:19]
                                        ; implicit-def: $vgpr2
.LBB6_7570:                             ;   in Loop: Header=BB6_7336 Depth=2
	s_andn2_saveexec_b64 s[18:19], s[78:79]
	s_cbranch_execz .LBB6_7576
; %bb.7571:                             ;   in Loop: Header=BB6_7336 Depth=2
	v_cmp_ne_u64_e32 vcc, 0, v[27:28]
                                        ; implicit-def: $vgpr19
	s_and_saveexec_b64 s[78:79], vcc
	s_xor_b64 s[78:79], exec, s[78:79]
; %bb.7572:                             ;   in Loop: Header=BB6_7336 Depth=2
	v_or_b32_sdwa v19, v2, s54 dst_sel:DWORD dst_unused:UNUSED_PAD src0_sel:BYTE_3 src1_sel:DWORD
                                        ; implicit-def: $vgpr2
; %bb.7573:                             ;   in Loop: Header=BB6_7336 Depth=2
	s_andn2_saveexec_b64 s[78:79], s[78:79]
; %bb.7574:                             ;   in Loop: Header=BB6_7336 Depth=2
	v_cmp_lt_i32_e32 vcc, -1, v2
	v_mov_b32_e32 v2, 0x7c
	v_cndmask_b32_e32 v19, -4, v2, vcc
; %bb.7575:                             ;   in Loop: Header=BB6_7336 Depth=2
	s_or_b64 exec, exec, s[78:79]
.LBB6_7576:                             ;   in Loop: Header=BB6_7336 Depth=2
	s_or_b64 exec, exec, s[18:19]
	v_cmp_ne_u16_e32 vcc, 0, v17
	v_mov_b32_e32 v2, 0
	v_mov_b32_e32 v3, 0
	s_and_saveexec_b64 s[18:19], vcc
	s_cbranch_execz .LBB6_7584
; %bb.7577:                             ;   in Loop: Header=BB6_7336 Depth=2
	v_cmp_ne_u16_e32 vcc, s49, v17
	v_bfrev_b32_e32 v3, 1
	s_and_saveexec_b64 s[78:79], vcc
	s_cbranch_execz .LBB6_7583
; %bb.7578:                             ;   in Loop: Header=BB6_7336 Depth=2
	v_and_b32_e32 v3, 0x7c, v17
	v_and_b32_e32 v9, 3, v17
	v_cmp_ne_u32_e32 vcc, s50, v3
                                        ; implicit-def: $vgpr3
	s_and_saveexec_b64 s[88:89], vcc
	s_xor_b64 s[88:89], exec, s[88:89]
	s_cbranch_execz .LBB6_7580
; %bb.7579:                             ;   in Loop: Header=BB6_7336 Depth=2
	v_ffbh_u32_e32 v22, v9
	v_min_u32_e32 v22, 32, v22
	v_and_b32_e32 v3, 0xff, v17
	v_mov_b32_e32 v18, v28
	v_subrev_u32_e32 v24, 29, v22
	v_bfe_u32 v3, v3, 2, 5
	v_lshlrev_b64 v[29:30], v24, v[17:18]
	v_sub_u32_e32 v18, 30, v22
	v_cmp_eq_u32_e32 vcc, 0, v3
	v_and_b32_e32 v22, 3, v29
	v_cndmask_b32_e32 v3, v3, v18, vcc
	v_and_b32_sdwa v17, sext(v17), s51 dst_sel:DWORD dst_unused:UNUSED_PAD src0_sel:WORD_0 src1_sel:DWORD
	v_cndmask_b32_e32 v9, v9, v22, vcc
	v_lshl_add_u32 v3, v3, 23, v17
	v_lshl_or_b32 v3, v9, 21, v3
	v_add_u32_e32 v3, 0x38000000, v3
                                        ; implicit-def: $vgpr9
                                        ; implicit-def: $vgpr17
.LBB6_7580:                             ;   in Loop: Header=BB6_7336 Depth=2
	s_andn2_saveexec_b64 s[88:89], s[88:89]
; %bb.7581:                             ;   in Loop: Header=BB6_7336 Depth=2
	v_cmp_lt_i16_e32 vcc, -1, v17
	v_mov_b32_e32 v3, 0xff800000
	v_mov_b32_e32 v17, 0x7f800000
	v_cndmask_b32_e32 v3, v3, v17, vcc
	v_cmp_eq_u32_e32 vcc, 0, v9
	v_mov_b32_e32 v9, 0x7f800001
	v_cndmask_b32_e32 v3, v9, v3, vcc
; %bb.7582:                             ;   in Loop: Header=BB6_7336 Depth=2
	s_or_b64 exec, exec, s[88:89]
.LBB6_7583:                             ;   in Loop: Header=BB6_7336 Depth=2
	s_or_b64 exec, exec, s[78:79]
.LBB6_7584:                             ;   in Loop: Header=BB6_7336 Depth=2
	s_or_b64 exec, exec, s[18:19]
	v_cmp_ne_u16_e32 vcc, 0, v16
	s_and_saveexec_b64 s[18:19], vcc
	s_cbranch_execz .LBB6_7592
; %bb.7585:                             ;   in Loop: Header=BB6_7336 Depth=2
	v_cmp_ne_u16_e32 vcc, s49, v16
	v_bfrev_b32_e32 v2, 1
	s_and_saveexec_b64 s[78:79], vcc
	s_cbranch_execz .LBB6_7591
; %bb.7586:                             ;   in Loop: Header=BB6_7336 Depth=2
	v_and_b32_e32 v2, 0x7c, v16
	v_and_b32_e32 v9, 3, v16
	v_cmp_ne_u32_e32 vcc, s50, v2
                                        ; implicit-def: $vgpr2
	s_and_saveexec_b64 s[88:89], vcc
	s_xor_b64 s[88:89], exec, s[88:89]
	s_cbranch_execz .LBB6_7588
; %bb.7587:                             ;   in Loop: Header=BB6_7336 Depth=2
	v_ffbh_u32_e32 v18, v9
	v_min_u32_e32 v22, 32, v18
	v_and_b32_e32 v2, 0xff, v16
	v_mov_b32_e32 v17, v28
	v_subrev_u32_e32 v18, 29, v22
	v_bfe_u32 v2, v2, 2, 5
	v_lshlrev_b64 v[17:18], v18, v[16:17]
	v_sub_u32_e32 v18, 30, v22
	v_cmp_eq_u32_e32 vcc, 0, v2
	v_and_b32_e32 v17, 3, v17
	v_cndmask_b32_e32 v2, v2, v18, vcc
	v_and_b32_sdwa v16, sext(v16), s51 dst_sel:DWORD dst_unused:UNUSED_PAD src0_sel:WORD_0 src1_sel:DWORD
	v_cndmask_b32_e32 v9, v9, v17, vcc
	v_lshl_add_u32 v2, v2, 23, v16
	v_lshl_or_b32 v2, v9, 21, v2
	v_add_u32_e32 v2, 0x38000000, v2
                                        ; implicit-def: $vgpr9
                                        ; implicit-def: $vgpr16
.LBB6_7588:                             ;   in Loop: Header=BB6_7336 Depth=2
	s_andn2_saveexec_b64 s[88:89], s[88:89]
; %bb.7589:                             ;   in Loop: Header=BB6_7336 Depth=2
	v_cmp_lt_i16_e32 vcc, -1, v16
	v_mov_b32_e32 v2, 0xff800000
	v_mov_b32_e32 v16, 0x7f800000
	v_cndmask_b32_e32 v2, v2, v16, vcc
	v_cmp_eq_u32_e32 vcc, 0, v9
	v_mov_b32_e32 v9, 0x7f800001
	v_cndmask_b32_e32 v2, v9, v2, vcc
; %bb.7590:                             ;   in Loop: Header=BB6_7336 Depth=2
	s_or_b64 exec, exec, s[88:89]
.LBB6_7591:                             ;   in Loop: Header=BB6_7336 Depth=2
	s_or_b64 exec, exec, s[78:79]
.LBB6_7592:                             ;   in Loop: Header=BB6_7336 Depth=2
	s_or_b64 exec, exec, s[18:19]
	v_mul_f32_e32 v2, v3, v2
	v_and_b32_e32 v16, 0x7f800000, v2
	v_mov_b32_e32 v17, v28
	v_cmp_ne_u64_e32 vcc, s[58:59], v[16:17]
	v_and_b32_e32 v27, 0x7fffff, v2
                                        ; implicit-def: $vgpr17
	s_and_saveexec_b64 s[18:19], vcc
	s_xor_b64 s[78:79], exec, s[18:19]
	s_cbranch_execz .LBB6_7610
; %bb.7593:                             ;   in Loop: Header=BB6_7336 Depth=2
	v_and_b32_e32 v16, 0x7fffffff, v2
	v_mov_b32_e32 v17, v28
	v_cmp_gt_u64_e32 vcc, s[60:61], v[16:17]
	v_and_b32_sdwa v9, v2, s52 dst_sel:DWORD dst_unused:UNUSED_PAD src0_sel:BYTE_3 src1_sel:DWORD
                                        ; implicit-def: $vgpr17
	s_and_saveexec_b64 s[18:19], vcc
	s_xor_b64 s[88:89], exec, s[18:19]
	s_cbranch_execz .LBB6_7607
; %bb.7594:                             ;   in Loop: Header=BB6_7336 Depth=2
	v_cmp_ne_u32_e32 vcc, 0, v2
	v_mov_b32_e32 v17, 0
	s_and_saveexec_b64 s[90:91], vcc
	s_cbranch_execz .LBB6_7606
; %bb.7595:                             ;   in Loop: Header=BB6_7336 Depth=2
	v_bfe_u32 v18, v2, 23, 8
	v_cmp_gt_u32_e64 s[18:19], s53, v18
	v_sub_u32_e32 v2, 0x71, v18
	v_cmp_eq_u32_e32 vcc, 0, v18
	v_cndmask_b32_e64 v2, 0, v2, s[18:19]
	v_mov_b32_e32 v16, 0x70
	v_cndmask_b32_e32 v22, v2, v16, vcc
	v_add_u32_e32 v16, 21, v22
	v_or_b32_e32 v3, 0x800000, v27
	v_lshlrev_b64 v[16:17], v16, -1
	v_cndmask_b32_e32 v2, v3, v27, vcc
	v_mov_b32_e32 v3, v28
	v_add_u32_e32 v24, 20, v22
	v_bfi_b32 v16, v16, 0, v2
	v_lshlrev_b64 v[29:30], v24, 1
	v_lshrrev_b64 v[2:3], v22, v[2:3]
	v_bfi_b32 v17, v17, 0, 0
	v_cmp_eq_u64_e64 s[18:19], v[16:17], v[29:30]
	v_mov_b32_e32 v17, v3
	v_mov_b32_e32 v16, v2
	s_and_saveexec_b64 s[92:93], s[18:19]
; %bb.7596:                             ;   in Loop: Header=BB6_7336 Depth=2
	v_bfe_u32 v3, v2, 21, 1
	v_add_co_u32_e64 v3, s[18:19], v2, v3
	v_add_co_u32_e64 v16, s[18:19], -1, v3
; %bb.7597:                             ;   in Loop: Header=BB6_7336 Depth=2
	s_or_b64 exec, exec, s[92:93]
	v_add_u32_e32 v3, 0xffffff81, v18
	v_mov_b32_e32 v17, 0xffffff82
	v_cndmask_b32_e32 v3, v3, v17, vcc
	v_lshrrev_b32_e32 v17, 23, v2
	v_add3_u32 v18, v22, v3, v17
	v_add_u32_e32 v17, 14, v18
	v_and_b32_e32 v3, 0x1fffff, v16
	v_add_u32_e32 v27, v3, v2
	v_cmp_ne_u32_e32 vcc, 0, v17
                                        ; implicit-def: $vgpr2_vgpr3
                                        ; implicit-def: $vgpr16
	s_and_saveexec_b64 s[18:19], vcc
	s_xor_b64 s[18:19], exec, s[18:19]
; %bb.7598:                             ;   in Loop: Header=BB6_7336 Depth=2
	v_cmp_lt_u64_e32 vcc, s[62:63], v[27:28]
	v_add_u32_e32 v2, 15, v18
	v_cndmask_b32_e32 v16, v17, v2, vcc
	v_cndmask_b32_e64 v2, 0, 1, vcc
	v_lshrrev_b64 v[2:3], v2, v[27:28]
; %bb.7599:                             ;   in Loop: Header=BB6_7336 Depth=2
	s_andn2_saveexec_b64 s[18:19], s[18:19]
; %bb.7600:                             ;   in Loop: Header=BB6_7336 Depth=2
	v_mov_b32_e32 v2, v27
	v_mov_b32_e32 v3, v28
	v_bfe_u32 v16, v27, 23, 1
; %bb.7601:                             ;   in Loop: Header=BB6_7336 Depth=2
	s_or_b64 exec, exec, s[18:19]
	v_lshrrev_b64 v[2:3], 21, v[2:3]
	v_cmp_gt_i32_e32 vcc, 32, v16
	v_cndmask_b32_e32 v3, 0, v3, vcc
	v_cndmask_b32_e32 v2, 3, v2, vcc
	v_cmp_ne_u64_e32 vcc, 0, v[2:3]
	v_cmp_ne_u32_e64 s[18:19], 0, v16
	s_or_b64 s[18:19], s[18:19], vcc
                                        ; implicit-def: $vgpr17
	s_and_saveexec_b64 s[92:93], s[18:19]
	s_xor_b64 s[18:19], exec, s[92:93]
; %bb.7602:                             ;   in Loop: Header=BB6_7336 Depth=2
	v_min_i32_e32 v3, 31, v16
	v_lshl_or_b32 v3, v3, 2, v9
	v_and_or_b32 v17, v2, 3, v3
                                        ; implicit-def: $vgpr9
; %bb.7603:                             ;   in Loop: Header=BB6_7336 Depth=2
	s_andn2_saveexec_b64 s[18:19], s[18:19]
; %bb.7604:                             ;   in Loop: Header=BB6_7336 Depth=2
	v_mov_b32_e32 v17, v9
; %bb.7605:                             ;   in Loop: Header=BB6_7336 Depth=2
	s_or_b64 exec, exec, s[18:19]
.LBB6_7606:                             ;   in Loop: Header=BB6_7336 Depth=2
	s_or_b64 exec, exec, s[90:91]
                                        ; implicit-def: $vgpr9
.LBB6_7607:                             ;   in Loop: Header=BB6_7336 Depth=2
	s_andn2_saveexec_b64 s[18:19], s[88:89]
; %bb.7608:                             ;   in Loop: Header=BB6_7336 Depth=2
	v_or_b32_e32 v17, 0x7b, v9
; %bb.7609:                             ;   in Loop: Header=BB6_7336 Depth=2
	s_or_b64 exec, exec, s[18:19]
                                        ; implicit-def: $vgpr2
.LBB6_7610:                             ;   in Loop: Header=BB6_7336 Depth=2
	s_andn2_saveexec_b64 s[18:19], s[78:79]
	s_cbranch_execz .LBB6_7616
; %bb.7611:                             ;   in Loop: Header=BB6_7336 Depth=2
	v_cmp_ne_u64_e32 vcc, 0, v[27:28]
                                        ; implicit-def: $vgpr17
	s_and_saveexec_b64 s[78:79], vcc
	s_xor_b64 s[78:79], exec, s[78:79]
; %bb.7612:                             ;   in Loop: Header=BB6_7336 Depth=2
	v_or_b32_sdwa v17, v2, s54 dst_sel:DWORD dst_unused:UNUSED_PAD src0_sel:BYTE_3 src1_sel:DWORD
                                        ; implicit-def: $vgpr2
; %bb.7613:                             ;   in Loop: Header=BB6_7336 Depth=2
	s_andn2_saveexec_b64 s[78:79], s[78:79]
; %bb.7614:                             ;   in Loop: Header=BB6_7336 Depth=2
	v_cmp_lt_i32_e32 vcc, -1, v2
	v_mov_b32_e32 v2, 0x7c
	v_cndmask_b32_e32 v17, -4, v2, vcc
; %bb.7615:                             ;   in Loop: Header=BB6_7336 Depth=2
	s_or_b64 exec, exec, s[78:79]
.LBB6_7616:                             ;   in Loop: Header=BB6_7336 Depth=2
	s_or_b64 exec, exec, s[18:19]
	v_cmp_ne_u16_e32 vcc, 0, v15
	v_mov_b32_e32 v2, 0
	v_mov_b32_e32 v3, 0
	s_and_saveexec_b64 s[18:19], vcc
	s_cbranch_execz .LBB6_7624
; %bb.7617:                             ;   in Loop: Header=BB6_7336 Depth=2
	v_cmp_ne_u16_e32 vcc, s49, v15
	v_bfrev_b32_e32 v3, 1
	s_and_saveexec_b64 s[78:79], vcc
	s_cbranch_execz .LBB6_7623
; %bb.7618:                             ;   in Loop: Header=BB6_7336 Depth=2
	v_and_b32_e32 v3, 0x7c, v15
	v_and_b32_e32 v9, 3, v15
	v_cmp_ne_u32_e32 vcc, s50, v3
                                        ; implicit-def: $vgpr3
	s_and_saveexec_b64 s[88:89], vcc
	s_xor_b64 s[88:89], exec, s[88:89]
	s_cbranch_execz .LBB6_7620
; %bb.7619:                             ;   in Loop: Header=BB6_7336 Depth=2
	v_ffbh_u32_e32 v18, v9
	v_min_u32_e32 v18, 32, v18
	v_and_b32_e32 v3, 0xff, v15
	v_mov_b32_e32 v16, v28
	v_subrev_u32_e32 v22, 29, v18
	v_bfe_u32 v3, v3, 2, 5
	v_lshlrev_b64 v[29:30], v22, v[15:16]
	v_sub_u32_e32 v16, 30, v18
	v_cmp_eq_u32_e32 vcc, 0, v3
	v_and_b32_e32 v18, 3, v29
	v_cndmask_b32_e32 v3, v3, v16, vcc
	v_and_b32_sdwa v15, sext(v15), s51 dst_sel:DWORD dst_unused:UNUSED_PAD src0_sel:WORD_0 src1_sel:DWORD
	v_cndmask_b32_e32 v9, v9, v18, vcc
	v_lshl_add_u32 v3, v3, 23, v15
	v_lshl_or_b32 v3, v9, 21, v3
	v_add_u32_e32 v3, 0x38000000, v3
                                        ; implicit-def: $vgpr9
                                        ; implicit-def: $vgpr15
.LBB6_7620:                             ;   in Loop: Header=BB6_7336 Depth=2
	s_andn2_saveexec_b64 s[88:89], s[88:89]
; %bb.7621:                             ;   in Loop: Header=BB6_7336 Depth=2
	v_cmp_lt_i16_e32 vcc, -1, v15
	v_mov_b32_e32 v3, 0xff800000
	v_mov_b32_e32 v15, 0x7f800000
	v_cndmask_b32_e32 v3, v3, v15, vcc
	v_cmp_eq_u32_e32 vcc, 0, v9
	v_mov_b32_e32 v9, 0x7f800001
	v_cndmask_b32_e32 v3, v9, v3, vcc
; %bb.7622:                             ;   in Loop: Header=BB6_7336 Depth=2
	s_or_b64 exec, exec, s[88:89]
.LBB6_7623:                             ;   in Loop: Header=BB6_7336 Depth=2
	s_or_b64 exec, exec, s[78:79]
.LBB6_7624:                             ;   in Loop: Header=BB6_7336 Depth=2
	s_or_b64 exec, exec, s[18:19]
	v_cmp_ne_u16_e32 vcc, 0, v14
	s_and_saveexec_b64 s[18:19], vcc
	s_cbranch_execz .LBB6_7632
; %bb.7625:                             ;   in Loop: Header=BB6_7336 Depth=2
	v_cmp_ne_u16_e32 vcc, s49, v14
	v_bfrev_b32_e32 v2, 1
	s_and_saveexec_b64 s[78:79], vcc
	s_cbranch_execz .LBB6_7631
; %bb.7626:                             ;   in Loop: Header=BB6_7336 Depth=2
	v_and_b32_e32 v2, 0x7c, v14
	v_and_b32_e32 v9, 3, v14
	v_cmp_ne_u32_e32 vcc, s50, v2
                                        ; implicit-def: $vgpr2
	s_and_saveexec_b64 s[88:89], vcc
	s_xor_b64 s[88:89], exec, s[88:89]
	s_cbranch_execz .LBB6_7628
; %bb.7627:                             ;   in Loop: Header=BB6_7336 Depth=2
	v_ffbh_u32_e32 v16, v9
	v_min_u32_e32 v18, 32, v16
	v_and_b32_e32 v2, 0xff, v14
	v_mov_b32_e32 v15, v28
	v_subrev_u32_e32 v16, 29, v18
	v_bfe_u32 v2, v2, 2, 5
	v_lshlrev_b64 v[15:16], v16, v[14:15]
	v_sub_u32_e32 v16, 30, v18
	v_cmp_eq_u32_e32 vcc, 0, v2
	v_and_b32_e32 v15, 3, v15
	v_cndmask_b32_e32 v2, v2, v16, vcc
	v_and_b32_sdwa v14, sext(v14), s51 dst_sel:DWORD dst_unused:UNUSED_PAD src0_sel:WORD_0 src1_sel:DWORD
	v_cndmask_b32_e32 v9, v9, v15, vcc
	v_lshl_add_u32 v2, v2, 23, v14
	v_lshl_or_b32 v2, v9, 21, v2
	v_add_u32_e32 v2, 0x38000000, v2
                                        ; implicit-def: $vgpr9
                                        ; implicit-def: $vgpr14
.LBB6_7628:                             ;   in Loop: Header=BB6_7336 Depth=2
	s_andn2_saveexec_b64 s[88:89], s[88:89]
; %bb.7629:                             ;   in Loop: Header=BB6_7336 Depth=2
	v_cmp_lt_i16_e32 vcc, -1, v14
	v_mov_b32_e32 v2, 0xff800000
	v_mov_b32_e32 v14, 0x7f800000
	v_cndmask_b32_e32 v2, v2, v14, vcc
	v_cmp_eq_u32_e32 vcc, 0, v9
	v_mov_b32_e32 v9, 0x7f800001
	v_cndmask_b32_e32 v2, v9, v2, vcc
; %bb.7630:                             ;   in Loop: Header=BB6_7336 Depth=2
	s_or_b64 exec, exec, s[88:89]
.LBB6_7631:                             ;   in Loop: Header=BB6_7336 Depth=2
	s_or_b64 exec, exec, s[78:79]
.LBB6_7632:                             ;   in Loop: Header=BB6_7336 Depth=2
	s_or_b64 exec, exec, s[18:19]
	v_mul_f32_e32 v2, v3, v2
	v_and_b32_e32 v14, 0x7f800000, v2
	v_mov_b32_e32 v15, v28
	v_cmp_ne_u64_e32 vcc, s[58:59], v[14:15]
	v_and_b32_e32 v27, 0x7fffff, v2
                                        ; implicit-def: $vgpr16
	s_and_saveexec_b64 s[18:19], vcc
	s_xor_b64 s[78:79], exec, s[18:19]
	s_cbranch_execz .LBB6_7650
; %bb.7633:                             ;   in Loop: Header=BB6_7336 Depth=2
	v_and_b32_e32 v14, 0x7fffffff, v2
	v_mov_b32_e32 v15, v28
	v_cmp_gt_u64_e32 vcc, s[60:61], v[14:15]
	v_and_b32_sdwa v9, v2, s52 dst_sel:DWORD dst_unused:UNUSED_PAD src0_sel:BYTE_3 src1_sel:DWORD
                                        ; implicit-def: $vgpr16
	s_and_saveexec_b64 s[18:19], vcc
	s_xor_b64 s[88:89], exec, s[18:19]
	s_cbranch_execz .LBB6_7647
; %bb.7634:                             ;   in Loop: Header=BB6_7336 Depth=2
	v_cmp_ne_u32_e32 vcc, 0, v2
	v_mov_b32_e32 v16, 0
	s_and_saveexec_b64 s[90:91], vcc
	s_cbranch_execz .LBB6_7646
; %bb.7635:                             ;   in Loop: Header=BB6_7336 Depth=2
	v_bfe_u32 v16, v2, 23, 8
	v_cmp_gt_u32_e64 s[18:19], s53, v16
	v_sub_u32_e32 v2, 0x71, v16
	v_cmp_eq_u32_e32 vcc, 0, v16
	v_cndmask_b32_e64 v2, 0, v2, s[18:19]
	v_mov_b32_e32 v14, 0x70
	v_cndmask_b32_e32 v18, v2, v14, vcc
	v_add_u32_e32 v14, 21, v18
	v_or_b32_e32 v3, 0x800000, v27
	v_lshlrev_b64 v[14:15], v14, -1
	v_cndmask_b32_e32 v2, v3, v27, vcc
	v_mov_b32_e32 v3, v28
	v_add_u32_e32 v22, 20, v18
	v_bfi_b32 v14, v14, 0, v2
	v_lshlrev_b64 v[29:30], v22, 1
	v_lshrrev_b64 v[2:3], v18, v[2:3]
	v_bfi_b32 v15, v15, 0, 0
	v_cmp_eq_u64_e64 s[18:19], v[14:15], v[29:30]
	v_mov_b32_e32 v15, v3
	v_mov_b32_e32 v14, v2
	s_and_saveexec_b64 s[92:93], s[18:19]
; %bb.7636:                             ;   in Loop: Header=BB6_7336 Depth=2
	v_bfe_u32 v3, v2, 21, 1
	v_add_co_u32_e64 v3, s[18:19], v2, v3
	v_add_co_u32_e64 v14, s[18:19], -1, v3
; %bb.7637:                             ;   in Loop: Header=BB6_7336 Depth=2
	s_or_b64 exec, exec, s[92:93]
	v_add_u32_e32 v3, 0xffffff81, v16
	v_mov_b32_e32 v15, 0xffffff82
	v_cndmask_b32_e32 v3, v3, v15, vcc
	v_lshrrev_b32_e32 v15, 23, v2
	v_add3_u32 v16, v18, v3, v15
	v_add_u32_e32 v15, 14, v16
	v_and_b32_e32 v3, 0x1fffff, v14
	v_add_u32_e32 v27, v3, v2
	v_cmp_ne_u32_e32 vcc, 0, v15
                                        ; implicit-def: $vgpr2_vgpr3
                                        ; implicit-def: $vgpr14
	s_and_saveexec_b64 s[18:19], vcc
	s_xor_b64 s[18:19], exec, s[18:19]
; %bb.7638:                             ;   in Loop: Header=BB6_7336 Depth=2
	v_cmp_lt_u64_e32 vcc, s[62:63], v[27:28]
	v_add_u32_e32 v2, 15, v16
	v_cndmask_b32_e32 v14, v15, v2, vcc
	v_cndmask_b32_e64 v2, 0, 1, vcc
	v_lshrrev_b64 v[2:3], v2, v[27:28]
; %bb.7639:                             ;   in Loop: Header=BB6_7336 Depth=2
	s_andn2_saveexec_b64 s[18:19], s[18:19]
; %bb.7640:                             ;   in Loop: Header=BB6_7336 Depth=2
	v_mov_b32_e32 v2, v27
	v_mov_b32_e32 v3, v28
	v_bfe_u32 v14, v27, 23, 1
; %bb.7641:                             ;   in Loop: Header=BB6_7336 Depth=2
	s_or_b64 exec, exec, s[18:19]
	v_lshrrev_b64 v[2:3], 21, v[2:3]
	v_cmp_gt_i32_e32 vcc, 32, v14
	v_cndmask_b32_e32 v3, 0, v3, vcc
	v_cndmask_b32_e32 v2, 3, v2, vcc
	v_cmp_ne_u64_e32 vcc, 0, v[2:3]
	v_cmp_ne_u32_e64 s[18:19], 0, v14
	s_or_b64 s[18:19], s[18:19], vcc
                                        ; implicit-def: $vgpr16
	s_and_saveexec_b64 s[92:93], s[18:19]
	s_xor_b64 s[18:19], exec, s[92:93]
; %bb.7642:                             ;   in Loop: Header=BB6_7336 Depth=2
	v_min_i32_e32 v3, 31, v14
	v_lshl_or_b32 v3, v3, 2, v9
	v_and_or_b32 v16, v2, 3, v3
                                        ; implicit-def: $vgpr9
; %bb.7643:                             ;   in Loop: Header=BB6_7336 Depth=2
	s_andn2_saveexec_b64 s[18:19], s[18:19]
; %bb.7644:                             ;   in Loop: Header=BB6_7336 Depth=2
	v_mov_b32_e32 v16, v9
; %bb.7645:                             ;   in Loop: Header=BB6_7336 Depth=2
	s_or_b64 exec, exec, s[18:19]
.LBB6_7646:                             ;   in Loop: Header=BB6_7336 Depth=2
	s_or_b64 exec, exec, s[90:91]
                                        ; implicit-def: $vgpr9
.LBB6_7647:                             ;   in Loop: Header=BB6_7336 Depth=2
	s_andn2_saveexec_b64 s[18:19], s[88:89]
; %bb.7648:                             ;   in Loop: Header=BB6_7336 Depth=2
	v_or_b32_e32 v16, 0x7b, v9
; %bb.7649:                             ;   in Loop: Header=BB6_7336 Depth=2
	s_or_b64 exec, exec, s[18:19]
                                        ; implicit-def: $vgpr2
.LBB6_7650:                             ;   in Loop: Header=BB6_7336 Depth=2
	s_andn2_saveexec_b64 s[18:19], s[78:79]
	s_cbranch_execz .LBB6_7656
; %bb.7651:                             ;   in Loop: Header=BB6_7336 Depth=2
	v_cmp_ne_u64_e32 vcc, 0, v[27:28]
                                        ; implicit-def: $vgpr16
	s_and_saveexec_b64 s[78:79], vcc
	s_xor_b64 s[78:79], exec, s[78:79]
; %bb.7652:                             ;   in Loop: Header=BB6_7336 Depth=2
	v_or_b32_sdwa v16, v2, s54 dst_sel:DWORD dst_unused:UNUSED_PAD src0_sel:BYTE_3 src1_sel:DWORD
                                        ; implicit-def: $vgpr2
; %bb.7653:                             ;   in Loop: Header=BB6_7336 Depth=2
	s_andn2_saveexec_b64 s[78:79], s[78:79]
; %bb.7654:                             ;   in Loop: Header=BB6_7336 Depth=2
	v_cmp_lt_i32_e32 vcc, -1, v2
	v_mov_b32_e32 v2, 0x7c
	v_cndmask_b32_e32 v16, -4, v2, vcc
; %bb.7655:                             ;   in Loop: Header=BB6_7336 Depth=2
	s_or_b64 exec, exec, s[78:79]
.LBB6_7656:                             ;   in Loop: Header=BB6_7336 Depth=2
	s_or_b64 exec, exec, s[18:19]
	v_cmp_ne_u16_e32 vcc, 0, v59
	v_mov_b32_e32 v2, 0
	v_mov_b32_e32 v3, 0
	s_and_saveexec_b64 s[18:19], vcc
	s_cbranch_execz .LBB6_7664
; %bb.7657:                             ;   in Loop: Header=BB6_7336 Depth=2
	v_cmp_ne_u16_e32 vcc, s49, v59
	v_bfrev_b32_e32 v3, 1
	s_and_saveexec_b64 s[78:79], vcc
	s_cbranch_execz .LBB6_7663
; %bb.7658:                             ;   in Loop: Header=BB6_7336 Depth=2
	v_and_b32_e32 v3, 0x7c, v59
	v_and_b32_e32 v9, 3, v59
	v_cmp_ne_u32_e32 vcc, s50, v3
                                        ; implicit-def: $vgpr3
	s_and_saveexec_b64 s[88:89], vcc
	s_xor_b64 s[88:89], exec, s[88:89]
	s_cbranch_execz .LBB6_7660
; %bb.7659:                             ;   in Loop: Header=BB6_7336 Depth=2
	v_ffbh_u32_e32 v14, v9
	v_min_u32_e32 v18, 32, v14
	v_mov_b32_e32 v60, v28
	v_subrev_u32_e32 v14, 29, v18
	v_and_b32_e32 v3, 0xff, v59
	v_lshlrev_b64 v[14:15], v14, v[59:60]
	v_bfe_u32 v3, v3, 2, 5
	v_sub_u32_e32 v15, 30, v18
	v_and_b32_e32 v14, 3, v14
	v_cmp_eq_u32_e32 vcc, 0, v3
	v_cndmask_b32_e32 v3, v3, v15, vcc
	v_cndmask_b32_e32 v9, v9, v14, vcc
	v_and_b32_sdwa v14, sext(v59), s51 dst_sel:DWORD dst_unused:UNUSED_PAD src0_sel:WORD_0 src1_sel:DWORD
	v_lshl_add_u32 v3, v3, 23, v14
	v_lshl_or_b32 v3, v9, 21, v3
	v_add_u32_e32 v3, 0x38000000, v3
                                        ; implicit-def: $vgpr9
                                        ; implicit-def: $vgpr59
.LBB6_7660:                             ;   in Loop: Header=BB6_7336 Depth=2
	s_andn2_saveexec_b64 s[88:89], s[88:89]
; %bb.7661:                             ;   in Loop: Header=BB6_7336 Depth=2
	v_cmp_lt_i16_e32 vcc, -1, v59
	v_mov_b32_e32 v3, 0xff800000
	v_mov_b32_e32 v14, 0x7f800000
	v_cndmask_b32_e32 v3, v3, v14, vcc
	v_cmp_eq_u32_e32 vcc, 0, v9
	v_mov_b32_e32 v9, 0x7f800001
	v_cndmask_b32_e32 v3, v9, v3, vcc
; %bb.7662:                             ;   in Loop: Header=BB6_7336 Depth=2
	s_or_b64 exec, exec, s[88:89]
.LBB6_7663:                             ;   in Loop: Header=BB6_7336 Depth=2
	s_or_b64 exec, exec, s[78:79]
.LBB6_7664:                             ;   in Loop: Header=BB6_7336 Depth=2
	s_or_b64 exec, exec, s[18:19]
	v_cmp_ne_u16_e32 vcc, 0, v58
	s_and_saveexec_b64 s[18:19], vcc
	s_cbranch_execz .LBB6_7672
; %bb.7665:                             ;   in Loop: Header=BB6_7336 Depth=2
	v_cmp_ne_u16_e32 vcc, s49, v58
	v_bfrev_b32_e32 v2, 1
	s_and_saveexec_b64 s[78:79], vcc
	s_cbranch_execz .LBB6_7671
; %bb.7666:                             ;   in Loop: Header=BB6_7336 Depth=2
	v_and_b32_e32 v2, 0x7c, v58
	v_and_b32_e32 v9, 3, v58
	v_cmp_ne_u32_e32 vcc, s50, v2
                                        ; implicit-def: $vgpr2
	s_and_saveexec_b64 s[88:89], vcc
	s_xor_b64 s[88:89], exec, s[88:89]
	s_cbranch_execz .LBB6_7668
; %bb.7667:                             ;   in Loop: Header=BB6_7336 Depth=2
	v_ffbh_u32_e32 v14, v9
	v_min_u32_e32 v18, 32, v14
	v_mov_b32_e32 v59, v28
	v_subrev_u32_e32 v14, 29, v18
	v_and_b32_e32 v2, 0xff, v58
	v_lshlrev_b64 v[14:15], v14, v[58:59]
	v_bfe_u32 v2, v2, 2, 5
	v_sub_u32_e32 v15, 30, v18
	v_and_b32_e32 v14, 3, v14
	v_cmp_eq_u32_e32 vcc, 0, v2
	v_cndmask_b32_e32 v2, v2, v15, vcc
	v_cndmask_b32_e32 v9, v9, v14, vcc
	v_and_b32_sdwa v14, sext(v58), s51 dst_sel:DWORD dst_unused:UNUSED_PAD src0_sel:WORD_0 src1_sel:DWORD
	v_lshl_add_u32 v2, v2, 23, v14
	v_lshl_or_b32 v2, v9, 21, v2
	v_add_u32_e32 v2, 0x38000000, v2
                                        ; implicit-def: $vgpr9
                                        ; implicit-def: $vgpr58
.LBB6_7668:                             ;   in Loop: Header=BB6_7336 Depth=2
	s_andn2_saveexec_b64 s[88:89], s[88:89]
; %bb.7669:                             ;   in Loop: Header=BB6_7336 Depth=2
	v_cmp_lt_i16_e32 vcc, -1, v58
	v_mov_b32_e32 v2, 0xff800000
	v_mov_b32_e32 v14, 0x7f800000
	v_cndmask_b32_e32 v2, v2, v14, vcc
	v_cmp_eq_u32_e32 vcc, 0, v9
	v_mov_b32_e32 v9, 0x7f800001
	v_cndmask_b32_e32 v2, v9, v2, vcc
; %bb.7670:                             ;   in Loop: Header=BB6_7336 Depth=2
	s_or_b64 exec, exec, s[88:89]
.LBB6_7671:                             ;   in Loop: Header=BB6_7336 Depth=2
	s_or_b64 exec, exec, s[78:79]
.LBB6_7672:                             ;   in Loop: Header=BB6_7336 Depth=2
	s_or_b64 exec, exec, s[18:19]
	v_mul_f32_e32 v2, v3, v2
	v_and_b32_e32 v14, 0x7f800000, v2
	v_mov_b32_e32 v15, v28
	v_cmp_ne_u64_e32 vcc, s[58:59], v[14:15]
	v_and_b32_e32 v27, 0x7fffff, v2
                                        ; implicit-def: $vgpr18
	s_and_saveexec_b64 s[18:19], vcc
	s_xor_b64 s[78:79], exec, s[18:19]
	s_cbranch_execz .LBB6_7690
; %bb.7673:                             ;   in Loop: Header=BB6_7336 Depth=2
	v_and_b32_e32 v14, 0x7fffffff, v2
	v_mov_b32_e32 v15, v28
	v_cmp_gt_u64_e32 vcc, s[60:61], v[14:15]
	v_and_b32_sdwa v9, v2, s52 dst_sel:DWORD dst_unused:UNUSED_PAD src0_sel:BYTE_3 src1_sel:DWORD
                                        ; implicit-def: $vgpr18
	s_and_saveexec_b64 s[18:19], vcc
	s_xor_b64 s[88:89], exec, s[18:19]
	s_cbranch_execz .LBB6_7687
; %bb.7674:                             ;   in Loop: Header=BB6_7336 Depth=2
	v_cmp_ne_u32_e32 vcc, 0, v2
	v_mov_b32_e32 v18, 0
	s_and_saveexec_b64 s[90:91], vcc
	s_cbranch_execz .LBB6_7686
; %bb.7675:                             ;   in Loop: Header=BB6_7336 Depth=2
	v_bfe_u32 v18, v2, 23, 8
	v_cmp_gt_u32_e64 s[18:19], s53, v18
	v_sub_u32_e32 v2, 0x71, v18
	v_cmp_eq_u32_e32 vcc, 0, v18
	v_cndmask_b32_e64 v2, 0, v2, s[18:19]
	v_mov_b32_e32 v14, 0x70
	v_cndmask_b32_e32 v22, v2, v14, vcc
	v_add_u32_e32 v14, 21, v22
	v_or_b32_e32 v3, 0x800000, v27
	v_lshlrev_b64 v[14:15], v14, -1
	v_cndmask_b32_e32 v2, v3, v27, vcc
	v_mov_b32_e32 v3, v28
	v_add_u32_e32 v24, 20, v22
	v_bfi_b32 v14, v14, 0, v2
	v_lshlrev_b64 v[29:30], v24, 1
	v_lshrrev_b64 v[2:3], v22, v[2:3]
	v_bfi_b32 v15, v15, 0, 0
	v_cmp_eq_u64_e64 s[18:19], v[14:15], v[29:30]
	v_mov_b32_e32 v15, v3
	v_mov_b32_e32 v14, v2
	s_and_saveexec_b64 s[92:93], s[18:19]
; %bb.7676:                             ;   in Loop: Header=BB6_7336 Depth=2
	v_bfe_u32 v3, v2, 21, 1
	v_add_co_u32_e64 v3, s[18:19], v2, v3
	v_add_co_u32_e64 v14, s[18:19], -1, v3
; %bb.7677:                             ;   in Loop: Header=BB6_7336 Depth=2
	s_or_b64 exec, exec, s[92:93]
	v_add_u32_e32 v3, 0xffffff81, v18
	v_mov_b32_e32 v15, 0xffffff82
	v_cndmask_b32_e32 v3, v3, v15, vcc
	v_lshrrev_b32_e32 v15, 23, v2
	v_add3_u32 v18, v22, v3, v15
	v_add_u32_e32 v15, 14, v18
	v_and_b32_e32 v3, 0x1fffff, v14
	v_add_u32_e32 v27, v3, v2
	v_cmp_ne_u32_e32 vcc, 0, v15
                                        ; implicit-def: $vgpr2_vgpr3
                                        ; implicit-def: $vgpr14
	s_and_saveexec_b64 s[18:19], vcc
	s_xor_b64 s[18:19], exec, s[18:19]
; %bb.7678:                             ;   in Loop: Header=BB6_7336 Depth=2
	v_cmp_lt_u64_e32 vcc, s[62:63], v[27:28]
	v_add_u32_e32 v2, 15, v18
	v_cndmask_b32_e32 v14, v15, v2, vcc
	v_cndmask_b32_e64 v2, 0, 1, vcc
	v_lshrrev_b64 v[2:3], v2, v[27:28]
; %bb.7679:                             ;   in Loop: Header=BB6_7336 Depth=2
	s_andn2_saveexec_b64 s[18:19], s[18:19]
; %bb.7680:                             ;   in Loop: Header=BB6_7336 Depth=2
	v_mov_b32_e32 v2, v27
	v_mov_b32_e32 v3, v28
	v_bfe_u32 v14, v27, 23, 1
; %bb.7681:                             ;   in Loop: Header=BB6_7336 Depth=2
	s_or_b64 exec, exec, s[18:19]
	v_lshrrev_b64 v[2:3], 21, v[2:3]
	v_cmp_gt_i32_e32 vcc, 32, v14
	v_cndmask_b32_e32 v3, 0, v3, vcc
	v_cndmask_b32_e32 v2, 3, v2, vcc
	v_cmp_ne_u64_e32 vcc, 0, v[2:3]
	v_cmp_ne_u32_e64 s[18:19], 0, v14
	s_or_b64 s[18:19], s[18:19], vcc
                                        ; implicit-def: $vgpr18
	s_and_saveexec_b64 s[92:93], s[18:19]
	s_xor_b64 s[18:19], exec, s[92:93]
; %bb.7682:                             ;   in Loop: Header=BB6_7336 Depth=2
	v_min_i32_e32 v3, 31, v14
	v_lshl_or_b32 v3, v3, 2, v9
	v_and_or_b32 v18, v2, 3, v3
                                        ; implicit-def: $vgpr9
; %bb.7683:                             ;   in Loop: Header=BB6_7336 Depth=2
	s_andn2_saveexec_b64 s[18:19], s[18:19]
; %bb.7684:                             ;   in Loop: Header=BB6_7336 Depth=2
	v_mov_b32_e32 v18, v9
; %bb.7685:                             ;   in Loop: Header=BB6_7336 Depth=2
	s_or_b64 exec, exec, s[18:19]
.LBB6_7686:                             ;   in Loop: Header=BB6_7336 Depth=2
	s_or_b64 exec, exec, s[90:91]
                                        ; implicit-def: $vgpr9
.LBB6_7687:                             ;   in Loop: Header=BB6_7336 Depth=2
	s_andn2_saveexec_b64 s[18:19], s[88:89]
; %bb.7688:                             ;   in Loop: Header=BB6_7336 Depth=2
	v_or_b32_e32 v18, 0x7b, v9
; %bb.7689:                             ;   in Loop: Header=BB6_7336 Depth=2
	s_or_b64 exec, exec, s[18:19]
                                        ; implicit-def: $vgpr2
.LBB6_7690:                             ;   in Loop: Header=BB6_7336 Depth=2
	s_andn2_saveexec_b64 s[18:19], s[78:79]
	s_cbranch_execz .LBB6_7696
; %bb.7691:                             ;   in Loop: Header=BB6_7336 Depth=2
	v_cmp_ne_u64_e32 vcc, 0, v[27:28]
                                        ; implicit-def: $vgpr18
	s_and_saveexec_b64 s[78:79], vcc
	s_xor_b64 s[78:79], exec, s[78:79]
; %bb.7692:                             ;   in Loop: Header=BB6_7336 Depth=2
	v_or_b32_sdwa v18, v2, s54 dst_sel:DWORD dst_unused:UNUSED_PAD src0_sel:BYTE_3 src1_sel:DWORD
                                        ; implicit-def: $vgpr2
; %bb.7693:                             ;   in Loop: Header=BB6_7336 Depth=2
	s_andn2_saveexec_b64 s[78:79], s[78:79]
; %bb.7694:                             ;   in Loop: Header=BB6_7336 Depth=2
	v_cmp_lt_i32_e32 vcc, -1, v2
	v_mov_b32_e32 v2, 0x7c
	v_cndmask_b32_e32 v18, -4, v2, vcc
; %bb.7695:                             ;   in Loop: Header=BB6_7336 Depth=2
	s_or_b64 exec, exec, s[78:79]
.LBB6_7696:                             ;   in Loop: Header=BB6_7336 Depth=2
	s_or_b64 exec, exec, s[18:19]
	v_cmp_ne_u16_e32 vcc, 0, v40
	v_mov_b32_e32 v2, 0
	v_mov_b32_e32 v3, 0
	s_and_saveexec_b64 s[18:19], vcc
	s_cbranch_execz .LBB6_7704
; %bb.7697:                             ;   in Loop: Header=BB6_7336 Depth=2
	v_cmp_ne_u16_e32 vcc, s49, v40
	v_bfrev_b32_e32 v3, 1
	s_and_saveexec_b64 s[78:79], vcc
	s_cbranch_execz .LBB6_7703
; %bb.7698:                             ;   in Loop: Header=BB6_7336 Depth=2
	v_and_b32_e32 v3, 0x7c, v40
	v_and_b32_e32 v9, 3, v40
	v_cmp_ne_u32_e32 vcc, s50, v3
                                        ; implicit-def: $vgpr3
	s_and_saveexec_b64 s[88:89], vcc
	s_xor_b64 s[88:89], exec, s[88:89]
	s_cbranch_execz .LBB6_7700
; %bb.7699:                             ;   in Loop: Header=BB6_7336 Depth=2
	v_ffbh_u32_e32 v14, v9
	v_min_u32_e32 v22, 32, v14
	v_mov_b32_e32 v41, v28
	v_subrev_u32_e32 v14, 29, v22
	v_and_b32_e32 v3, 0xff, v40
	v_lshlrev_b64 v[14:15], v14, v[40:41]
	v_bfe_u32 v3, v3, 2, 5
	v_sub_u32_e32 v15, 30, v22
	v_and_b32_e32 v14, 3, v14
	v_cmp_eq_u32_e32 vcc, 0, v3
	v_cndmask_b32_e32 v3, v3, v15, vcc
	v_cndmask_b32_e32 v9, v9, v14, vcc
	v_and_b32_sdwa v14, sext(v40), s51 dst_sel:DWORD dst_unused:UNUSED_PAD src0_sel:WORD_0 src1_sel:DWORD
	v_lshl_add_u32 v3, v3, 23, v14
	v_lshl_or_b32 v3, v9, 21, v3
	v_add_u32_e32 v3, 0x38000000, v3
                                        ; implicit-def: $vgpr9
                                        ; implicit-def: $vgpr40
.LBB6_7700:                             ;   in Loop: Header=BB6_7336 Depth=2
	s_andn2_saveexec_b64 s[88:89], s[88:89]
; %bb.7701:                             ;   in Loop: Header=BB6_7336 Depth=2
	v_cmp_lt_i16_e32 vcc, -1, v40
	v_mov_b32_e32 v3, 0xff800000
	v_mov_b32_e32 v14, 0x7f800000
	v_cndmask_b32_e32 v3, v3, v14, vcc
	v_cmp_eq_u32_e32 vcc, 0, v9
	v_mov_b32_e32 v9, 0x7f800001
	v_cndmask_b32_e32 v3, v9, v3, vcc
; %bb.7702:                             ;   in Loop: Header=BB6_7336 Depth=2
	s_or_b64 exec, exec, s[88:89]
.LBB6_7703:                             ;   in Loop: Header=BB6_7336 Depth=2
	s_or_b64 exec, exec, s[78:79]
.LBB6_7704:                             ;   in Loop: Header=BB6_7336 Depth=2
	s_or_b64 exec, exec, s[18:19]
	v_cmp_ne_u16_e32 vcc, 0, v39
	s_and_saveexec_b64 s[18:19], vcc
	s_cbranch_execz .LBB6_7712
; %bb.7705:                             ;   in Loop: Header=BB6_7336 Depth=2
	v_cmp_ne_u16_e32 vcc, s49, v39
	v_bfrev_b32_e32 v2, 1
	s_and_saveexec_b64 s[78:79], vcc
	s_cbranch_execz .LBB6_7711
; %bb.7706:                             ;   in Loop: Header=BB6_7336 Depth=2
	v_and_b32_e32 v2, 0x7c, v39
	v_and_b32_e32 v9, 3, v39
	v_cmp_ne_u32_e32 vcc, s50, v2
                                        ; implicit-def: $vgpr2
	s_and_saveexec_b64 s[88:89], vcc
	s_xor_b64 s[88:89], exec, s[88:89]
	s_cbranch_execz .LBB6_7708
; %bb.7707:                             ;   in Loop: Header=BB6_7336 Depth=2
	v_ffbh_u32_e32 v14, v9
	v_min_u32_e32 v22, 32, v14
	v_mov_b32_e32 v40, v28
	v_subrev_u32_e32 v14, 29, v22
	v_and_b32_e32 v2, 0xff, v39
	v_lshlrev_b64 v[14:15], v14, v[39:40]
	v_bfe_u32 v2, v2, 2, 5
	v_sub_u32_e32 v15, 30, v22
	v_and_b32_e32 v14, 3, v14
	v_cmp_eq_u32_e32 vcc, 0, v2
	v_cndmask_b32_e32 v2, v2, v15, vcc
	v_cndmask_b32_e32 v9, v9, v14, vcc
	v_and_b32_sdwa v14, sext(v39), s51 dst_sel:DWORD dst_unused:UNUSED_PAD src0_sel:WORD_0 src1_sel:DWORD
	v_lshl_add_u32 v2, v2, 23, v14
	v_lshl_or_b32 v2, v9, 21, v2
	v_add_u32_e32 v2, 0x38000000, v2
                                        ; implicit-def: $vgpr9
                                        ; implicit-def: $vgpr39
.LBB6_7708:                             ;   in Loop: Header=BB6_7336 Depth=2
	s_andn2_saveexec_b64 s[88:89], s[88:89]
; %bb.7709:                             ;   in Loop: Header=BB6_7336 Depth=2
	v_cmp_lt_i16_e32 vcc, -1, v39
	v_mov_b32_e32 v2, 0xff800000
	v_mov_b32_e32 v14, 0x7f800000
	v_cndmask_b32_e32 v2, v2, v14, vcc
	v_cmp_eq_u32_e32 vcc, 0, v9
	v_mov_b32_e32 v9, 0x7f800001
	v_cndmask_b32_e32 v2, v9, v2, vcc
; %bb.7710:                             ;   in Loop: Header=BB6_7336 Depth=2
	s_or_b64 exec, exec, s[88:89]
.LBB6_7711:                             ;   in Loop: Header=BB6_7336 Depth=2
	s_or_b64 exec, exec, s[78:79]
.LBB6_7712:                             ;   in Loop: Header=BB6_7336 Depth=2
	s_or_b64 exec, exec, s[18:19]
	v_mul_f32_e32 v2, v3, v2
	v_and_b32_e32 v14, 0x7f800000, v2
	v_mov_b32_e32 v15, v28
	v_cmp_ne_u64_e32 vcc, s[58:59], v[14:15]
	v_and_b32_e32 v27, 0x7fffff, v2
                                        ; implicit-def: $vgpr14
	s_and_saveexec_b64 s[18:19], vcc
	s_xor_b64 s[78:79], exec, s[18:19]
	s_cbranch_execz .LBB6_7730
; %bb.7713:                             ;   in Loop: Header=BB6_7336 Depth=2
	v_and_b32_e32 v14, 0x7fffffff, v2
	v_mov_b32_e32 v15, v28
	v_cmp_gt_u64_e32 vcc, s[60:61], v[14:15]
	v_and_b32_sdwa v9, v2, s52 dst_sel:DWORD dst_unused:UNUSED_PAD src0_sel:BYTE_3 src1_sel:DWORD
                                        ; implicit-def: $vgpr14
	s_and_saveexec_b64 s[18:19], vcc
	s_xor_b64 s[88:89], exec, s[18:19]
	s_cbranch_execz .LBB6_7727
; %bb.7714:                             ;   in Loop: Header=BB6_7336 Depth=2
	v_cmp_ne_u32_e32 vcc, 0, v2
	v_mov_b32_e32 v14, 0
	s_and_saveexec_b64 s[90:91], vcc
	s_cbranch_execz .LBB6_7726
; %bb.7715:                             ;   in Loop: Header=BB6_7336 Depth=2
	v_bfe_u32 v22, v2, 23, 8
	v_cmp_gt_u32_e64 s[18:19], s53, v22
	v_sub_u32_e32 v2, 0x71, v22
	v_cmp_eq_u32_e32 vcc, 0, v22
	v_cndmask_b32_e64 v2, 0, v2, s[18:19]
	v_mov_b32_e32 v14, 0x70
	v_cndmask_b32_e32 v24, v2, v14, vcc
	v_add_u32_e32 v14, 21, v24
	v_or_b32_e32 v3, 0x800000, v27
	v_lshlrev_b64 v[14:15], v14, -1
	v_cndmask_b32_e32 v2, v3, v27, vcc
	v_mov_b32_e32 v3, v28
	v_add_u32_e32 v27, 20, v24
	v_bfi_b32 v14, v14, 0, v2
	v_lshlrev_b64 v[29:30], v27, 1
	v_lshrrev_b64 v[2:3], v24, v[2:3]
	v_bfi_b32 v15, v15, 0, 0
	v_cmp_eq_u64_e64 s[18:19], v[14:15], v[29:30]
	v_mov_b32_e32 v15, v3
	v_mov_b32_e32 v14, v2
	s_and_saveexec_b64 s[92:93], s[18:19]
; %bb.7716:                             ;   in Loop: Header=BB6_7336 Depth=2
	v_bfe_u32 v3, v2, 21, 1
	v_add_co_u32_e64 v3, s[18:19], v2, v3
	v_add_co_u32_e64 v14, s[18:19], -1, v3
; %bb.7717:                             ;   in Loop: Header=BB6_7336 Depth=2
	s_or_b64 exec, exec, s[92:93]
	v_add_u32_e32 v3, 0xffffff81, v22
	v_mov_b32_e32 v15, 0xffffff82
	v_cndmask_b32_e32 v3, v3, v15, vcc
	v_lshrrev_b32_e32 v15, 23, v2
	v_add3_u32 v24, v24, v3, v15
	v_add_u32_e32 v22, 14, v24
	v_and_b32_e32 v3, 0x1fffff, v14
	v_add_u32_e32 v27, v3, v2
	v_cmp_ne_u32_e32 vcc, 0, v22
                                        ; implicit-def: $vgpr2_vgpr3
                                        ; implicit-def: $vgpr15
	s_and_saveexec_b64 s[18:19], vcc
	s_xor_b64 s[18:19], exec, s[18:19]
; %bb.7718:                             ;   in Loop: Header=BB6_7336 Depth=2
	v_cmp_lt_u64_e32 vcc, s[62:63], v[27:28]
	v_add_u32_e32 v2, 15, v24
	v_cndmask_b32_e32 v15, v22, v2, vcc
	v_cndmask_b32_e64 v2, 0, 1, vcc
	v_lshrrev_b64 v[2:3], v2, v[27:28]
; %bb.7719:                             ;   in Loop: Header=BB6_7336 Depth=2
	s_andn2_saveexec_b64 s[18:19], s[18:19]
; %bb.7720:                             ;   in Loop: Header=BB6_7336 Depth=2
	v_mov_b32_e32 v2, v27
	v_mov_b32_e32 v3, v28
	v_bfe_u32 v15, v27, 23, 1
; %bb.7721:                             ;   in Loop: Header=BB6_7336 Depth=2
	s_or_b64 exec, exec, s[18:19]
	v_lshrrev_b64 v[2:3], 21, v[2:3]
	v_cmp_gt_i32_e32 vcc, 32, v15
	v_cndmask_b32_e32 v3, 0, v3, vcc
	v_cndmask_b32_e32 v2, 3, v2, vcc
	v_cmp_ne_u64_e32 vcc, 0, v[2:3]
	v_cmp_ne_u32_e64 s[18:19], 0, v15
	s_or_b64 s[18:19], s[18:19], vcc
                                        ; implicit-def: $vgpr14
	s_and_saveexec_b64 s[92:93], s[18:19]
	s_xor_b64 s[18:19], exec, s[92:93]
; %bb.7722:                             ;   in Loop: Header=BB6_7336 Depth=2
	v_min_i32_e32 v3, 31, v15
	v_lshl_or_b32 v3, v3, 2, v9
	v_and_or_b32 v14, v2, 3, v3
                                        ; implicit-def: $vgpr9
; %bb.7723:                             ;   in Loop: Header=BB6_7336 Depth=2
	s_andn2_saveexec_b64 s[18:19], s[18:19]
; %bb.7724:                             ;   in Loop: Header=BB6_7336 Depth=2
	v_mov_b32_e32 v14, v9
; %bb.7725:                             ;   in Loop: Header=BB6_7336 Depth=2
	s_or_b64 exec, exec, s[18:19]
.LBB6_7726:                             ;   in Loop: Header=BB6_7336 Depth=2
	s_or_b64 exec, exec, s[90:91]
                                        ; implicit-def: $vgpr9
.LBB6_7727:                             ;   in Loop: Header=BB6_7336 Depth=2
	s_andn2_saveexec_b64 s[18:19], s[88:89]
; %bb.7728:                             ;   in Loop: Header=BB6_7336 Depth=2
	v_or_b32_e32 v14, 0x7b, v9
; %bb.7729:                             ;   in Loop: Header=BB6_7336 Depth=2
	s_or_b64 exec, exec, s[18:19]
                                        ; implicit-def: $vgpr2
.LBB6_7730:                             ;   in Loop: Header=BB6_7336 Depth=2
	s_andn2_saveexec_b64 s[18:19], s[78:79]
	s_cbranch_execz .LBB6_7736
; %bb.7731:                             ;   in Loop: Header=BB6_7336 Depth=2
	v_cmp_ne_u64_e32 vcc, 0, v[27:28]
                                        ; implicit-def: $vgpr14
	s_and_saveexec_b64 s[78:79], vcc
	s_xor_b64 s[78:79], exec, s[78:79]
; %bb.7732:                             ;   in Loop: Header=BB6_7336 Depth=2
	v_or_b32_sdwa v14, v2, s54 dst_sel:DWORD dst_unused:UNUSED_PAD src0_sel:BYTE_3 src1_sel:DWORD
                                        ; implicit-def: $vgpr2
; %bb.7733:                             ;   in Loop: Header=BB6_7336 Depth=2
	s_andn2_saveexec_b64 s[78:79], s[78:79]
; %bb.7734:                             ;   in Loop: Header=BB6_7336 Depth=2
	v_cmp_lt_i32_e32 vcc, -1, v2
	v_mov_b32_e32 v2, 0x7c
	v_cndmask_b32_e32 v14, -4, v2, vcc
; %bb.7735:                             ;   in Loop: Header=BB6_7336 Depth=2
	s_or_b64 exec, exec, s[78:79]
.LBB6_7736:                             ;   in Loop: Header=BB6_7336 Depth=2
	s_or_b64 exec, exec, s[18:19]
	v_cmp_ne_u16_e32 vcc, 0, v57
	v_mov_b32_e32 v2, 0
	v_mov_b32_e32 v3, 0
	s_and_saveexec_b64 s[18:19], vcc
	s_cbranch_execz .LBB6_7744
; %bb.7737:                             ;   in Loop: Header=BB6_7336 Depth=2
	v_cmp_ne_u16_e32 vcc, s49, v57
	v_bfrev_b32_e32 v3, 1
	s_and_saveexec_b64 s[78:79], vcc
	s_cbranch_execz .LBB6_7743
; %bb.7738:                             ;   in Loop: Header=BB6_7336 Depth=2
	v_and_b32_e32 v3, 0x7c, v57
	v_and_b32_e32 v9, 3, v57
	v_cmp_ne_u32_e32 vcc, s50, v3
                                        ; implicit-def: $vgpr3
	s_and_saveexec_b64 s[88:89], vcc
	s_xor_b64 s[88:89], exec, s[88:89]
	s_cbranch_execz .LBB6_7740
; %bb.7739:                             ;   in Loop: Header=BB6_7336 Depth=2
	v_ffbh_u32_e32 v15, v9
	v_min_u32_e32 v15, 32, v15
	v_and_b32_e32 v3, 0xff, v57
	v_mov_b32_e32 v58, v28
	v_subrev_u32_e32 v22, 29, v15
	v_bfe_u32 v3, v3, 2, 5
	v_lshlrev_b64 v[29:30], v22, v[57:58]
	v_sub_u32_e32 v15, 30, v15
	v_cmp_eq_u32_e32 vcc, 0, v3
	v_and_b32_e32 v22, 3, v29
	v_cndmask_b32_e32 v3, v3, v15, vcc
	v_and_b32_sdwa v15, sext(v57), s51 dst_sel:DWORD dst_unused:UNUSED_PAD src0_sel:WORD_0 src1_sel:DWORD
	v_cndmask_b32_e32 v9, v9, v22, vcc
	v_lshl_add_u32 v3, v3, 23, v15
	v_lshl_or_b32 v3, v9, 21, v3
	v_add_u32_e32 v3, 0x38000000, v3
                                        ; implicit-def: $vgpr9
                                        ; implicit-def: $vgpr57
.LBB6_7740:                             ;   in Loop: Header=BB6_7336 Depth=2
	s_andn2_saveexec_b64 s[88:89], s[88:89]
; %bb.7741:                             ;   in Loop: Header=BB6_7336 Depth=2
	v_cmp_lt_i16_e32 vcc, -1, v57
	v_mov_b32_e32 v3, 0xff800000
	v_mov_b32_e32 v15, 0x7f800000
	v_cndmask_b32_e32 v3, v3, v15, vcc
	v_cmp_eq_u32_e32 vcc, 0, v9
	v_mov_b32_e32 v9, 0x7f800001
	v_cndmask_b32_e32 v3, v9, v3, vcc
; %bb.7742:                             ;   in Loop: Header=BB6_7336 Depth=2
	s_or_b64 exec, exec, s[88:89]
.LBB6_7743:                             ;   in Loop: Header=BB6_7336 Depth=2
	s_or_b64 exec, exec, s[78:79]
.LBB6_7744:                             ;   in Loop: Header=BB6_7336 Depth=2
	s_or_b64 exec, exec, s[18:19]
	v_cmp_ne_u16_e32 vcc, 0, v8
	s_and_saveexec_b64 s[18:19], vcc
	s_cbranch_execz .LBB6_7752
; %bb.7745:                             ;   in Loop: Header=BB6_7336 Depth=2
	v_cmp_ne_u16_e32 vcc, s49, v8
	v_bfrev_b32_e32 v2, 1
	s_and_saveexec_b64 s[78:79], vcc
	s_cbranch_execz .LBB6_7751
; %bb.7746:                             ;   in Loop: Header=BB6_7336 Depth=2
	v_and_b32_e32 v2, 0x7c, v8
	v_and_b32_e32 v15, 3, v8
	v_cmp_ne_u32_e32 vcc, s50, v2
                                        ; implicit-def: $vgpr2
	s_and_saveexec_b64 s[88:89], vcc
	s_xor_b64 s[88:89], exec, s[88:89]
	s_cbranch_execz .LBB6_7748
; %bb.7747:                             ;   in Loop: Header=BB6_7336 Depth=2
	v_ffbh_u32_e32 v22, v15
	v_min_u32_e32 v22, 32, v22
	v_and_b32_e32 v2, 0xff, v8
	v_mov_b32_e32 v9, v28
	v_subrev_u32_e32 v24, 29, v22
	v_bfe_u32 v2, v2, 2, 5
	v_lshlrev_b64 v[29:30], v24, v[8:9]
	v_sub_u32_e32 v9, 30, v22
	v_cmp_eq_u32_e32 vcc, 0, v2
	v_and_b32_e32 v22, 3, v29
	v_cndmask_b32_e32 v2, v2, v9, vcc
	v_and_b32_sdwa v8, sext(v8), s51 dst_sel:DWORD dst_unused:UNUSED_PAD src0_sel:WORD_0 src1_sel:DWORD
	v_cndmask_b32_e32 v9, v15, v22, vcc
	v_lshl_add_u32 v2, v2, 23, v8
	v_lshl_or_b32 v2, v9, 21, v2
	v_add_u32_e32 v2, 0x38000000, v2
                                        ; implicit-def: $vgpr15
                                        ; implicit-def: $vgpr8
.LBB6_7748:                             ;   in Loop: Header=BB6_7336 Depth=2
	s_andn2_saveexec_b64 s[88:89], s[88:89]
; %bb.7749:                             ;   in Loop: Header=BB6_7336 Depth=2
	v_cmp_lt_i16_e32 vcc, -1, v8
	v_mov_b32_e32 v2, 0xff800000
	v_mov_b32_e32 v8, 0x7f800000
	v_cndmask_b32_e32 v2, v2, v8, vcc
	v_cmp_eq_u32_e32 vcc, 0, v15
	v_mov_b32_e32 v8, 0x7f800001
	v_cndmask_b32_e32 v2, v8, v2, vcc
; %bb.7750:                             ;   in Loop: Header=BB6_7336 Depth=2
	s_or_b64 exec, exec, s[88:89]
.LBB6_7751:                             ;   in Loop: Header=BB6_7336 Depth=2
	s_or_b64 exec, exec, s[78:79]
.LBB6_7752:                             ;   in Loop: Header=BB6_7336 Depth=2
	s_or_b64 exec, exec, s[18:19]
	v_mul_f32_e32 v2, v3, v2
	v_and_b32_e32 v8, 0x7f800000, v2
	v_mov_b32_e32 v9, v28
	v_cmp_ne_u64_e32 vcc, s[58:59], v[8:9]
	v_and_b32_e32 v27, 0x7fffff, v2
                                        ; implicit-def: $vgpr9
	s_and_saveexec_b64 s[18:19], vcc
	s_xor_b64 s[78:79], exec, s[18:19]
	s_cbranch_execz .LBB6_7770
; %bb.7753:                             ;   in Loop: Header=BB6_7336 Depth=2
	v_and_b32_e32 v8, 0x7fffffff, v2
	v_mov_b32_e32 v9, v28
	v_cmp_gt_u64_e32 vcc, s[60:61], v[8:9]
	v_and_b32_sdwa v15, v2, s52 dst_sel:DWORD dst_unused:UNUSED_PAD src0_sel:BYTE_3 src1_sel:DWORD
                                        ; implicit-def: $vgpr9
	s_and_saveexec_b64 s[18:19], vcc
	s_xor_b64 s[88:89], exec, s[18:19]
	s_cbranch_execz .LBB6_7767
; %bb.7754:                             ;   in Loop: Header=BB6_7336 Depth=2
	v_cmp_ne_u32_e32 vcc, 0, v2
	v_mov_b32_e32 v9, 0
	s_and_saveexec_b64 s[90:91], vcc
	s_cbranch_execz .LBB6_7766
; %bb.7755:                             ;   in Loop: Header=BB6_7336 Depth=2
	v_bfe_u32 v22, v2, 23, 8
	v_cmp_gt_u32_e64 s[18:19], s53, v22
	v_sub_u32_e32 v2, 0x71, v22
	v_cmp_eq_u32_e32 vcc, 0, v22
	v_cndmask_b32_e64 v2, 0, v2, s[18:19]
	v_mov_b32_e32 v8, 0x70
	v_cndmask_b32_e32 v24, v2, v8, vcc
	v_add_u32_e32 v8, 21, v24
	v_or_b32_e32 v3, 0x800000, v27
	v_lshlrev_b64 v[8:9], v8, -1
	v_cndmask_b32_e32 v2, v3, v27, vcc
	v_mov_b32_e32 v3, v28
	v_add_u32_e32 v27, 20, v24
	v_bfi_b32 v8, v8, 0, v2
	v_lshlrev_b64 v[29:30], v27, 1
	v_lshrrev_b64 v[2:3], v24, v[2:3]
	v_bfi_b32 v9, v9, 0, 0
	v_cmp_eq_u64_e64 s[18:19], v[8:9], v[29:30]
	v_mov_b32_e32 v9, v3
	v_mov_b32_e32 v8, v2
	s_and_saveexec_b64 s[92:93], s[18:19]
; %bb.7756:                             ;   in Loop: Header=BB6_7336 Depth=2
	v_bfe_u32 v3, v2, 21, 1
	v_add_co_u32_e64 v3, s[18:19], v2, v3
	v_add_co_u32_e64 v8, s[18:19], -1, v3
; %bb.7757:                             ;   in Loop: Header=BB6_7336 Depth=2
	s_or_b64 exec, exec, s[92:93]
	v_add_u32_e32 v3, 0xffffff81, v22
	v_mov_b32_e32 v9, 0xffffff82
	v_cndmask_b32_e32 v3, v3, v9, vcc
	v_lshrrev_b32_e32 v9, 23, v2
	v_add3_u32 v22, v24, v3, v9
	v_add_u32_e32 v9, 14, v22
	v_and_b32_e32 v3, 0x1fffff, v8
	v_add_u32_e32 v27, v3, v2
	v_cmp_ne_u32_e32 vcc, 0, v9
                                        ; implicit-def: $vgpr2_vgpr3
                                        ; implicit-def: $vgpr8
	s_and_saveexec_b64 s[18:19], vcc
	s_xor_b64 s[18:19], exec, s[18:19]
; %bb.7758:                             ;   in Loop: Header=BB6_7336 Depth=2
	v_cmp_lt_u64_e32 vcc, s[62:63], v[27:28]
	v_add_u32_e32 v2, 15, v22
	v_cndmask_b32_e32 v8, v9, v2, vcc
	v_cndmask_b32_e64 v2, 0, 1, vcc
	v_lshrrev_b64 v[2:3], v2, v[27:28]
; %bb.7759:                             ;   in Loop: Header=BB6_7336 Depth=2
	s_andn2_saveexec_b64 s[18:19], s[18:19]
; %bb.7760:                             ;   in Loop: Header=BB6_7336 Depth=2
	v_mov_b32_e32 v2, v27
	v_mov_b32_e32 v3, v28
	v_bfe_u32 v8, v27, 23, 1
; %bb.7761:                             ;   in Loop: Header=BB6_7336 Depth=2
	s_or_b64 exec, exec, s[18:19]
	v_lshrrev_b64 v[2:3], 21, v[2:3]
	v_cmp_gt_i32_e32 vcc, 32, v8
	v_cndmask_b32_e32 v3, 0, v3, vcc
	v_cndmask_b32_e32 v2, 3, v2, vcc
	v_cmp_ne_u64_e32 vcc, 0, v[2:3]
	v_cmp_ne_u32_e64 s[18:19], 0, v8
	s_or_b64 s[18:19], s[18:19], vcc
                                        ; implicit-def: $vgpr9
	s_and_saveexec_b64 s[92:93], s[18:19]
	s_xor_b64 s[18:19], exec, s[92:93]
; %bb.7762:                             ;   in Loop: Header=BB6_7336 Depth=2
	v_min_i32_e32 v3, 31, v8
	v_lshl_or_b32 v3, v3, 2, v15
	v_and_or_b32 v9, v2, 3, v3
                                        ; implicit-def: $vgpr15
; %bb.7763:                             ;   in Loop: Header=BB6_7336 Depth=2
	s_andn2_saveexec_b64 s[18:19], s[18:19]
; %bb.7764:                             ;   in Loop: Header=BB6_7336 Depth=2
	v_mov_b32_e32 v9, v15
; %bb.7765:                             ;   in Loop: Header=BB6_7336 Depth=2
	s_or_b64 exec, exec, s[18:19]
.LBB6_7766:                             ;   in Loop: Header=BB6_7336 Depth=2
	s_or_b64 exec, exec, s[90:91]
                                        ; implicit-def: $vgpr15
.LBB6_7767:                             ;   in Loop: Header=BB6_7336 Depth=2
	s_andn2_saveexec_b64 s[18:19], s[88:89]
; %bb.7768:                             ;   in Loop: Header=BB6_7336 Depth=2
	v_or_b32_e32 v9, 0x7b, v15
; %bb.7769:                             ;   in Loop: Header=BB6_7336 Depth=2
	s_or_b64 exec, exec, s[18:19]
                                        ; implicit-def: $vgpr2
.LBB6_7770:                             ;   in Loop: Header=BB6_7336 Depth=2
	s_andn2_saveexec_b64 s[18:19], s[78:79]
	s_cbranch_execz .LBB6_7776
; %bb.7771:                             ;   in Loop: Header=BB6_7336 Depth=2
	v_cmp_ne_u64_e32 vcc, 0, v[27:28]
                                        ; implicit-def: $vgpr9
	s_and_saveexec_b64 s[78:79], vcc
	s_xor_b64 s[78:79], exec, s[78:79]
; %bb.7772:                             ;   in Loop: Header=BB6_7336 Depth=2
	v_or_b32_sdwa v9, v2, s54 dst_sel:DWORD dst_unused:UNUSED_PAD src0_sel:BYTE_3 src1_sel:DWORD
                                        ; implicit-def: $vgpr2
; %bb.7773:                             ;   in Loop: Header=BB6_7336 Depth=2
	s_andn2_saveexec_b64 s[78:79], s[78:79]
; %bb.7774:                             ;   in Loop: Header=BB6_7336 Depth=2
	v_cmp_lt_i32_e32 vcc, -1, v2
	v_mov_b32_e32 v2, 0x7c
	v_cndmask_b32_e32 v9, -4, v2, vcc
; %bb.7775:                             ;   in Loop: Header=BB6_7336 Depth=2
	s_or_b64 exec, exec, s[78:79]
.LBB6_7776:                             ;   in Loop: Header=BB6_7336 Depth=2
	s_or_b64 exec, exec, s[18:19]
	v_cmp_ne_u16_e32 vcc, 0, v7
	v_mov_b32_e32 v2, 0
	v_mov_b32_e32 v3, 0
	s_and_saveexec_b64 s[18:19], vcc
	s_cbranch_execz .LBB6_7784
; %bb.7777:                             ;   in Loop: Header=BB6_7336 Depth=2
	v_cmp_ne_u16_e32 vcc, s49, v7
	v_bfrev_b32_e32 v3, 1
	s_and_saveexec_b64 s[78:79], vcc
	s_cbranch_execz .LBB6_7783
; %bb.7778:                             ;   in Loop: Header=BB6_7336 Depth=2
	v_and_b32_e32 v3, 0x7c, v7
	v_and_b32_e32 v15, 3, v7
	v_cmp_ne_u32_e32 vcc, s50, v3
                                        ; implicit-def: $vgpr3
	s_and_saveexec_b64 s[88:89], vcc
	s_xor_b64 s[88:89], exec, s[88:89]
	s_cbranch_execz .LBB6_7780
; %bb.7779:                             ;   in Loop: Header=BB6_7336 Depth=2
	v_ffbh_u32_e32 v22, v15
	v_min_u32_e32 v22, 32, v22
	v_and_b32_e32 v3, 0xff, v7
	v_mov_b32_e32 v8, v28
	v_subrev_u32_e32 v24, 29, v22
	v_bfe_u32 v3, v3, 2, 5
	v_lshlrev_b64 v[29:30], v24, v[7:8]
	v_sub_u32_e32 v8, 30, v22
	v_cmp_eq_u32_e32 vcc, 0, v3
	v_and_b32_e32 v22, 3, v29
	v_cndmask_b32_e32 v3, v3, v8, vcc
	v_and_b32_sdwa v7, sext(v7), s51 dst_sel:DWORD dst_unused:UNUSED_PAD src0_sel:WORD_0 src1_sel:DWORD
	v_cndmask_b32_e32 v8, v15, v22, vcc
	v_lshl_add_u32 v3, v3, 23, v7
	v_lshl_or_b32 v3, v8, 21, v3
	v_add_u32_e32 v3, 0x38000000, v3
                                        ; implicit-def: $vgpr15
                                        ; implicit-def: $vgpr7
.LBB6_7780:                             ;   in Loop: Header=BB6_7336 Depth=2
	s_andn2_saveexec_b64 s[88:89], s[88:89]
; %bb.7781:                             ;   in Loop: Header=BB6_7336 Depth=2
	v_cmp_lt_i16_e32 vcc, -1, v7
	v_mov_b32_e32 v3, 0xff800000
	v_mov_b32_e32 v7, 0x7f800000
	v_cndmask_b32_e32 v3, v3, v7, vcc
	v_cmp_eq_u32_e32 vcc, 0, v15
	v_mov_b32_e32 v7, 0x7f800001
	v_cndmask_b32_e32 v3, v7, v3, vcc
; %bb.7782:                             ;   in Loop: Header=BB6_7336 Depth=2
	s_or_b64 exec, exec, s[88:89]
.LBB6_7783:                             ;   in Loop: Header=BB6_7336 Depth=2
	s_or_b64 exec, exec, s[78:79]
.LBB6_7784:                             ;   in Loop: Header=BB6_7336 Depth=2
	s_or_b64 exec, exec, s[18:19]
	v_cmp_ne_u16_e32 vcc, 0, v6
	s_and_saveexec_b64 s[18:19], vcc
	s_cbranch_execz .LBB6_7792
; %bb.7785:                             ;   in Loop: Header=BB6_7336 Depth=2
	v_cmp_ne_u16_e32 vcc, s49, v6
	v_bfrev_b32_e32 v2, 1
	s_and_saveexec_b64 s[78:79], vcc
	s_cbranch_execz .LBB6_7791
; %bb.7786:                             ;   in Loop: Header=BB6_7336 Depth=2
	v_and_b32_e32 v2, 0x7c, v6
	v_and_b32_e32 v8, 3, v6
	v_cmp_ne_u32_e32 vcc, s50, v2
                                        ; implicit-def: $vgpr2
	s_and_saveexec_b64 s[88:89], vcc
	s_xor_b64 s[88:89], exec, s[88:89]
	s_cbranch_execz .LBB6_7788
; %bb.7787:                             ;   in Loop: Header=BB6_7336 Depth=2
	v_ffbh_u32_e32 v15, v8
	v_min_u32_e32 v15, 32, v15
	v_and_b32_e32 v2, 0xff, v6
	v_mov_b32_e32 v7, v28
	v_subrev_u32_e32 v22, 29, v15
	v_bfe_u32 v2, v2, 2, 5
	v_lshlrev_b64 v[29:30], v22, v[6:7]
	v_sub_u32_e32 v7, 30, v15
	v_cmp_eq_u32_e32 vcc, 0, v2
	v_and_b32_e32 v15, 3, v29
	v_cndmask_b32_e32 v2, v2, v7, vcc
	v_and_b32_sdwa v6, sext(v6), s51 dst_sel:DWORD dst_unused:UNUSED_PAD src0_sel:WORD_0 src1_sel:DWORD
	v_cndmask_b32_e32 v7, v8, v15, vcc
	v_lshl_add_u32 v2, v2, 23, v6
	v_lshl_or_b32 v2, v7, 21, v2
	v_add_u32_e32 v2, 0x38000000, v2
                                        ; implicit-def: $vgpr8
                                        ; implicit-def: $vgpr6
.LBB6_7788:                             ;   in Loop: Header=BB6_7336 Depth=2
	s_andn2_saveexec_b64 s[88:89], s[88:89]
; %bb.7789:                             ;   in Loop: Header=BB6_7336 Depth=2
	v_cmp_lt_i16_e32 vcc, -1, v6
	v_mov_b32_e32 v2, 0xff800000
	v_mov_b32_e32 v6, 0x7f800000
	v_cndmask_b32_e32 v2, v2, v6, vcc
	v_cmp_eq_u32_e32 vcc, 0, v8
	v_mov_b32_e32 v6, 0x7f800001
	v_cndmask_b32_e32 v2, v6, v2, vcc
; %bb.7790:                             ;   in Loop: Header=BB6_7336 Depth=2
	s_or_b64 exec, exec, s[88:89]
.LBB6_7791:                             ;   in Loop: Header=BB6_7336 Depth=2
	s_or_b64 exec, exec, s[78:79]
.LBB6_7792:                             ;   in Loop: Header=BB6_7336 Depth=2
	s_or_b64 exec, exec, s[18:19]
	v_mul_f32_e32 v2, v3, v2
	v_and_b32_e32 v6, 0x7f800000, v2
	v_mov_b32_e32 v7, v28
	v_cmp_ne_u64_e32 vcc, s[58:59], v[6:7]
	v_and_b32_e32 v27, 0x7fffff, v2
                                        ; implicit-def: $vgpr7
	s_and_saveexec_b64 s[18:19], vcc
	s_xor_b64 s[78:79], exec, s[18:19]
	s_cbranch_execz .LBB6_7810
; %bb.7793:                             ;   in Loop: Header=BB6_7336 Depth=2
	v_and_b32_e32 v6, 0x7fffffff, v2
	v_mov_b32_e32 v7, v28
	v_cmp_gt_u64_e32 vcc, s[60:61], v[6:7]
	v_and_b32_sdwa v8, v2, s52 dst_sel:DWORD dst_unused:UNUSED_PAD src0_sel:BYTE_3 src1_sel:DWORD
                                        ; implicit-def: $vgpr7
	s_and_saveexec_b64 s[18:19], vcc
	s_xor_b64 s[88:89], exec, s[18:19]
	s_cbranch_execz .LBB6_7807
; %bb.7794:                             ;   in Loop: Header=BB6_7336 Depth=2
	v_cmp_ne_u32_e32 vcc, 0, v2
	v_mov_b32_e32 v7, 0
	s_and_saveexec_b64 s[90:91], vcc
	s_cbranch_execz .LBB6_7806
; %bb.7795:                             ;   in Loop: Header=BB6_7336 Depth=2
	v_bfe_u32 v15, v2, 23, 8
	v_cmp_gt_u32_e64 s[18:19], s53, v15
	v_sub_u32_e32 v2, 0x71, v15
	v_cmp_eq_u32_e32 vcc, 0, v15
	v_cndmask_b32_e64 v2, 0, v2, s[18:19]
	v_mov_b32_e32 v6, 0x70
	v_cndmask_b32_e32 v22, v2, v6, vcc
	v_add_u32_e32 v6, 21, v22
	v_or_b32_e32 v3, 0x800000, v27
	v_lshlrev_b64 v[6:7], v6, -1
	v_cndmask_b32_e32 v2, v3, v27, vcc
	v_mov_b32_e32 v3, v28
	v_add_u32_e32 v24, 20, v22
	v_bfi_b32 v6, v6, 0, v2
	v_lshlrev_b64 v[29:30], v24, 1
	v_lshrrev_b64 v[2:3], v22, v[2:3]
	v_bfi_b32 v7, v7, 0, 0
	v_cmp_eq_u64_e64 s[18:19], v[6:7], v[29:30]
	v_mov_b32_e32 v7, v3
	v_mov_b32_e32 v6, v2
	s_and_saveexec_b64 s[92:93], s[18:19]
; %bb.7796:                             ;   in Loop: Header=BB6_7336 Depth=2
	v_bfe_u32 v3, v2, 21, 1
	v_add_co_u32_e64 v3, s[18:19], v2, v3
	v_add_co_u32_e64 v6, s[18:19], -1, v3
; %bb.7797:                             ;   in Loop: Header=BB6_7336 Depth=2
	s_or_b64 exec, exec, s[92:93]
	v_add_u32_e32 v3, 0xffffff81, v15
	v_mov_b32_e32 v7, 0xffffff82
	v_cndmask_b32_e32 v3, v3, v7, vcc
	v_lshrrev_b32_e32 v7, 23, v2
	v_add3_u32 v15, v22, v3, v7
	v_add_u32_e32 v7, 14, v15
	v_and_b32_e32 v3, 0x1fffff, v6
	v_add_u32_e32 v27, v3, v2
	v_cmp_ne_u32_e32 vcc, 0, v7
                                        ; implicit-def: $vgpr2_vgpr3
                                        ; implicit-def: $vgpr6
	s_and_saveexec_b64 s[18:19], vcc
	s_xor_b64 s[18:19], exec, s[18:19]
; %bb.7798:                             ;   in Loop: Header=BB6_7336 Depth=2
	v_cmp_lt_u64_e32 vcc, s[62:63], v[27:28]
	v_add_u32_e32 v2, 15, v15
	v_cndmask_b32_e32 v6, v7, v2, vcc
	v_cndmask_b32_e64 v2, 0, 1, vcc
	v_lshrrev_b64 v[2:3], v2, v[27:28]
; %bb.7799:                             ;   in Loop: Header=BB6_7336 Depth=2
	s_andn2_saveexec_b64 s[18:19], s[18:19]
; %bb.7800:                             ;   in Loop: Header=BB6_7336 Depth=2
	v_mov_b32_e32 v2, v27
	v_mov_b32_e32 v3, v28
	v_bfe_u32 v6, v27, 23, 1
; %bb.7801:                             ;   in Loop: Header=BB6_7336 Depth=2
	s_or_b64 exec, exec, s[18:19]
	v_lshrrev_b64 v[2:3], 21, v[2:3]
	v_cmp_gt_i32_e32 vcc, 32, v6
	v_cndmask_b32_e32 v3, 0, v3, vcc
	v_cndmask_b32_e32 v2, 3, v2, vcc
	v_cmp_ne_u64_e32 vcc, 0, v[2:3]
	v_cmp_ne_u32_e64 s[18:19], 0, v6
	s_or_b64 s[18:19], s[18:19], vcc
                                        ; implicit-def: $vgpr7
	s_and_saveexec_b64 s[92:93], s[18:19]
	s_xor_b64 s[18:19], exec, s[92:93]
; %bb.7802:                             ;   in Loop: Header=BB6_7336 Depth=2
	v_min_i32_e32 v3, 31, v6
	v_lshl_or_b32 v3, v3, 2, v8
	v_and_or_b32 v7, v2, 3, v3
                                        ; implicit-def: $vgpr8
; %bb.7803:                             ;   in Loop: Header=BB6_7336 Depth=2
	s_andn2_saveexec_b64 s[18:19], s[18:19]
; %bb.7804:                             ;   in Loop: Header=BB6_7336 Depth=2
	v_mov_b32_e32 v7, v8
; %bb.7805:                             ;   in Loop: Header=BB6_7336 Depth=2
	s_or_b64 exec, exec, s[18:19]
.LBB6_7806:                             ;   in Loop: Header=BB6_7336 Depth=2
	s_or_b64 exec, exec, s[90:91]
                                        ; implicit-def: $vgpr8
.LBB6_7807:                             ;   in Loop: Header=BB6_7336 Depth=2
	s_andn2_saveexec_b64 s[18:19], s[88:89]
; %bb.7808:                             ;   in Loop: Header=BB6_7336 Depth=2
	v_or_b32_e32 v7, 0x7b, v8
; %bb.7809:                             ;   in Loop: Header=BB6_7336 Depth=2
	s_or_b64 exec, exec, s[18:19]
                                        ; implicit-def: $vgpr2
.LBB6_7810:                             ;   in Loop: Header=BB6_7336 Depth=2
	s_andn2_saveexec_b64 s[18:19], s[78:79]
	s_cbranch_execz .LBB6_7816
; %bb.7811:                             ;   in Loop: Header=BB6_7336 Depth=2
	v_cmp_ne_u64_e32 vcc, 0, v[27:28]
                                        ; implicit-def: $vgpr7
	s_and_saveexec_b64 s[78:79], vcc
	s_xor_b64 s[78:79], exec, s[78:79]
; %bb.7812:                             ;   in Loop: Header=BB6_7336 Depth=2
	v_or_b32_sdwa v7, v2, s54 dst_sel:DWORD dst_unused:UNUSED_PAD src0_sel:BYTE_3 src1_sel:DWORD
                                        ; implicit-def: $vgpr2
; %bb.7813:                             ;   in Loop: Header=BB6_7336 Depth=2
	s_andn2_saveexec_b64 s[78:79], s[78:79]
; %bb.7814:                             ;   in Loop: Header=BB6_7336 Depth=2
	v_cmp_lt_i32_e32 vcc, -1, v2
	v_mov_b32_e32 v2, 0x7c
	v_cndmask_b32_e32 v7, -4, v2, vcc
; %bb.7815:                             ;   in Loop: Header=BB6_7336 Depth=2
	s_or_b64 exec, exec, s[78:79]
.LBB6_7816:                             ;   in Loop: Header=BB6_7336 Depth=2
	s_or_b64 exec, exec, s[18:19]
	v_cmp_ne_u16_e32 vcc, 0, v5
	v_mov_b32_e32 v2, 0
	v_mov_b32_e32 v3, 0
	s_and_saveexec_b64 s[18:19], vcc
	s_cbranch_execz .LBB6_7824
; %bb.7817:                             ;   in Loop: Header=BB6_7336 Depth=2
	v_cmp_ne_u16_e32 vcc, s49, v5
	v_bfrev_b32_e32 v3, 1
	s_and_saveexec_b64 s[78:79], vcc
	s_cbranch_execz .LBB6_7823
; %bb.7818:                             ;   in Loop: Header=BB6_7336 Depth=2
	v_and_b32_e32 v3, 0x7c, v5
	v_and_b32_e32 v8, 3, v5
	v_cmp_ne_u32_e32 vcc, s50, v3
                                        ; implicit-def: $vgpr3
	s_and_saveexec_b64 s[88:89], vcc
	s_xor_b64 s[88:89], exec, s[88:89]
	s_cbranch_execz .LBB6_7820
; %bb.7819:                             ;   in Loop: Header=BB6_7336 Depth=2
	v_ffbh_u32_e32 v15, v8
	v_min_u32_e32 v15, 32, v15
	v_and_b32_e32 v3, 0xff, v5
	v_mov_b32_e32 v6, v28
	v_subrev_u32_e32 v22, 29, v15
	v_bfe_u32 v3, v3, 2, 5
	v_lshlrev_b64 v[29:30], v22, v[5:6]
	v_sub_u32_e32 v6, 30, v15
	v_cmp_eq_u32_e32 vcc, 0, v3
	v_and_b32_e32 v15, 3, v29
	v_cndmask_b32_e32 v3, v3, v6, vcc
	v_and_b32_sdwa v5, sext(v5), s51 dst_sel:DWORD dst_unused:UNUSED_PAD src0_sel:WORD_0 src1_sel:DWORD
	v_cndmask_b32_e32 v6, v8, v15, vcc
	v_lshl_add_u32 v3, v3, 23, v5
	v_lshl_or_b32 v3, v6, 21, v3
	v_add_u32_e32 v3, 0x38000000, v3
                                        ; implicit-def: $vgpr8
                                        ; implicit-def: $vgpr5
.LBB6_7820:                             ;   in Loop: Header=BB6_7336 Depth=2
	s_andn2_saveexec_b64 s[88:89], s[88:89]
; %bb.7821:                             ;   in Loop: Header=BB6_7336 Depth=2
	v_cmp_lt_i16_e32 vcc, -1, v5
	v_mov_b32_e32 v3, 0xff800000
	v_mov_b32_e32 v5, 0x7f800000
	v_cndmask_b32_e32 v3, v3, v5, vcc
	v_cmp_eq_u32_e32 vcc, 0, v8
	v_mov_b32_e32 v5, 0x7f800001
	v_cndmask_b32_e32 v3, v5, v3, vcc
; %bb.7822:                             ;   in Loop: Header=BB6_7336 Depth=2
	s_or_b64 exec, exec, s[88:89]
.LBB6_7823:                             ;   in Loop: Header=BB6_7336 Depth=2
	s_or_b64 exec, exec, s[78:79]
.LBB6_7824:                             ;   in Loop: Header=BB6_7336 Depth=2
	s_or_b64 exec, exec, s[18:19]
	v_cmp_ne_u16_e32 vcc, 0, v44
	s_and_saveexec_b64 s[18:19], vcc
	s_cbranch_execz .LBB6_7832
; %bb.7825:                             ;   in Loop: Header=BB6_7336 Depth=2
	v_cmp_ne_u16_e32 vcc, s49, v44
	v_bfrev_b32_e32 v2, 1
	s_and_saveexec_b64 s[78:79], vcc
	s_cbranch_execz .LBB6_7831
; %bb.7826:                             ;   in Loop: Header=BB6_7336 Depth=2
	v_and_b32_e32 v2, 0x7c, v44
	v_and_b32_e32 v5, 3, v44
	v_cmp_ne_u32_e32 vcc, s50, v2
                                        ; implicit-def: $vgpr2
	s_and_saveexec_b64 s[88:89], vcc
	s_xor_b64 s[88:89], exec, s[88:89]
	s_cbranch_execz .LBB6_7828
; %bb.7827:                             ;   in Loop: Header=BB6_7336 Depth=2
	v_ffbh_u32_e32 v6, v5
	v_min_u32_e32 v6, 32, v6
	v_and_b32_e32 v2, 0xff, v44
	v_mov_b32_e32 v45, v28
	v_subrev_u32_e32 v8, 29, v6
	v_bfe_u32 v2, v2, 2, 5
	v_lshlrev_b64 v[29:30], v8, v[44:45]
	v_sub_u32_e32 v6, 30, v6
	v_cmp_eq_u32_e32 vcc, 0, v2
	v_and_b32_e32 v8, 3, v29
	v_cndmask_b32_e32 v2, v2, v6, vcc
	v_and_b32_sdwa v6, sext(v44), s51 dst_sel:DWORD dst_unused:UNUSED_PAD src0_sel:WORD_0 src1_sel:DWORD
	v_cndmask_b32_e32 v5, v5, v8, vcc
	v_lshl_add_u32 v2, v2, 23, v6
	v_lshl_or_b32 v2, v5, 21, v2
	v_add_u32_e32 v2, 0x38000000, v2
                                        ; implicit-def: $vgpr5
                                        ; implicit-def: $vgpr44
.LBB6_7828:                             ;   in Loop: Header=BB6_7336 Depth=2
	s_andn2_saveexec_b64 s[88:89], s[88:89]
; %bb.7829:                             ;   in Loop: Header=BB6_7336 Depth=2
	v_cmp_lt_i16_e32 vcc, -1, v44
	v_mov_b32_e32 v2, 0xff800000
	v_mov_b32_e32 v6, 0x7f800000
	v_cndmask_b32_e32 v2, v2, v6, vcc
	v_cmp_eq_u32_e32 vcc, 0, v5
	v_mov_b32_e32 v5, 0x7f800001
	v_cndmask_b32_e32 v2, v5, v2, vcc
; %bb.7830:                             ;   in Loop: Header=BB6_7336 Depth=2
	s_or_b64 exec, exec, s[88:89]
.LBB6_7831:                             ;   in Loop: Header=BB6_7336 Depth=2
	s_or_b64 exec, exec, s[78:79]
.LBB6_7832:                             ;   in Loop: Header=BB6_7336 Depth=2
	s_or_b64 exec, exec, s[18:19]
	v_mul_f32_e32 v2, v3, v2
	v_and_b32_e32 v5, 0x7f800000, v2
	v_mov_b32_e32 v6, v28
	v_cmp_ne_u64_e32 vcc, s[58:59], v[5:6]
	v_and_b32_e32 v27, 0x7fffff, v2
                                        ; implicit-def: $vgpr6
	s_and_saveexec_b64 s[18:19], vcc
	s_xor_b64 s[78:79], exec, s[18:19]
	s_cbranch_execz .LBB6_7850
; %bb.7833:                             ;   in Loop: Header=BB6_7336 Depth=2
	v_and_b32_e32 v5, 0x7fffffff, v2
	v_mov_b32_e32 v6, v28
	v_cmp_gt_u64_e32 vcc, s[60:61], v[5:6]
	v_and_b32_sdwa v8, v2, s52 dst_sel:DWORD dst_unused:UNUSED_PAD src0_sel:BYTE_3 src1_sel:DWORD
                                        ; implicit-def: $vgpr6
	s_and_saveexec_b64 s[18:19], vcc
	s_xor_b64 s[88:89], exec, s[18:19]
	s_cbranch_execz .LBB6_7847
; %bb.7834:                             ;   in Loop: Header=BB6_7336 Depth=2
	v_cmp_ne_u32_e32 vcc, 0, v2
	v_mov_b32_e32 v6, 0
	s_and_saveexec_b64 s[90:91], vcc
	s_cbranch_execz .LBB6_7846
; %bb.7835:                             ;   in Loop: Header=BB6_7336 Depth=2
	v_bfe_u32 v15, v2, 23, 8
	v_cmp_gt_u32_e64 s[18:19], s53, v15
	v_sub_u32_e32 v2, 0x71, v15
	v_cmp_eq_u32_e32 vcc, 0, v15
	v_cndmask_b32_e64 v2, 0, v2, s[18:19]
	v_mov_b32_e32 v5, 0x70
	v_cndmask_b32_e32 v22, v2, v5, vcc
	v_add_u32_e32 v5, 21, v22
	v_or_b32_e32 v3, 0x800000, v27
	v_lshlrev_b64 v[5:6], v5, -1
	v_cndmask_b32_e32 v2, v3, v27, vcc
	v_mov_b32_e32 v3, v28
	v_add_u32_e32 v24, 20, v22
	v_bfi_b32 v5, v5, 0, v2
	v_lshlrev_b64 v[29:30], v24, 1
	v_lshrrev_b64 v[2:3], v22, v[2:3]
	v_bfi_b32 v6, v6, 0, 0
	v_cmp_eq_u64_e64 s[18:19], v[5:6], v[29:30]
	v_mov_b32_e32 v6, v3
	v_mov_b32_e32 v5, v2
	s_and_saveexec_b64 s[92:93], s[18:19]
; %bb.7836:                             ;   in Loop: Header=BB6_7336 Depth=2
	v_bfe_u32 v3, v2, 21, 1
	v_add_co_u32_e64 v3, s[18:19], v2, v3
	v_add_co_u32_e64 v5, s[18:19], -1, v3
; %bb.7837:                             ;   in Loop: Header=BB6_7336 Depth=2
	s_or_b64 exec, exec, s[92:93]
	v_add_u32_e32 v3, 0xffffff81, v15
	v_mov_b32_e32 v6, 0xffffff82
	v_cndmask_b32_e32 v3, v3, v6, vcc
	v_lshrrev_b32_e32 v6, 23, v2
	v_add3_u32 v15, v22, v3, v6
	v_add_u32_e32 v6, 14, v15
	v_and_b32_e32 v3, 0x1fffff, v5
	v_add_u32_e32 v27, v3, v2
	v_cmp_ne_u32_e32 vcc, 0, v6
                                        ; implicit-def: $vgpr2_vgpr3
                                        ; implicit-def: $vgpr5
	s_and_saveexec_b64 s[18:19], vcc
	s_xor_b64 s[18:19], exec, s[18:19]
; %bb.7838:                             ;   in Loop: Header=BB6_7336 Depth=2
	v_cmp_lt_u64_e32 vcc, s[62:63], v[27:28]
	v_add_u32_e32 v2, 15, v15
	v_cndmask_b32_e32 v5, v6, v2, vcc
	v_cndmask_b32_e64 v2, 0, 1, vcc
	v_lshrrev_b64 v[2:3], v2, v[27:28]
; %bb.7839:                             ;   in Loop: Header=BB6_7336 Depth=2
	s_andn2_saveexec_b64 s[18:19], s[18:19]
; %bb.7840:                             ;   in Loop: Header=BB6_7336 Depth=2
	v_mov_b32_e32 v2, v27
	v_mov_b32_e32 v3, v28
	v_bfe_u32 v5, v27, 23, 1
; %bb.7841:                             ;   in Loop: Header=BB6_7336 Depth=2
	s_or_b64 exec, exec, s[18:19]
	v_lshrrev_b64 v[2:3], 21, v[2:3]
	v_cmp_gt_i32_e32 vcc, 32, v5
	v_cndmask_b32_e32 v3, 0, v3, vcc
	v_cndmask_b32_e32 v2, 3, v2, vcc
	v_cmp_ne_u64_e32 vcc, 0, v[2:3]
	v_cmp_ne_u32_e64 s[18:19], 0, v5
	s_or_b64 s[18:19], s[18:19], vcc
                                        ; implicit-def: $vgpr6
	s_and_saveexec_b64 s[92:93], s[18:19]
	s_xor_b64 s[18:19], exec, s[92:93]
; %bb.7842:                             ;   in Loop: Header=BB6_7336 Depth=2
	v_min_i32_e32 v3, 31, v5
	v_lshl_or_b32 v3, v3, 2, v8
	v_and_or_b32 v6, v2, 3, v3
                                        ; implicit-def: $vgpr8
; %bb.7843:                             ;   in Loop: Header=BB6_7336 Depth=2
	s_andn2_saveexec_b64 s[18:19], s[18:19]
; %bb.7844:                             ;   in Loop: Header=BB6_7336 Depth=2
	v_mov_b32_e32 v6, v8
; %bb.7845:                             ;   in Loop: Header=BB6_7336 Depth=2
	s_or_b64 exec, exec, s[18:19]
.LBB6_7846:                             ;   in Loop: Header=BB6_7336 Depth=2
	s_or_b64 exec, exec, s[90:91]
                                        ; implicit-def: $vgpr8
.LBB6_7847:                             ;   in Loop: Header=BB6_7336 Depth=2
	s_andn2_saveexec_b64 s[18:19], s[88:89]
; %bb.7848:                             ;   in Loop: Header=BB6_7336 Depth=2
	v_or_b32_e32 v6, 0x7b, v8
; %bb.7849:                             ;   in Loop: Header=BB6_7336 Depth=2
	s_or_b64 exec, exec, s[18:19]
                                        ; implicit-def: $vgpr2
.LBB6_7850:                             ;   in Loop: Header=BB6_7336 Depth=2
	s_andn2_saveexec_b64 s[18:19], s[78:79]
	s_cbranch_execz .LBB6_7856
; %bb.7851:                             ;   in Loop: Header=BB6_7336 Depth=2
	v_cmp_ne_u64_e32 vcc, 0, v[27:28]
                                        ; implicit-def: $vgpr6
	s_and_saveexec_b64 s[78:79], vcc
	s_xor_b64 s[78:79], exec, s[78:79]
; %bb.7852:                             ;   in Loop: Header=BB6_7336 Depth=2
	v_or_b32_sdwa v6, v2, s54 dst_sel:DWORD dst_unused:UNUSED_PAD src0_sel:BYTE_3 src1_sel:DWORD
                                        ; implicit-def: $vgpr2
; %bb.7853:                             ;   in Loop: Header=BB6_7336 Depth=2
	s_andn2_saveexec_b64 s[78:79], s[78:79]
; %bb.7854:                             ;   in Loop: Header=BB6_7336 Depth=2
	v_cmp_lt_i32_e32 vcc, -1, v2
	v_mov_b32_e32 v2, 0x7c
	v_cndmask_b32_e32 v6, -4, v2, vcc
; %bb.7855:                             ;   in Loop: Header=BB6_7336 Depth=2
	s_or_b64 exec, exec, s[78:79]
.LBB6_7856:                             ;   in Loop: Header=BB6_7336 Depth=2
	s_or_b64 exec, exec, s[18:19]
	v_cmp_ne_u16_e32 vcc, 0, v43
	v_mov_b32_e32 v2, 0
	v_mov_b32_e32 v3, 0
	s_and_saveexec_b64 s[18:19], vcc
	s_cbranch_execz .LBB6_7864
; %bb.7857:                             ;   in Loop: Header=BB6_7336 Depth=2
	v_cmp_ne_u16_e32 vcc, s49, v43
	v_bfrev_b32_e32 v3, 1
	s_and_saveexec_b64 s[78:79], vcc
	s_cbranch_execz .LBB6_7863
; %bb.7858:                             ;   in Loop: Header=BB6_7336 Depth=2
	v_and_b32_e32 v3, 0x7c, v43
	v_and_b32_e32 v5, 3, v43
	v_cmp_ne_u32_e32 vcc, s50, v3
                                        ; implicit-def: $vgpr3
	s_and_saveexec_b64 s[88:89], vcc
	s_xor_b64 s[88:89], exec, s[88:89]
	s_cbranch_execz .LBB6_7860
; %bb.7859:                             ;   in Loop: Header=BB6_7336 Depth=2
	v_ffbh_u32_e32 v8, v5
	v_min_u32_e32 v8, 32, v8
	v_and_b32_e32 v3, 0xff, v43
	v_mov_b32_e32 v44, v28
	v_subrev_u32_e32 v15, 29, v8
	v_bfe_u32 v3, v3, 2, 5
	v_lshlrev_b64 v[29:30], v15, v[43:44]
	v_sub_u32_e32 v8, 30, v8
	v_cmp_eq_u32_e32 vcc, 0, v3
	v_and_b32_e32 v15, 3, v29
	v_cndmask_b32_e32 v3, v3, v8, vcc
	v_and_b32_sdwa v8, sext(v43), s51 dst_sel:DWORD dst_unused:UNUSED_PAD src0_sel:WORD_0 src1_sel:DWORD
	v_cndmask_b32_e32 v5, v5, v15, vcc
	v_lshl_add_u32 v3, v3, 23, v8
	v_lshl_or_b32 v3, v5, 21, v3
	v_add_u32_e32 v3, 0x38000000, v3
                                        ; implicit-def: $vgpr5
                                        ; implicit-def: $vgpr43
.LBB6_7860:                             ;   in Loop: Header=BB6_7336 Depth=2
	s_andn2_saveexec_b64 s[88:89], s[88:89]
; %bb.7861:                             ;   in Loop: Header=BB6_7336 Depth=2
	v_cmp_lt_i16_e32 vcc, -1, v43
	v_mov_b32_e32 v3, 0xff800000
	v_mov_b32_e32 v8, 0x7f800000
	v_cndmask_b32_e32 v3, v3, v8, vcc
	v_cmp_eq_u32_e32 vcc, 0, v5
	v_mov_b32_e32 v5, 0x7f800001
	v_cndmask_b32_e32 v3, v5, v3, vcc
; %bb.7862:                             ;   in Loop: Header=BB6_7336 Depth=2
	s_or_b64 exec, exec, s[88:89]
.LBB6_7863:                             ;   in Loop: Header=BB6_7336 Depth=2
	s_or_b64 exec, exec, s[78:79]
.LBB6_7864:                             ;   in Loop: Header=BB6_7336 Depth=2
	s_or_b64 exec, exec, s[18:19]
	v_cmp_ne_u16_e32 vcc, 0, v4
	s_and_saveexec_b64 s[18:19], vcc
	s_cbranch_execz .LBB6_7872
; %bb.7865:                             ;   in Loop: Header=BB6_7336 Depth=2
	v_cmp_ne_u16_e32 vcc, s49, v4
	v_bfrev_b32_e32 v2, 1
	s_and_saveexec_b64 s[78:79], vcc
	s_cbranch_execz .LBB6_7871
; %bb.7866:                             ;   in Loop: Header=BB6_7336 Depth=2
	v_and_b32_e32 v2, 0x7c, v4
	v_and_b32_e32 v8, 3, v4
	v_cmp_ne_u32_e32 vcc, s50, v2
                                        ; implicit-def: $vgpr2
	s_and_saveexec_b64 s[88:89], vcc
	s_xor_b64 s[88:89], exec, s[88:89]
	s_cbranch_execz .LBB6_7868
; %bb.7867:                             ;   in Loop: Header=BB6_7336 Depth=2
	v_ffbh_u32_e32 v15, v8
	v_min_u32_e32 v15, 32, v15
	v_and_b32_e32 v2, 0xff, v4
	v_mov_b32_e32 v5, v28
	v_subrev_u32_e32 v22, 29, v15
	v_bfe_u32 v2, v2, 2, 5
	v_lshlrev_b64 v[29:30], v22, v[4:5]
	v_sub_u32_e32 v5, 30, v15
	v_cmp_eq_u32_e32 vcc, 0, v2
	v_and_b32_e32 v15, 3, v29
	v_cndmask_b32_e32 v2, v2, v5, vcc
	v_and_b32_sdwa v4, sext(v4), s51 dst_sel:DWORD dst_unused:UNUSED_PAD src0_sel:WORD_0 src1_sel:DWORD
	v_cndmask_b32_e32 v5, v8, v15, vcc
	v_lshl_add_u32 v2, v2, 23, v4
	v_lshl_or_b32 v2, v5, 21, v2
	v_add_u32_e32 v2, 0x38000000, v2
                                        ; implicit-def: $vgpr8
                                        ; implicit-def: $vgpr4
.LBB6_7868:                             ;   in Loop: Header=BB6_7336 Depth=2
	s_andn2_saveexec_b64 s[88:89], s[88:89]
; %bb.7869:                             ;   in Loop: Header=BB6_7336 Depth=2
	v_cmp_lt_i16_e32 vcc, -1, v4
	v_mov_b32_e32 v2, 0xff800000
	v_mov_b32_e32 v4, 0x7f800000
	v_cndmask_b32_e32 v2, v2, v4, vcc
	v_cmp_eq_u32_e32 vcc, 0, v8
	v_mov_b32_e32 v4, 0x7f800001
	v_cndmask_b32_e32 v2, v4, v2, vcc
; %bb.7870:                             ;   in Loop: Header=BB6_7336 Depth=2
	s_or_b64 exec, exec, s[88:89]
.LBB6_7871:                             ;   in Loop: Header=BB6_7336 Depth=2
	s_or_b64 exec, exec, s[78:79]
.LBB6_7872:                             ;   in Loop: Header=BB6_7336 Depth=2
	s_or_b64 exec, exec, s[18:19]
	v_mul_f32_e32 v2, v3, v2
	v_and_b32_e32 v3, 0x7f800000, v2
	v_mov_b32_e32 v4, v28
	v_cmp_ne_u64_e32 vcc, s[58:59], v[3:4]
	v_and_b32_e32 v27, 0x7fffff, v2
                                        ; implicit-def: $vgpr5
	s_and_saveexec_b64 s[18:19], vcc
	s_xor_b64 s[78:79], exec, s[18:19]
	s_cbranch_execz .LBB6_7890
; %bb.7873:                             ;   in Loop: Header=BB6_7336 Depth=2
	v_and_b32_e32 v3, 0x7fffffff, v2
	v_mov_b32_e32 v4, v28
	v_cmp_gt_u64_e32 vcc, s[60:61], v[3:4]
	v_and_b32_sdwa v8, v2, s52 dst_sel:DWORD dst_unused:UNUSED_PAD src0_sel:BYTE_3 src1_sel:DWORD
                                        ; implicit-def: $vgpr5
	s_and_saveexec_b64 s[18:19], vcc
	s_xor_b64 s[88:89], exec, s[18:19]
	s_cbranch_execz .LBB6_7887
; %bb.7874:                             ;   in Loop: Header=BB6_7336 Depth=2
	v_cmp_ne_u32_e32 vcc, 0, v2
	v_mov_b32_e32 v5, 0
	s_and_saveexec_b64 s[90:91], vcc
	s_cbranch_execz .LBB6_7886
; %bb.7875:                             ;   in Loop: Header=BB6_7336 Depth=2
	v_bfe_u32 v5, v2, 23, 8
	v_cmp_gt_u32_e64 s[18:19], s53, v5
	v_sub_u32_e32 v2, 0x71, v5
	v_cmp_eq_u32_e32 vcc, 0, v5
	v_cndmask_b32_e64 v2, 0, v2, s[18:19]
	v_mov_b32_e32 v4, 0x70
	v_cndmask_b32_e32 v15, v2, v4, vcc
	v_add_u32_e32 v4, 21, v15
	v_or_b32_e32 v3, 0x800000, v27
	v_lshlrev_b64 v[29:30], v4, -1
	v_cndmask_b32_e32 v2, v3, v27, vcc
	v_mov_b32_e32 v3, v28
	v_add_u32_e32 v4, 20, v15
	v_bfi_b32 v29, v29, 0, v2
	s_waitcnt vmcnt(0)
	v_lshlrev_b64 v[32:33], v4, 1
	v_lshrrev_b64 v[2:3], v15, v[2:3]
	v_bfi_b32 v30, v30, 0, 0
	v_cmp_eq_u64_e64 s[18:19], v[29:30], v[32:33]
	v_mov_b32_e32 v4, v3
	v_mov_b32_e32 v3, v2
	s_and_saveexec_b64 s[92:93], s[18:19]
; %bb.7876:                             ;   in Loop: Header=BB6_7336 Depth=2
	v_bfe_u32 v3, v2, 21, 1
	v_add_co_u32_e64 v3, s[18:19], v2, v3
	v_add_co_u32_e64 v3, s[18:19], -1, v3
; %bb.7877:                             ;   in Loop: Header=BB6_7336 Depth=2
	s_or_b64 exec, exec, s[92:93]
	v_add_u32_e32 v4, 0xffffff81, v5
	v_mov_b32_e32 v5, 0xffffff82
	v_cndmask_b32_e32 v4, v4, v5, vcc
	v_lshrrev_b32_e32 v5, 23, v2
	v_add3_u32 v15, v15, v4, v5
	v_add_u32_e32 v5, 14, v15
	v_and_b32_e32 v3, 0x1fffff, v3
	v_add_u32_e32 v27, v3, v2
	v_cmp_ne_u32_e32 vcc, 0, v5
                                        ; implicit-def: $vgpr2_vgpr3
                                        ; implicit-def: $vgpr4
	s_and_saveexec_b64 s[18:19], vcc
	s_xor_b64 s[18:19], exec, s[18:19]
; %bb.7878:                             ;   in Loop: Header=BB6_7336 Depth=2
	v_cmp_lt_u64_e32 vcc, s[62:63], v[27:28]
	v_add_u32_e32 v2, 15, v15
	v_cndmask_b32_e32 v4, v5, v2, vcc
	v_cndmask_b32_e64 v2, 0, 1, vcc
	v_lshrrev_b64 v[2:3], v2, v[27:28]
; %bb.7879:                             ;   in Loop: Header=BB6_7336 Depth=2
	s_or_saveexec_b64 s[18:19], s[18:19]
	buffer_load_dword v32, off, s[0:3], s33 offset:76 ; 4-byte Folded Reload
	buffer_load_dword v33, off, s[0:3], s33 offset:80 ; 4-byte Folded Reload
	s_xor_b64 exec, exec, s[18:19]
; %bb.7880:                             ;   in Loop: Header=BB6_7336 Depth=2
	v_mov_b32_e32 v2, v27
	v_mov_b32_e32 v3, v28
	v_bfe_u32 v4, v27, 23, 1
; %bb.7881:                             ;   in Loop: Header=BB6_7336 Depth=2
	s_or_b64 exec, exec, s[18:19]
	v_lshrrev_b64 v[2:3], 21, v[2:3]
	v_cmp_gt_i32_e32 vcc, 32, v4
	v_cndmask_b32_e32 v3, 0, v3, vcc
	v_cndmask_b32_e32 v2, 3, v2, vcc
	v_cmp_ne_u64_e32 vcc, 0, v[2:3]
	v_cmp_ne_u32_e64 s[18:19], 0, v4
	s_or_b64 s[18:19], s[18:19], vcc
                                        ; implicit-def: $vgpr5
	s_and_saveexec_b64 s[92:93], s[18:19]
	s_xor_b64 s[18:19], exec, s[92:93]
; %bb.7882:                             ;   in Loop: Header=BB6_7336 Depth=2
	v_min_i32_e32 v3, 31, v4
	v_lshl_or_b32 v3, v3, 2, v8
	v_and_or_b32 v5, v2, 3, v3
                                        ; implicit-def: $vgpr8
; %bb.7883:                             ;   in Loop: Header=BB6_7336 Depth=2
	s_andn2_saveexec_b64 s[18:19], s[18:19]
; %bb.7884:                             ;   in Loop: Header=BB6_7336 Depth=2
	v_mov_b32_e32 v5, v8
; %bb.7885:                             ;   in Loop: Header=BB6_7336 Depth=2
	s_or_b64 exec, exec, s[18:19]
.LBB6_7886:                             ;   in Loop: Header=BB6_7336 Depth=2
	s_or_b64 exec, exec, s[90:91]
                                        ; implicit-def: $vgpr8
.LBB6_7887:                             ;   in Loop: Header=BB6_7336 Depth=2
	s_andn2_saveexec_b64 s[18:19], s[88:89]
; %bb.7888:                             ;   in Loop: Header=BB6_7336 Depth=2
	v_or_b32_e32 v5, 0x7b, v8
; %bb.7889:                             ;   in Loop: Header=BB6_7336 Depth=2
	s_or_b64 exec, exec, s[18:19]
                                        ; implicit-def: $vgpr2
.LBB6_7890:                             ;   in Loop: Header=BB6_7336 Depth=2
	s_andn2_saveexec_b64 s[18:19], s[78:79]
	s_cbranch_execz .LBB6_7896
; %bb.7891:                             ;   in Loop: Header=BB6_7336 Depth=2
	v_cmp_ne_u64_e32 vcc, 0, v[27:28]
                                        ; implicit-def: $vgpr5
	s_and_saveexec_b64 s[78:79], vcc
	s_xor_b64 s[78:79], exec, s[78:79]
; %bb.7892:                             ;   in Loop: Header=BB6_7336 Depth=2
	v_or_b32_sdwa v5, v2, s54 dst_sel:DWORD dst_unused:UNUSED_PAD src0_sel:BYTE_3 src1_sel:DWORD
                                        ; implicit-def: $vgpr2
; %bb.7893:                             ;   in Loop: Header=BB6_7336 Depth=2
	s_andn2_saveexec_b64 s[78:79], s[78:79]
; %bb.7894:                             ;   in Loop: Header=BB6_7336 Depth=2
	v_cmp_lt_i32_e32 vcc, -1, v2
	v_mov_b32_e32 v2, 0x7c
	v_cndmask_b32_e32 v5, -4, v2, vcc
; %bb.7895:                             ;   in Loop: Header=BB6_7336 Depth=2
	s_or_b64 exec, exec, s[78:79]
.LBB6_7896:                             ;   in Loop: Header=BB6_7336 Depth=2
	s_or_b64 exec, exec, s[18:19]
	v_cmp_ne_u16_e32 vcc, 0, v56
	v_mov_b32_e32 v2, 0
	v_mov_b32_e32 v3, 0
	s_and_saveexec_b64 s[18:19], vcc
	s_cbranch_execz .LBB6_7904
; %bb.7897:                             ;   in Loop: Header=BB6_7336 Depth=2
	v_cmp_ne_u16_e32 vcc, s49, v56
	v_bfrev_b32_e32 v3, 1
	s_and_saveexec_b64 s[78:79], vcc
	s_cbranch_execz .LBB6_7903
; %bb.7898:                             ;   in Loop: Header=BB6_7336 Depth=2
	v_and_b32_e32 v3, 0x7c, v56
	v_and_b32_e32 v4, 3, v56
	v_cmp_ne_u32_e32 vcc, s50, v3
                                        ; implicit-def: $vgpr3
	s_and_saveexec_b64 s[88:89], vcc
	s_xor_b64 s[88:89], exec, s[88:89]
	s_cbranch_execz .LBB6_7900
; %bb.7899:                             ;   in Loop: Header=BB6_7336 Depth=2
	v_ffbh_u32_e32 v8, v4
	v_min_u32_e32 v8, 32, v8
	v_and_b32_e32 v3, 0xff, v56
	v_mov_b32_e32 v57, v28
	v_subrev_u32_e32 v15, 29, v8
	v_bfe_u32 v3, v3, 2, 5
	v_lshlrev_b64 v[29:30], v15, v[56:57]
	v_sub_u32_e32 v8, 30, v8
	v_cmp_eq_u32_e32 vcc, 0, v3
	v_and_b32_e32 v15, 3, v29
	v_cndmask_b32_e32 v3, v3, v8, vcc
	v_and_b32_sdwa v8, sext(v56), s51 dst_sel:DWORD dst_unused:UNUSED_PAD src0_sel:WORD_0 src1_sel:DWORD
	v_cndmask_b32_e32 v4, v4, v15, vcc
	v_lshl_add_u32 v3, v3, 23, v8
	v_lshl_or_b32 v3, v4, 21, v3
	v_add_u32_e32 v3, 0x38000000, v3
                                        ; implicit-def: $vgpr4
                                        ; implicit-def: $vgpr56
.LBB6_7900:                             ;   in Loop: Header=BB6_7336 Depth=2
	s_andn2_saveexec_b64 s[88:89], s[88:89]
; %bb.7901:                             ;   in Loop: Header=BB6_7336 Depth=2
	v_cmp_lt_i16_e32 vcc, -1, v56
	v_mov_b32_e32 v3, 0xff800000
	v_mov_b32_e32 v8, 0x7f800000
	v_cndmask_b32_e32 v3, v3, v8, vcc
	v_cmp_eq_u32_e32 vcc, 0, v4
	v_mov_b32_e32 v4, 0x7f800001
	v_cndmask_b32_e32 v3, v4, v3, vcc
; %bb.7902:                             ;   in Loop: Header=BB6_7336 Depth=2
	s_or_b64 exec, exec, s[88:89]
.LBB6_7903:                             ;   in Loop: Header=BB6_7336 Depth=2
	s_or_b64 exec, exec, s[78:79]
.LBB6_7904:                             ;   in Loop: Header=BB6_7336 Depth=2
	s_or_b64 exec, exec, s[18:19]
	v_cmp_ne_u16_e32 vcc, 0, v55
	s_and_saveexec_b64 s[18:19], vcc
	s_cbranch_execz .LBB6_7912
; %bb.7905:                             ;   in Loop: Header=BB6_7336 Depth=2
	v_cmp_ne_u16_e32 vcc, s49, v55
	v_bfrev_b32_e32 v2, 1
	s_and_saveexec_b64 s[78:79], vcc
	s_cbranch_execz .LBB6_7911
; %bb.7906:                             ;   in Loop: Header=BB6_7336 Depth=2
	v_and_b32_e32 v2, 0x7c, v55
	v_and_b32_e32 v4, 3, v55
	v_cmp_ne_u32_e32 vcc, s50, v2
                                        ; implicit-def: $vgpr2
	s_and_saveexec_b64 s[88:89], vcc
	s_xor_b64 s[88:89], exec, s[88:89]
	s_cbranch_execz .LBB6_7908
; %bb.7907:                             ;   in Loop: Header=BB6_7336 Depth=2
	v_ffbh_u32_e32 v8, v4
	v_min_u32_e32 v8, 32, v8
	v_and_b32_e32 v2, 0xff, v55
	v_mov_b32_e32 v56, v28
	v_subrev_u32_e32 v15, 29, v8
	v_bfe_u32 v2, v2, 2, 5
	v_lshlrev_b64 v[29:30], v15, v[55:56]
	v_sub_u32_e32 v8, 30, v8
	v_cmp_eq_u32_e32 vcc, 0, v2
	v_and_b32_e32 v15, 3, v29
	v_cndmask_b32_e32 v2, v2, v8, vcc
	v_and_b32_sdwa v8, sext(v55), s51 dst_sel:DWORD dst_unused:UNUSED_PAD src0_sel:WORD_0 src1_sel:DWORD
	v_cndmask_b32_e32 v4, v4, v15, vcc
	v_lshl_add_u32 v2, v2, 23, v8
	v_lshl_or_b32 v2, v4, 21, v2
	v_add_u32_e32 v2, 0x38000000, v2
                                        ; implicit-def: $vgpr4
                                        ; implicit-def: $vgpr55
.LBB6_7908:                             ;   in Loop: Header=BB6_7336 Depth=2
	s_andn2_saveexec_b64 s[88:89], s[88:89]
; %bb.7909:                             ;   in Loop: Header=BB6_7336 Depth=2
	v_cmp_lt_i16_e32 vcc, -1, v55
	v_mov_b32_e32 v2, 0xff800000
	v_mov_b32_e32 v8, 0x7f800000
	v_cndmask_b32_e32 v2, v2, v8, vcc
	v_cmp_eq_u32_e32 vcc, 0, v4
	v_mov_b32_e32 v4, 0x7f800001
	v_cndmask_b32_e32 v2, v4, v2, vcc
; %bb.7910:                             ;   in Loop: Header=BB6_7336 Depth=2
	s_or_b64 exec, exec, s[88:89]
.LBB6_7911:                             ;   in Loop: Header=BB6_7336 Depth=2
	s_or_b64 exec, exec, s[78:79]
.LBB6_7912:                             ;   in Loop: Header=BB6_7336 Depth=2
	s_or_b64 exec, exec, s[18:19]
	v_mul_f32_e32 v2, v3, v2
	v_and_b32_e32 v3, 0x7f800000, v2
	v_mov_b32_e32 v4, v28
	v_cmp_ne_u64_e32 vcc, s[58:59], v[3:4]
	v_and_b32_e32 v27, 0x7fffff, v2
                                        ; implicit-def: $vgpr8
	s_and_saveexec_b64 s[18:19], vcc
	s_xor_b64 s[78:79], exec, s[18:19]
	s_cbranch_execz .LBB6_7930
; %bb.7913:                             ;   in Loop: Header=BB6_7336 Depth=2
	v_and_b32_e32 v3, 0x7fffffff, v2
	v_mov_b32_e32 v4, v28
	v_cmp_gt_u64_e32 vcc, s[60:61], v[3:4]
	v_and_b32_sdwa v15, v2, s52 dst_sel:DWORD dst_unused:UNUSED_PAD src0_sel:BYTE_3 src1_sel:DWORD
                                        ; implicit-def: $vgpr8
	s_and_saveexec_b64 s[18:19], vcc
	s_xor_b64 s[88:89], exec, s[18:19]
	s_cbranch_execz .LBB6_7927
; %bb.7914:                             ;   in Loop: Header=BB6_7336 Depth=2
	v_cmp_ne_u32_e32 vcc, 0, v2
	v_mov_b32_e32 v8, 0
	s_and_saveexec_b64 s[90:91], vcc
	s_cbranch_execz .LBB6_7926
; %bb.7915:                             ;   in Loop: Header=BB6_7336 Depth=2
	v_bfe_u32 v8, v2, 23, 8
	v_cmp_gt_u32_e64 s[18:19], s53, v8
	v_sub_u32_e32 v2, 0x71, v8
	v_cmp_eq_u32_e32 vcc, 0, v8
	v_cndmask_b32_e64 v2, 0, v2, s[18:19]
	v_mov_b32_e32 v4, 0x70
	v_cndmask_b32_e32 v22, v2, v4, vcc
	v_add_u32_e32 v4, 21, v22
	v_or_b32_e32 v3, 0x800000, v27
	v_lshlrev_b64 v[29:30], v4, -1
	v_cndmask_b32_e32 v2, v3, v27, vcc
	v_mov_b32_e32 v3, v28
	v_add_u32_e32 v4, 20, v22
	v_bfi_b32 v29, v29, 0, v2
	s_waitcnt vmcnt(0)
	v_lshlrev_b64 v[32:33], v4, 1
	v_lshrrev_b64 v[2:3], v22, v[2:3]
	v_bfi_b32 v30, v30, 0, 0
	v_cmp_eq_u64_e64 s[18:19], v[29:30], v[32:33]
	v_mov_b32_e32 v4, v3
	v_mov_b32_e32 v3, v2
	s_and_saveexec_b64 s[92:93], s[18:19]
; %bb.7916:                             ;   in Loop: Header=BB6_7336 Depth=2
	v_bfe_u32 v3, v2, 21, 1
	v_add_co_u32_e64 v3, s[18:19], v2, v3
	v_add_co_u32_e64 v3, s[18:19], -1, v3
; %bb.7917:                             ;   in Loop: Header=BB6_7336 Depth=2
	s_or_b64 exec, exec, s[92:93]
	v_add_u32_e32 v4, 0xffffff81, v8
	v_mov_b32_e32 v8, 0xffffff82
	v_cndmask_b32_e32 v4, v4, v8, vcc
	v_lshrrev_b32_e32 v8, 23, v2
	v_add3_u32 v22, v22, v4, v8
	v_add_u32_e32 v8, 14, v22
	v_and_b32_e32 v3, 0x1fffff, v3
	v_add_u32_e32 v27, v3, v2
	v_cmp_ne_u32_e32 vcc, 0, v8
                                        ; implicit-def: $vgpr2_vgpr3
                                        ; implicit-def: $vgpr4
	s_and_saveexec_b64 s[18:19], vcc
	s_xor_b64 s[18:19], exec, s[18:19]
; %bb.7918:                             ;   in Loop: Header=BB6_7336 Depth=2
	v_cmp_lt_u64_e32 vcc, s[62:63], v[27:28]
	v_add_u32_e32 v2, 15, v22
	v_cndmask_b32_e32 v4, v8, v2, vcc
	v_cndmask_b32_e64 v2, 0, 1, vcc
	v_lshrrev_b64 v[2:3], v2, v[27:28]
; %bb.7919:                             ;   in Loop: Header=BB6_7336 Depth=2
	s_or_saveexec_b64 s[18:19], s[18:19]
	buffer_load_dword v32, off, s[0:3], s33 offset:76 ; 4-byte Folded Reload
	buffer_load_dword v33, off, s[0:3], s33 offset:80 ; 4-byte Folded Reload
	s_xor_b64 exec, exec, s[18:19]
; %bb.7920:                             ;   in Loop: Header=BB6_7336 Depth=2
	v_mov_b32_e32 v2, v27
	v_mov_b32_e32 v3, v28
	v_bfe_u32 v4, v27, 23, 1
; %bb.7921:                             ;   in Loop: Header=BB6_7336 Depth=2
	s_or_b64 exec, exec, s[18:19]
	v_lshrrev_b64 v[2:3], 21, v[2:3]
	v_cmp_gt_i32_e32 vcc, 32, v4
	v_cndmask_b32_e32 v3, 0, v3, vcc
	v_cndmask_b32_e32 v2, 3, v2, vcc
	v_cmp_ne_u64_e32 vcc, 0, v[2:3]
	v_cmp_ne_u32_e64 s[18:19], 0, v4
	s_or_b64 s[18:19], s[18:19], vcc
                                        ; implicit-def: $vgpr8
	s_and_saveexec_b64 s[92:93], s[18:19]
	s_xor_b64 s[18:19], exec, s[92:93]
; %bb.7922:                             ;   in Loop: Header=BB6_7336 Depth=2
	v_min_i32_e32 v3, 31, v4
	v_lshl_or_b32 v3, v3, 2, v15
	v_and_or_b32 v8, v2, 3, v3
                                        ; implicit-def: $vgpr15
; %bb.7923:                             ;   in Loop: Header=BB6_7336 Depth=2
	s_andn2_saveexec_b64 s[18:19], s[18:19]
; %bb.7924:                             ;   in Loop: Header=BB6_7336 Depth=2
	v_mov_b32_e32 v8, v15
; %bb.7925:                             ;   in Loop: Header=BB6_7336 Depth=2
	s_or_b64 exec, exec, s[18:19]
.LBB6_7926:                             ;   in Loop: Header=BB6_7336 Depth=2
	s_or_b64 exec, exec, s[90:91]
                                        ; implicit-def: $vgpr15
.LBB6_7927:                             ;   in Loop: Header=BB6_7336 Depth=2
	s_andn2_saveexec_b64 s[18:19], s[88:89]
; %bb.7928:                             ;   in Loop: Header=BB6_7336 Depth=2
	v_or_b32_e32 v8, 0x7b, v15
; %bb.7929:                             ;   in Loop: Header=BB6_7336 Depth=2
	s_or_b64 exec, exec, s[18:19]
                                        ; implicit-def: $vgpr2
.LBB6_7930:                             ;   in Loop: Header=BB6_7336 Depth=2
	s_andn2_saveexec_b64 s[18:19], s[78:79]
	s_cbranch_execz .LBB6_7936
; %bb.7931:                             ;   in Loop: Header=BB6_7336 Depth=2
	v_cmp_ne_u64_e32 vcc, 0, v[27:28]
                                        ; implicit-def: $vgpr8
	s_and_saveexec_b64 s[78:79], vcc
	s_xor_b64 s[78:79], exec, s[78:79]
; %bb.7932:                             ;   in Loop: Header=BB6_7336 Depth=2
	v_or_b32_sdwa v8, v2, s54 dst_sel:DWORD dst_unused:UNUSED_PAD src0_sel:BYTE_3 src1_sel:DWORD
                                        ; implicit-def: $vgpr2
; %bb.7933:                             ;   in Loop: Header=BB6_7336 Depth=2
	s_andn2_saveexec_b64 s[78:79], s[78:79]
; %bb.7934:                             ;   in Loop: Header=BB6_7336 Depth=2
	v_cmp_lt_i32_e32 vcc, -1, v2
	v_mov_b32_e32 v2, 0x7c
	v_cndmask_b32_e32 v8, -4, v2, vcc
; %bb.7935:                             ;   in Loop: Header=BB6_7336 Depth=2
	s_or_b64 exec, exec, s[78:79]
.LBB6_7936:                             ;   in Loop: Header=BB6_7336 Depth=2
	s_or_b64 exec, exec, s[18:19]
	v_cmp_ne_u16_e32 vcc, 0, v61
	v_mov_b32_e32 v2, 0
	v_mov_b32_e32 v3, 0
	s_and_saveexec_b64 s[18:19], vcc
	s_cbranch_execz .LBB6_7944
; %bb.7937:                             ;   in Loop: Header=BB6_7336 Depth=2
	v_cmp_ne_u16_e32 vcc, s49, v61
	v_bfrev_b32_e32 v3, 1
	s_and_saveexec_b64 s[78:79], vcc
	s_cbranch_execz .LBB6_7943
; %bb.7938:                             ;   in Loop: Header=BB6_7336 Depth=2
	v_and_b32_e32 v3, 0x7c, v61
	v_and_b32_e32 v4, 3, v61
	v_cmp_ne_u32_e32 vcc, s50, v3
                                        ; implicit-def: $vgpr3
	s_and_saveexec_b64 s[88:89], vcc
	s_xor_b64 s[88:89], exec, s[88:89]
	s_cbranch_execz .LBB6_7940
; %bb.7939:                             ;   in Loop: Header=BB6_7336 Depth=2
	v_ffbh_u32_e32 v15, v4
	v_min_u32_e32 v15, 32, v15
	v_mov_b32_e32 v62, v28
	v_subrev_u32_e32 v22, 29, v15
	v_lshlrev_b64 v[29:30], v22, v[61:62]
	buffer_load_dword v62, off, s[0:3], s33 offset:272 ; 4-byte Folded Reload
	v_and_b32_e32 v3, 0xff, v61
	v_bfe_u32 v3, v3, 2, 5
	v_sub_u32_e32 v15, 30, v15
	v_cmp_eq_u32_e32 vcc, 0, v3
	v_and_b32_e32 v22, 3, v29
	v_cndmask_b32_e32 v3, v3, v15, vcc
	v_and_b32_sdwa v15, sext(v61), s51 dst_sel:DWORD dst_unused:UNUSED_PAD src0_sel:WORD_0 src1_sel:DWORD
	v_cndmask_b32_e32 v4, v4, v22, vcc
	v_lshl_add_u32 v3, v3, 23, v15
	v_lshl_or_b32 v3, v4, 21, v3
	v_add_u32_e32 v3, 0x38000000, v3
                                        ; implicit-def: $vgpr4
                                        ; implicit-def: $vgpr61
.LBB6_7940:                             ;   in Loop: Header=BB6_7336 Depth=2
	s_andn2_saveexec_b64 s[88:89], s[88:89]
; %bb.7941:                             ;   in Loop: Header=BB6_7336 Depth=2
	v_cmp_lt_i16_e32 vcc, -1, v61
	v_mov_b32_e32 v3, 0xff800000
	v_mov_b32_e32 v15, 0x7f800000
	v_cndmask_b32_e32 v3, v3, v15, vcc
	v_cmp_eq_u32_e32 vcc, 0, v4
	v_mov_b32_e32 v4, 0x7f800001
	v_cndmask_b32_e32 v3, v4, v3, vcc
; %bb.7942:                             ;   in Loop: Header=BB6_7336 Depth=2
	s_or_b64 exec, exec, s[88:89]
.LBB6_7943:                             ;   in Loop: Header=BB6_7336 Depth=2
	s_or_b64 exec, exec, s[78:79]
.LBB6_7944:                             ;   in Loop: Header=BB6_7336 Depth=2
	s_or_b64 exec, exec, s[18:19]
	v_cmp_ne_u16_e32 vcc, 0, v42
	s_and_saveexec_b64 s[18:19], vcc
	s_cbranch_execz .LBB6_7952
; %bb.7945:                             ;   in Loop: Header=BB6_7336 Depth=2
	v_cmp_ne_u16_e32 vcc, s49, v42
	v_bfrev_b32_e32 v2, 1
	s_and_saveexec_b64 s[78:79], vcc
	s_cbranch_execz .LBB6_7951
; %bb.7946:                             ;   in Loop: Header=BB6_7336 Depth=2
	v_and_b32_e32 v2, 0x7c, v42
	v_and_b32_e32 v4, 3, v42
	v_cmp_ne_u32_e32 vcc, s50, v2
                                        ; implicit-def: $vgpr2
	s_and_saveexec_b64 s[88:89], vcc
	s_xor_b64 s[88:89], exec, s[88:89]
	s_cbranch_execz .LBB6_7948
; %bb.7947:                             ;   in Loop: Header=BB6_7336 Depth=2
	v_ffbh_u32_e32 v15, v4
	v_min_u32_e32 v15, 32, v15
	v_and_b32_e32 v2, 0xff, v42
	v_mov_b32_e32 v43, v28
	v_subrev_u32_e32 v22, 29, v15
	v_bfe_u32 v2, v2, 2, 5
	v_lshlrev_b64 v[29:30], v22, v[42:43]
	v_sub_u32_e32 v15, 30, v15
	v_cmp_eq_u32_e32 vcc, 0, v2
	v_and_b32_e32 v22, 3, v29
	v_cndmask_b32_e32 v2, v2, v15, vcc
	v_and_b32_sdwa v15, sext(v42), s51 dst_sel:DWORD dst_unused:UNUSED_PAD src0_sel:WORD_0 src1_sel:DWORD
	v_cndmask_b32_e32 v4, v4, v22, vcc
	v_lshl_add_u32 v2, v2, 23, v15
	v_lshl_or_b32 v2, v4, 21, v2
	v_add_u32_e32 v2, 0x38000000, v2
                                        ; implicit-def: $vgpr4
                                        ; implicit-def: $vgpr42
.LBB6_7948:                             ;   in Loop: Header=BB6_7336 Depth=2
	s_andn2_saveexec_b64 s[88:89], s[88:89]
; %bb.7949:                             ;   in Loop: Header=BB6_7336 Depth=2
	v_cmp_lt_i16_e32 vcc, -1, v42
	v_mov_b32_e32 v2, 0xff800000
	v_mov_b32_e32 v15, 0x7f800000
	v_cndmask_b32_e32 v2, v2, v15, vcc
	v_cmp_eq_u32_e32 vcc, 0, v4
	v_mov_b32_e32 v4, 0x7f800001
	v_cndmask_b32_e32 v2, v4, v2, vcc
; %bb.7950:                             ;   in Loop: Header=BB6_7336 Depth=2
	s_or_b64 exec, exec, s[88:89]
.LBB6_7951:                             ;   in Loop: Header=BB6_7336 Depth=2
	s_or_b64 exec, exec, s[78:79]
.LBB6_7952:                             ;   in Loop: Header=BB6_7336 Depth=2
	s_or_b64 exec, exec, s[18:19]
	v_mul_f32_e32 v2, v3, v2
	v_and_b32_e32 v3, 0x7f800000, v2
	v_mov_b32_e32 v4, v28
	v_cmp_ne_u64_e32 vcc, s[58:59], v[3:4]
	v_and_b32_e32 v27, 0x7fffff, v2
                                        ; implicit-def: $vgpr15
	s_and_saveexec_b64 s[18:19], vcc
	s_xor_b64 s[78:79], exec, s[18:19]
	s_cbranch_execz .LBB6_7970
; %bb.7953:                             ;   in Loop: Header=BB6_7336 Depth=2
	v_and_b32_e32 v3, 0x7fffffff, v2
	v_mov_b32_e32 v4, v28
	v_cmp_gt_u64_e32 vcc, s[60:61], v[3:4]
	v_and_b32_sdwa v22, v2, s52 dst_sel:DWORD dst_unused:UNUSED_PAD src0_sel:BYTE_3 src1_sel:DWORD
                                        ; implicit-def: $vgpr15
	s_and_saveexec_b64 s[18:19], vcc
	s_xor_b64 s[88:89], exec, s[18:19]
	s_cbranch_execz .LBB6_7967
; %bb.7954:                             ;   in Loop: Header=BB6_7336 Depth=2
	v_cmp_ne_u32_e32 vcc, 0, v2
	v_mov_b32_e32 v15, 0
	s_and_saveexec_b64 s[90:91], vcc
	s_cbranch_execz .LBB6_7966
; %bb.7955:                             ;   in Loop: Header=BB6_7336 Depth=2
	v_bfe_u32 v15, v2, 23, 8
	v_cmp_gt_u32_e64 s[18:19], s53, v15
	v_sub_u32_e32 v2, 0x71, v15
	v_cmp_eq_u32_e32 vcc, 0, v15
	v_cndmask_b32_e64 v2, 0, v2, s[18:19]
	v_mov_b32_e32 v4, 0x70
	v_cndmask_b32_e32 v24, v2, v4, vcc
	v_add_u32_e32 v4, 21, v24
	v_or_b32_e32 v3, 0x800000, v27
	v_lshlrev_b64 v[29:30], v4, -1
	v_cndmask_b32_e32 v2, v3, v27, vcc
	v_mov_b32_e32 v3, v28
	v_add_u32_e32 v4, 20, v24
	v_bfi_b32 v29, v29, 0, v2
	s_waitcnt vmcnt(0)
	v_lshlrev_b64 v[32:33], v4, 1
	v_lshrrev_b64 v[2:3], v24, v[2:3]
	v_bfi_b32 v30, v30, 0, 0
	v_cmp_eq_u64_e64 s[18:19], v[29:30], v[32:33]
	v_mov_b32_e32 v4, v3
	v_mov_b32_e32 v3, v2
	s_and_saveexec_b64 s[92:93], s[18:19]
; %bb.7956:                             ;   in Loop: Header=BB6_7336 Depth=2
	v_bfe_u32 v3, v2, 21, 1
	v_add_co_u32_e64 v3, s[18:19], v2, v3
	v_add_co_u32_e64 v3, s[18:19], -1, v3
; %bb.7957:                             ;   in Loop: Header=BB6_7336 Depth=2
	s_or_b64 exec, exec, s[92:93]
	v_add_u32_e32 v4, 0xffffff81, v15
	v_mov_b32_e32 v15, 0xffffff82
	v_cndmask_b32_e32 v4, v4, v15, vcc
	v_lshrrev_b32_e32 v15, 23, v2
	v_add3_u32 v24, v24, v4, v15
	v_add_u32_e32 v15, 14, v24
	v_and_b32_e32 v3, 0x1fffff, v3
	v_add_u32_e32 v27, v3, v2
	v_cmp_ne_u32_e32 vcc, 0, v15
                                        ; implicit-def: $vgpr2_vgpr3
                                        ; implicit-def: $vgpr4
	s_and_saveexec_b64 s[18:19], vcc
	s_xor_b64 s[18:19], exec, s[18:19]
; %bb.7958:                             ;   in Loop: Header=BB6_7336 Depth=2
	v_cmp_lt_u64_e32 vcc, s[62:63], v[27:28]
	v_add_u32_e32 v2, 15, v24
	v_cndmask_b32_e32 v4, v15, v2, vcc
	v_cndmask_b32_e64 v2, 0, 1, vcc
	v_lshrrev_b64 v[2:3], v2, v[27:28]
; %bb.7959:                             ;   in Loop: Header=BB6_7336 Depth=2
	s_or_saveexec_b64 s[18:19], s[18:19]
	buffer_load_dword v32, off, s[0:3], s33 offset:76 ; 4-byte Folded Reload
	buffer_load_dword v33, off, s[0:3], s33 offset:80 ; 4-byte Folded Reload
	s_xor_b64 exec, exec, s[18:19]
; %bb.7960:                             ;   in Loop: Header=BB6_7336 Depth=2
	v_mov_b32_e32 v2, v27
	v_mov_b32_e32 v3, v28
	v_bfe_u32 v4, v27, 23, 1
; %bb.7961:                             ;   in Loop: Header=BB6_7336 Depth=2
	s_or_b64 exec, exec, s[18:19]
	v_lshrrev_b64 v[2:3], 21, v[2:3]
	v_cmp_gt_i32_e32 vcc, 32, v4
	v_cndmask_b32_e32 v3, 0, v3, vcc
	v_cndmask_b32_e32 v2, 3, v2, vcc
	v_cmp_ne_u64_e32 vcc, 0, v[2:3]
	v_cmp_ne_u32_e64 s[18:19], 0, v4
	s_or_b64 s[18:19], s[18:19], vcc
                                        ; implicit-def: $vgpr15
	s_and_saveexec_b64 s[92:93], s[18:19]
	s_xor_b64 s[18:19], exec, s[92:93]
; %bb.7962:                             ;   in Loop: Header=BB6_7336 Depth=2
	v_min_i32_e32 v3, 31, v4
	v_lshl_or_b32 v3, v3, 2, v22
	v_and_or_b32 v15, v2, 3, v3
                                        ; implicit-def: $vgpr22
; %bb.7963:                             ;   in Loop: Header=BB6_7336 Depth=2
	s_andn2_saveexec_b64 s[18:19], s[18:19]
; %bb.7964:                             ;   in Loop: Header=BB6_7336 Depth=2
	v_mov_b32_e32 v15, v22
; %bb.7965:                             ;   in Loop: Header=BB6_7336 Depth=2
	s_or_b64 exec, exec, s[18:19]
.LBB6_7966:                             ;   in Loop: Header=BB6_7336 Depth=2
	s_or_b64 exec, exec, s[90:91]
                                        ; implicit-def: $vgpr22
.LBB6_7967:                             ;   in Loop: Header=BB6_7336 Depth=2
	s_andn2_saveexec_b64 s[18:19], s[88:89]
; %bb.7968:                             ;   in Loop: Header=BB6_7336 Depth=2
	v_or_b32_e32 v15, 0x7b, v22
; %bb.7969:                             ;   in Loop: Header=BB6_7336 Depth=2
	s_or_b64 exec, exec, s[18:19]
                                        ; implicit-def: $vgpr2
.LBB6_7970:                             ;   in Loop: Header=BB6_7336 Depth=2
	s_andn2_saveexec_b64 s[18:19], s[78:79]
	s_cbranch_execz .LBB6_7976
; %bb.7971:                             ;   in Loop: Header=BB6_7336 Depth=2
	v_cmp_ne_u64_e32 vcc, 0, v[27:28]
                                        ; implicit-def: $vgpr15
	s_and_saveexec_b64 s[78:79], vcc
	s_xor_b64 s[78:79], exec, s[78:79]
; %bb.7972:                             ;   in Loop: Header=BB6_7336 Depth=2
	v_or_b32_sdwa v15, v2, s54 dst_sel:DWORD dst_unused:UNUSED_PAD src0_sel:BYTE_3 src1_sel:DWORD
                                        ; implicit-def: $vgpr2
; %bb.7973:                             ;   in Loop: Header=BB6_7336 Depth=2
	s_andn2_saveexec_b64 s[78:79], s[78:79]
; %bb.7974:                             ;   in Loop: Header=BB6_7336 Depth=2
	v_cmp_lt_i32_e32 vcc, -1, v2
	v_mov_b32_e32 v2, 0x7c
	v_cndmask_b32_e32 v15, -4, v2, vcc
; %bb.7975:                             ;   in Loop: Header=BB6_7336 Depth=2
	s_or_b64 exec, exec, s[78:79]
.LBB6_7976:                             ;   in Loop: Header=BB6_7336 Depth=2
	s_or_b64 exec, exec, s[18:19]
	v_cmp_ne_u16_e32 vcc, 0, v54
	v_mov_b32_e32 v2, 0
	v_mov_b32_e32 v3, 0
	s_and_saveexec_b64 s[18:19], vcc
	s_cbranch_execz .LBB6_7984
; %bb.7977:                             ;   in Loop: Header=BB6_7336 Depth=2
	v_cmp_ne_u16_e32 vcc, s49, v54
	v_bfrev_b32_e32 v3, 1
	s_and_saveexec_b64 s[78:79], vcc
	s_cbranch_execz .LBB6_7983
; %bb.7978:                             ;   in Loop: Header=BB6_7336 Depth=2
	v_and_b32_e32 v3, 0x7c, v54
	v_and_b32_e32 v4, 3, v54
	v_cmp_ne_u32_e32 vcc, s50, v3
                                        ; implicit-def: $vgpr3
	s_and_saveexec_b64 s[88:89], vcc
	s_xor_b64 s[88:89], exec, s[88:89]
	s_cbranch_execz .LBB6_7980
; %bb.7979:                             ;   in Loop: Header=BB6_7336 Depth=2
	v_ffbh_u32_e32 v22, v4
	v_min_u32_e32 v22, 32, v22
	v_and_b32_e32 v3, 0xff, v54
	v_mov_b32_e32 v55, v28
	v_subrev_u32_e32 v24, 29, v22
	v_bfe_u32 v3, v3, 2, 5
	v_lshlrev_b64 v[29:30], v24, v[54:55]
	v_sub_u32_e32 v22, 30, v22
	v_cmp_eq_u32_e32 vcc, 0, v3
	v_and_b32_e32 v24, 3, v29
	v_cndmask_b32_e32 v3, v3, v22, vcc
	v_and_b32_sdwa v22, sext(v54), s51 dst_sel:DWORD dst_unused:UNUSED_PAD src0_sel:WORD_0 src1_sel:DWORD
	v_cndmask_b32_e32 v4, v4, v24, vcc
	v_lshl_add_u32 v3, v3, 23, v22
	v_lshl_or_b32 v3, v4, 21, v3
	v_add_u32_e32 v3, 0x38000000, v3
                                        ; implicit-def: $vgpr4
                                        ; implicit-def: $vgpr54
.LBB6_7980:                             ;   in Loop: Header=BB6_7336 Depth=2
	s_andn2_saveexec_b64 s[88:89], s[88:89]
; %bb.7981:                             ;   in Loop: Header=BB6_7336 Depth=2
	v_cmp_lt_i16_e32 vcc, -1, v54
	v_mov_b32_e32 v3, 0xff800000
	v_mov_b32_e32 v22, 0x7f800000
	v_cndmask_b32_e32 v3, v3, v22, vcc
	v_cmp_eq_u32_e32 vcc, 0, v4
	v_mov_b32_e32 v4, 0x7f800001
	v_cndmask_b32_e32 v3, v4, v3, vcc
; %bb.7982:                             ;   in Loop: Header=BB6_7336 Depth=2
	s_or_b64 exec, exec, s[88:89]
.LBB6_7983:                             ;   in Loop: Header=BB6_7336 Depth=2
	s_or_b64 exec, exec, s[78:79]
.LBB6_7984:                             ;   in Loop: Header=BB6_7336 Depth=2
	s_or_b64 exec, exec, s[18:19]
	v_cmp_ne_u16_e32 vcc, 0, v53
	s_and_saveexec_b64 s[18:19], vcc
	s_cbranch_execz .LBB6_7992
; %bb.7985:                             ;   in Loop: Header=BB6_7336 Depth=2
	v_cmp_ne_u16_e32 vcc, s49, v53
	v_bfrev_b32_e32 v2, 1
	s_and_saveexec_b64 s[78:79], vcc
	s_cbranch_execz .LBB6_7991
; %bb.7986:                             ;   in Loop: Header=BB6_7336 Depth=2
	v_and_b32_e32 v2, 0x7c, v53
	v_and_b32_e32 v4, 3, v53
	v_cmp_ne_u32_e32 vcc, s50, v2
                                        ; implicit-def: $vgpr2
	s_and_saveexec_b64 s[88:89], vcc
	s_xor_b64 s[88:89], exec, s[88:89]
	s_cbranch_execz .LBB6_7988
; %bb.7987:                             ;   in Loop: Header=BB6_7336 Depth=2
	v_ffbh_u32_e32 v22, v4
	v_min_u32_e32 v22, 32, v22
	v_and_b32_e32 v2, 0xff, v53
	v_mov_b32_e32 v54, v28
	v_subrev_u32_e32 v24, 29, v22
	v_bfe_u32 v2, v2, 2, 5
	v_lshlrev_b64 v[29:30], v24, v[53:54]
	v_sub_u32_e32 v22, 30, v22
	v_cmp_eq_u32_e32 vcc, 0, v2
	v_and_b32_e32 v24, 3, v29
	v_cndmask_b32_e32 v2, v2, v22, vcc
	v_and_b32_sdwa v22, sext(v53), s51 dst_sel:DWORD dst_unused:UNUSED_PAD src0_sel:WORD_0 src1_sel:DWORD
	v_cndmask_b32_e32 v4, v4, v24, vcc
	v_lshl_add_u32 v2, v2, 23, v22
	v_lshl_or_b32 v2, v4, 21, v2
	v_add_u32_e32 v2, 0x38000000, v2
                                        ; implicit-def: $vgpr4
                                        ; implicit-def: $vgpr53
.LBB6_7988:                             ;   in Loop: Header=BB6_7336 Depth=2
	s_andn2_saveexec_b64 s[88:89], s[88:89]
; %bb.7989:                             ;   in Loop: Header=BB6_7336 Depth=2
	v_cmp_lt_i16_e32 vcc, -1, v53
	v_mov_b32_e32 v2, 0xff800000
	v_mov_b32_e32 v22, 0x7f800000
	v_cndmask_b32_e32 v2, v2, v22, vcc
	v_cmp_eq_u32_e32 vcc, 0, v4
	v_mov_b32_e32 v4, 0x7f800001
	v_cndmask_b32_e32 v2, v4, v2, vcc
; %bb.7990:                             ;   in Loop: Header=BB6_7336 Depth=2
	s_or_b64 exec, exec, s[88:89]
.LBB6_7991:                             ;   in Loop: Header=BB6_7336 Depth=2
	s_or_b64 exec, exec, s[78:79]
.LBB6_7992:                             ;   in Loop: Header=BB6_7336 Depth=2
	s_or_b64 exec, exec, s[18:19]
	v_mul_f32_e32 v2, v3, v2
	v_and_b32_e32 v3, 0x7f800000, v2
	v_mov_b32_e32 v4, v28
	v_cmp_ne_u64_e32 vcc, s[58:59], v[3:4]
	v_and_b32_e32 v27, 0x7fffff, v2
                                        ; implicit-def: $vgpr22
	s_and_saveexec_b64 s[18:19], vcc
	s_xor_b64 s[78:79], exec, s[18:19]
	s_cbranch_execz .LBB6_8010
; %bb.7993:                             ;   in Loop: Header=BB6_7336 Depth=2
	v_and_b32_e32 v3, 0x7fffffff, v2
	v_mov_b32_e32 v4, v28
	v_cmp_gt_u64_e32 vcc, s[60:61], v[3:4]
	v_and_b32_sdwa v24, v2, s52 dst_sel:DWORD dst_unused:UNUSED_PAD src0_sel:BYTE_3 src1_sel:DWORD
                                        ; implicit-def: $vgpr22
	s_and_saveexec_b64 s[18:19], vcc
	s_xor_b64 s[88:89], exec, s[18:19]
	s_cbranch_execz .LBB6_8007
; %bb.7994:                             ;   in Loop: Header=BB6_7336 Depth=2
	v_cmp_ne_u32_e32 vcc, 0, v2
	v_mov_b32_e32 v22, 0
	s_and_saveexec_b64 s[90:91], vcc
	s_cbranch_execz .LBB6_8006
; %bb.7995:                             ;   in Loop: Header=BB6_7336 Depth=2
	v_bfe_u32 v22, v2, 23, 8
	v_cmp_gt_u32_e64 s[18:19], s53, v22
	v_sub_u32_e32 v2, 0x71, v22
	v_cmp_eq_u32_e32 vcc, 0, v22
	v_cndmask_b32_e64 v2, 0, v2, s[18:19]
	v_mov_b32_e32 v4, 0x70
	v_cndmask_b32_e32 v29, v2, v4, vcc
	v_add_u32_e32 v4, 21, v29
	v_or_b32_e32 v3, 0x800000, v27
	s_waitcnt vmcnt(0)
	v_lshlrev_b64 v[32:33], v4, -1
	v_cndmask_b32_e32 v2, v3, v27, vcc
	v_mov_b32_e32 v3, v28
	v_add_u32_e32 v4, 20, v29
	v_bfi_b32 v32, v32, 0, v2
	v_lshlrev_b64 v[53:54], v4, 1
	v_lshrrev_b64 v[2:3], v29, v[2:3]
	v_bfi_b32 v33, v33, 0, 0
	v_cmp_eq_u64_e64 s[18:19], v[32:33], v[53:54]
	v_mov_b32_e32 v4, v3
	v_mov_b32_e32 v3, v2
	s_and_saveexec_b64 s[92:93], s[18:19]
; %bb.7996:                             ;   in Loop: Header=BB6_7336 Depth=2
	v_bfe_u32 v3, v2, 21, 1
	v_add_co_u32_e64 v3, s[18:19], v2, v3
	v_add_co_u32_e64 v3, s[18:19], -1, v3
; %bb.7997:                             ;   in Loop: Header=BB6_7336 Depth=2
	s_or_b64 exec, exec, s[92:93]
	v_add_u32_e32 v4, 0xffffff81, v22
	v_mov_b32_e32 v22, 0xffffff82
	v_cndmask_b32_e32 v4, v4, v22, vcc
	v_lshrrev_b32_e32 v22, 23, v2
	v_add3_u32 v29, v29, v4, v22
	v_add_u32_e32 v22, 14, v29
	v_and_b32_e32 v3, 0x1fffff, v3
	v_add_u32_e32 v27, v3, v2
	v_cmp_ne_u32_e32 vcc, 0, v22
                                        ; implicit-def: $vgpr2_vgpr3
                                        ; implicit-def: $vgpr4
	s_and_saveexec_b64 s[18:19], vcc
	s_xor_b64 s[18:19], exec, s[18:19]
; %bb.7998:                             ;   in Loop: Header=BB6_7336 Depth=2
	v_cmp_lt_u64_e32 vcc, s[62:63], v[27:28]
	v_add_u32_e32 v2, 15, v29
	v_cndmask_b32_e32 v4, v22, v2, vcc
	v_cndmask_b32_e64 v2, 0, 1, vcc
	v_lshrrev_b64 v[2:3], v2, v[27:28]
; %bb.7999:                             ;   in Loop: Header=BB6_7336 Depth=2
	s_or_saveexec_b64 s[18:19], s[18:19]
	buffer_load_dword v32, off, s[0:3], s33 offset:76 ; 4-byte Folded Reload
	buffer_load_dword v33, off, s[0:3], s33 offset:80 ; 4-byte Folded Reload
	s_xor_b64 exec, exec, s[18:19]
; %bb.8000:                             ;   in Loop: Header=BB6_7336 Depth=2
	v_mov_b32_e32 v2, v27
	v_mov_b32_e32 v3, v28
	v_bfe_u32 v4, v27, 23, 1
; %bb.8001:                             ;   in Loop: Header=BB6_7336 Depth=2
	s_or_b64 exec, exec, s[18:19]
	v_lshrrev_b64 v[2:3], 21, v[2:3]
	v_cmp_gt_i32_e32 vcc, 32, v4
	v_cndmask_b32_e32 v3, 0, v3, vcc
	v_cndmask_b32_e32 v2, 3, v2, vcc
	v_cmp_ne_u64_e32 vcc, 0, v[2:3]
	v_cmp_ne_u32_e64 s[18:19], 0, v4
	s_or_b64 s[18:19], s[18:19], vcc
                                        ; implicit-def: $vgpr22
	s_and_saveexec_b64 s[92:93], s[18:19]
	s_xor_b64 s[18:19], exec, s[92:93]
; %bb.8002:                             ;   in Loop: Header=BB6_7336 Depth=2
	v_min_i32_e32 v3, 31, v4
	v_lshl_or_b32 v3, v3, 2, v24
	v_and_or_b32 v22, v2, 3, v3
                                        ; implicit-def: $vgpr24
; %bb.8003:                             ;   in Loop: Header=BB6_7336 Depth=2
	s_andn2_saveexec_b64 s[18:19], s[18:19]
; %bb.8004:                             ;   in Loop: Header=BB6_7336 Depth=2
	v_mov_b32_e32 v22, v24
; %bb.8005:                             ;   in Loop: Header=BB6_7336 Depth=2
	s_or_b64 exec, exec, s[18:19]
.LBB6_8006:                             ;   in Loop: Header=BB6_7336 Depth=2
	s_or_b64 exec, exec, s[90:91]
                                        ; implicit-def: $vgpr24
.LBB6_8007:                             ;   in Loop: Header=BB6_7336 Depth=2
	s_andn2_saveexec_b64 s[18:19], s[88:89]
; %bb.8008:                             ;   in Loop: Header=BB6_7336 Depth=2
	v_or_b32_e32 v22, 0x7b, v24
; %bb.8009:                             ;   in Loop: Header=BB6_7336 Depth=2
	s_or_b64 exec, exec, s[18:19]
                                        ; implicit-def: $vgpr2
.LBB6_8010:                             ;   in Loop: Header=BB6_7336 Depth=2
	s_andn2_saveexec_b64 s[18:19], s[78:79]
	s_cbranch_execz .LBB6_8016
; %bb.8011:                             ;   in Loop: Header=BB6_7336 Depth=2
	v_cmp_ne_u64_e32 vcc, 0, v[27:28]
                                        ; implicit-def: $vgpr22
	s_and_saveexec_b64 s[78:79], vcc
	s_xor_b64 s[78:79], exec, s[78:79]
; %bb.8012:                             ;   in Loop: Header=BB6_7336 Depth=2
	v_or_b32_sdwa v22, v2, s54 dst_sel:DWORD dst_unused:UNUSED_PAD src0_sel:BYTE_3 src1_sel:DWORD
                                        ; implicit-def: $vgpr2
; %bb.8013:                             ;   in Loop: Header=BB6_7336 Depth=2
	s_andn2_saveexec_b64 s[78:79], s[78:79]
; %bb.8014:                             ;   in Loop: Header=BB6_7336 Depth=2
	v_cmp_lt_i32_e32 vcc, -1, v2
	v_mov_b32_e32 v2, 0x7c
	v_cndmask_b32_e32 v22, -4, v2, vcc
; %bb.8015:                             ;   in Loop: Header=BB6_7336 Depth=2
	s_or_b64 exec, exec, s[78:79]
.LBB6_8016:                             ;   in Loop: Header=BB6_7336 Depth=2
	s_or_b64 exec, exec, s[18:19]
	v_cmp_ne_u16_e32 vcc, 0, v52
	v_mov_b32_e32 v2, 0
	v_mov_b32_e32 v3, 0
	s_and_saveexec_b64 s[18:19], vcc
	s_cbranch_execz .LBB6_8024
; %bb.8017:                             ;   in Loop: Header=BB6_7336 Depth=2
	v_cmp_ne_u16_e32 vcc, s49, v52
	v_bfrev_b32_e32 v3, 1
	s_and_saveexec_b64 s[78:79], vcc
	s_cbranch_execz .LBB6_8023
; %bb.8018:                             ;   in Loop: Header=BB6_7336 Depth=2
	v_and_b32_e32 v3, 0x7c, v52
	v_and_b32_e32 v4, 3, v52
	v_cmp_ne_u32_e32 vcc, s50, v3
                                        ; implicit-def: $vgpr3
	s_and_saveexec_b64 s[88:89], vcc
	s_xor_b64 s[88:89], exec, s[88:89]
	s_cbranch_execz .LBB6_8020
; %bb.8019:                             ;   in Loop: Header=BB6_7336 Depth=2
	v_ffbh_u32_e32 v24, v4
	v_min_u32_e32 v24, 32, v24
	v_and_b32_e32 v3, 0xff, v52
	v_mov_b32_e32 v53, v28
	v_subrev_u32_e32 v27, 29, v24
	v_bfe_u32 v3, v3, 2, 5
	v_lshlrev_b64 v[29:30], v27, v[52:53]
	v_sub_u32_e32 v24, 30, v24
	v_cmp_eq_u32_e32 vcc, 0, v3
	v_and_b32_e32 v27, 3, v29
	v_cndmask_b32_e32 v3, v3, v24, vcc
	v_and_b32_sdwa v24, sext(v52), s51 dst_sel:DWORD dst_unused:UNUSED_PAD src0_sel:WORD_0 src1_sel:DWORD
	v_cndmask_b32_e32 v4, v4, v27, vcc
	v_lshl_add_u32 v3, v3, 23, v24
	v_lshl_or_b32 v3, v4, 21, v3
	v_add_u32_e32 v3, 0x38000000, v3
                                        ; implicit-def: $vgpr4
                                        ; implicit-def: $vgpr52
.LBB6_8020:                             ;   in Loop: Header=BB6_7336 Depth=2
	s_andn2_saveexec_b64 s[88:89], s[88:89]
; %bb.8021:                             ;   in Loop: Header=BB6_7336 Depth=2
	v_cmp_lt_i16_e32 vcc, -1, v52
	v_mov_b32_e32 v3, 0xff800000
	v_mov_b32_e32 v24, 0x7f800000
	v_cndmask_b32_e32 v3, v3, v24, vcc
	v_cmp_eq_u32_e32 vcc, 0, v4
	v_mov_b32_e32 v4, 0x7f800001
	v_cndmask_b32_e32 v3, v4, v3, vcc
; %bb.8022:                             ;   in Loop: Header=BB6_7336 Depth=2
	s_or_b64 exec, exec, s[88:89]
.LBB6_8023:                             ;   in Loop: Header=BB6_7336 Depth=2
	s_or_b64 exec, exec, s[78:79]
.LBB6_8024:                             ;   in Loop: Header=BB6_7336 Depth=2
	s_or_b64 exec, exec, s[18:19]
	v_cmp_ne_u16_e32 vcc, 0, v51
	s_and_saveexec_b64 s[18:19], vcc
	s_cbranch_execz .LBB6_8032
; %bb.8025:                             ;   in Loop: Header=BB6_7336 Depth=2
	v_cmp_ne_u16_e32 vcc, s49, v51
	v_bfrev_b32_e32 v2, 1
	s_and_saveexec_b64 s[78:79], vcc
	s_cbranch_execz .LBB6_8031
; %bb.8026:                             ;   in Loop: Header=BB6_7336 Depth=2
	v_and_b32_e32 v2, 0x7c, v51
	v_and_b32_e32 v4, 3, v51
	v_cmp_ne_u32_e32 vcc, s50, v2
                                        ; implicit-def: $vgpr2
	s_and_saveexec_b64 s[88:89], vcc
	s_xor_b64 s[88:89], exec, s[88:89]
	s_cbranch_execz .LBB6_8028
; %bb.8027:                             ;   in Loop: Header=BB6_7336 Depth=2
	v_ffbh_u32_e32 v24, v4
	v_min_u32_e32 v24, 32, v24
	v_and_b32_e32 v2, 0xff, v51
	v_mov_b32_e32 v52, v28
	v_subrev_u32_e32 v27, 29, v24
	v_bfe_u32 v2, v2, 2, 5
	v_lshlrev_b64 v[29:30], v27, v[51:52]
	v_sub_u32_e32 v24, 30, v24
	v_cmp_eq_u32_e32 vcc, 0, v2
	v_and_b32_e32 v27, 3, v29
	v_cndmask_b32_e32 v2, v2, v24, vcc
	v_and_b32_sdwa v24, sext(v51), s51 dst_sel:DWORD dst_unused:UNUSED_PAD src0_sel:WORD_0 src1_sel:DWORD
	v_cndmask_b32_e32 v4, v4, v27, vcc
	v_lshl_add_u32 v2, v2, 23, v24
	v_lshl_or_b32 v2, v4, 21, v2
	v_add_u32_e32 v2, 0x38000000, v2
                                        ; implicit-def: $vgpr4
                                        ; implicit-def: $vgpr51
.LBB6_8028:                             ;   in Loop: Header=BB6_7336 Depth=2
	s_andn2_saveexec_b64 s[88:89], s[88:89]
; %bb.8029:                             ;   in Loop: Header=BB6_7336 Depth=2
	v_cmp_lt_i16_e32 vcc, -1, v51
	v_mov_b32_e32 v2, 0xff800000
	v_mov_b32_e32 v24, 0x7f800000
	v_cndmask_b32_e32 v2, v2, v24, vcc
	v_cmp_eq_u32_e32 vcc, 0, v4
	v_mov_b32_e32 v4, 0x7f800001
	v_cndmask_b32_e32 v2, v4, v2, vcc
; %bb.8030:                             ;   in Loop: Header=BB6_7336 Depth=2
	s_or_b64 exec, exec, s[88:89]
.LBB6_8031:                             ;   in Loop: Header=BB6_7336 Depth=2
	s_or_b64 exec, exec, s[78:79]
.LBB6_8032:                             ;   in Loop: Header=BB6_7336 Depth=2
	s_or_b64 exec, exec, s[18:19]
	v_mul_f32_e32 v2, v3, v2
	v_and_b32_e32 v3, 0x7f800000, v2
	v_mov_b32_e32 v4, v28
	v_cmp_ne_u64_e32 vcc, s[58:59], v[3:4]
	v_and_b32_e32 v27, 0x7fffff, v2
                                        ; implicit-def: $vgpr24
	s_and_saveexec_b64 s[18:19], vcc
	s_xor_b64 s[78:79], exec, s[18:19]
	s_cbranch_execz .LBB6_8050
; %bb.8033:                             ;   in Loop: Header=BB6_7336 Depth=2
	v_and_b32_e32 v3, 0x7fffffff, v2
	v_mov_b32_e32 v4, v28
	v_cmp_gt_u64_e32 vcc, s[60:61], v[3:4]
	v_and_b32_sdwa v29, v2, s52 dst_sel:DWORD dst_unused:UNUSED_PAD src0_sel:BYTE_3 src1_sel:DWORD
                                        ; implicit-def: $vgpr24
	s_and_saveexec_b64 s[18:19], vcc
	s_xor_b64 s[88:89], exec, s[18:19]
	s_cbranch_execz .LBB6_8047
; %bb.8034:                             ;   in Loop: Header=BB6_7336 Depth=2
	v_cmp_ne_u32_e32 vcc, 0, v2
	v_mov_b32_e32 v24, 0
	s_and_saveexec_b64 s[90:91], vcc
	s_cbranch_execz .LBB6_8046
; %bb.8035:                             ;   in Loop: Header=BB6_7336 Depth=2
	v_bfe_u32 v24, v2, 23, 8
	v_cmp_gt_u32_e64 s[18:19], s53, v24
	v_sub_u32_e32 v2, 0x71, v24
	v_cmp_eq_u32_e32 vcc, 0, v24
	v_cndmask_b32_e64 v2, 0, v2, s[18:19]
	v_mov_b32_e32 v4, 0x70
	v_cndmask_b32_e32 v30, v2, v4, vcc
	v_add_u32_e32 v4, 21, v30
	v_or_b32_e32 v3, 0x800000, v27
	s_waitcnt vmcnt(0)
	v_lshlrev_b64 v[32:33], v4, -1
	v_cndmask_b32_e32 v2, v3, v27, vcc
	v_mov_b32_e32 v3, v28
	v_add_u32_e32 v4, 20, v30
	v_bfi_b32 v32, v32, 0, v2
	v_lshlrev_b64 v[51:52], v4, 1
	v_lshrrev_b64 v[2:3], v30, v[2:3]
	v_bfi_b32 v33, v33, 0, 0
	v_cmp_eq_u64_e64 s[18:19], v[32:33], v[51:52]
	v_mov_b32_e32 v4, v3
	v_mov_b32_e32 v3, v2
	s_and_saveexec_b64 s[92:93], s[18:19]
; %bb.8036:                             ;   in Loop: Header=BB6_7336 Depth=2
	v_bfe_u32 v3, v2, 21, 1
	v_add_co_u32_e64 v3, s[18:19], v2, v3
	v_add_co_u32_e64 v3, s[18:19], -1, v3
; %bb.8037:                             ;   in Loop: Header=BB6_7336 Depth=2
	s_or_b64 exec, exec, s[92:93]
	v_add_u32_e32 v4, 0xffffff81, v24
	v_mov_b32_e32 v24, 0xffffff82
	v_cndmask_b32_e32 v4, v4, v24, vcc
	v_lshrrev_b32_e32 v24, 23, v2
	v_add3_u32 v30, v30, v4, v24
	v_add_u32_e32 v24, 14, v30
	v_and_b32_e32 v3, 0x1fffff, v3
	v_add_u32_e32 v27, v3, v2
	v_cmp_ne_u32_e32 vcc, 0, v24
                                        ; implicit-def: $vgpr2_vgpr3
                                        ; implicit-def: $vgpr4
	s_and_saveexec_b64 s[18:19], vcc
	s_xor_b64 s[18:19], exec, s[18:19]
; %bb.8038:                             ;   in Loop: Header=BB6_7336 Depth=2
	v_cmp_lt_u64_e32 vcc, s[62:63], v[27:28]
	v_add_u32_e32 v2, 15, v30
	v_cndmask_b32_e32 v4, v24, v2, vcc
	v_cndmask_b32_e64 v2, 0, 1, vcc
	v_lshrrev_b64 v[2:3], v2, v[27:28]
; %bb.8039:                             ;   in Loop: Header=BB6_7336 Depth=2
	s_or_saveexec_b64 s[18:19], s[18:19]
	buffer_load_dword v32, off, s[0:3], s33 offset:76 ; 4-byte Folded Reload
	buffer_load_dword v33, off, s[0:3], s33 offset:80 ; 4-byte Folded Reload
	s_xor_b64 exec, exec, s[18:19]
; %bb.8040:                             ;   in Loop: Header=BB6_7336 Depth=2
	v_mov_b32_e32 v2, v27
	v_mov_b32_e32 v3, v28
	v_bfe_u32 v4, v27, 23, 1
; %bb.8041:                             ;   in Loop: Header=BB6_7336 Depth=2
	s_or_b64 exec, exec, s[18:19]
	v_lshrrev_b64 v[2:3], 21, v[2:3]
	v_cmp_gt_i32_e32 vcc, 32, v4
	v_cndmask_b32_e32 v3, 0, v3, vcc
	v_cndmask_b32_e32 v2, 3, v2, vcc
	v_cmp_ne_u64_e32 vcc, 0, v[2:3]
	v_cmp_ne_u32_e64 s[18:19], 0, v4
	s_or_b64 s[18:19], s[18:19], vcc
                                        ; implicit-def: $vgpr24
	s_and_saveexec_b64 s[92:93], s[18:19]
	s_xor_b64 s[18:19], exec, s[92:93]
; %bb.8042:                             ;   in Loop: Header=BB6_7336 Depth=2
	v_min_i32_e32 v3, 31, v4
	v_lshl_or_b32 v3, v3, 2, v29
	v_and_or_b32 v24, v2, 3, v3
                                        ; implicit-def: $vgpr29
; %bb.8043:                             ;   in Loop: Header=BB6_7336 Depth=2
	s_andn2_saveexec_b64 s[18:19], s[18:19]
; %bb.8044:                             ;   in Loop: Header=BB6_7336 Depth=2
	v_mov_b32_e32 v24, v29
; %bb.8045:                             ;   in Loop: Header=BB6_7336 Depth=2
	s_or_b64 exec, exec, s[18:19]
.LBB6_8046:                             ;   in Loop: Header=BB6_7336 Depth=2
	s_or_b64 exec, exec, s[90:91]
                                        ; implicit-def: $vgpr29
.LBB6_8047:                             ;   in Loop: Header=BB6_7336 Depth=2
	s_andn2_saveexec_b64 s[18:19], s[88:89]
; %bb.8048:                             ;   in Loop: Header=BB6_7336 Depth=2
	v_or_b32_e32 v24, 0x7b, v29
; %bb.8049:                             ;   in Loop: Header=BB6_7336 Depth=2
	s_or_b64 exec, exec, s[18:19]
                                        ; implicit-def: $vgpr2
.LBB6_8050:                             ;   in Loop: Header=BB6_7336 Depth=2
	s_andn2_saveexec_b64 s[18:19], s[78:79]
	s_cbranch_execz .LBB6_8056
; %bb.8051:                             ;   in Loop: Header=BB6_7336 Depth=2
	v_cmp_ne_u64_e32 vcc, 0, v[27:28]
                                        ; implicit-def: $vgpr24
	s_and_saveexec_b64 s[78:79], vcc
	s_xor_b64 s[78:79], exec, s[78:79]
; %bb.8052:                             ;   in Loop: Header=BB6_7336 Depth=2
	v_or_b32_sdwa v24, v2, s54 dst_sel:DWORD dst_unused:UNUSED_PAD src0_sel:BYTE_3 src1_sel:DWORD
                                        ; implicit-def: $vgpr2
; %bb.8053:                             ;   in Loop: Header=BB6_7336 Depth=2
	s_andn2_saveexec_b64 s[78:79], s[78:79]
; %bb.8054:                             ;   in Loop: Header=BB6_7336 Depth=2
	v_cmp_lt_i32_e32 vcc, -1, v2
	v_mov_b32_e32 v2, 0x7c
	v_cndmask_b32_e32 v24, -4, v2, vcc
; %bb.8055:                             ;   in Loop: Header=BB6_7336 Depth=2
	s_or_b64 exec, exec, s[78:79]
.LBB6_8056:                             ;   in Loop: Header=BB6_7336 Depth=2
	s_or_b64 exec, exec, s[18:19]
	v_cmp_ne_u16_e32 vcc, 0, v50
	v_mov_b32_e32 v2, 0
	v_mov_b32_e32 v3, 0
	s_and_saveexec_b64 s[18:19], vcc
	s_cbranch_execz .LBB6_8064
; %bb.8057:                             ;   in Loop: Header=BB6_7336 Depth=2
	v_cmp_ne_u16_e32 vcc, s49, v50
	v_bfrev_b32_e32 v3, 1
	s_and_saveexec_b64 s[78:79], vcc
	s_cbranch_execz .LBB6_8063
; %bb.8058:                             ;   in Loop: Header=BB6_7336 Depth=2
	v_and_b32_e32 v3, 0x7c, v50
	v_and_b32_e32 v4, 3, v50
	v_cmp_ne_u32_e32 vcc, s50, v3
                                        ; implicit-def: $vgpr3
	s_and_saveexec_b64 s[88:89], vcc
	s_xor_b64 s[88:89], exec, s[88:89]
	s_cbranch_execz .LBB6_8060
; %bb.8059:                             ;   in Loop: Header=BB6_7336 Depth=2
	v_ffbh_u32_e32 v27, v4
	v_min_u32_e32 v27, 32, v27
	v_and_b32_e32 v3, 0xff, v50
	v_mov_b32_e32 v51, v28
	v_subrev_u32_e32 v29, 29, v27
	v_bfe_u32 v3, v3, 2, 5
	v_lshlrev_b64 v[29:30], v29, v[50:51]
	v_sub_u32_e32 v27, 30, v27
	v_cmp_eq_u32_e32 vcc, 0, v3
	v_and_b32_e32 v29, 3, v29
	v_cndmask_b32_e32 v3, v3, v27, vcc
	v_and_b32_sdwa v27, sext(v50), s51 dst_sel:DWORD dst_unused:UNUSED_PAD src0_sel:WORD_0 src1_sel:DWORD
	v_cndmask_b32_e32 v4, v4, v29, vcc
	v_lshl_add_u32 v3, v3, 23, v27
	v_lshl_or_b32 v3, v4, 21, v3
	v_add_u32_e32 v3, 0x38000000, v3
                                        ; implicit-def: $vgpr4
                                        ; implicit-def: $vgpr50
.LBB6_8060:                             ;   in Loop: Header=BB6_7336 Depth=2
	s_andn2_saveexec_b64 s[88:89], s[88:89]
; %bb.8061:                             ;   in Loop: Header=BB6_7336 Depth=2
	v_cmp_lt_i16_e32 vcc, -1, v50
	v_mov_b32_e32 v3, 0xff800000
	v_mov_b32_e32 v27, 0x7f800000
	v_cndmask_b32_e32 v3, v3, v27, vcc
	v_cmp_eq_u32_e32 vcc, 0, v4
	v_mov_b32_e32 v4, 0x7f800001
	v_cndmask_b32_e32 v3, v4, v3, vcc
; %bb.8062:                             ;   in Loop: Header=BB6_7336 Depth=2
	s_or_b64 exec, exec, s[88:89]
.LBB6_8063:                             ;   in Loop: Header=BB6_7336 Depth=2
	s_or_b64 exec, exec, s[78:79]
.LBB6_8064:                             ;   in Loop: Header=BB6_7336 Depth=2
	s_or_b64 exec, exec, s[18:19]
	v_cmp_ne_u16_e32 vcc, 0, v49
	s_and_saveexec_b64 s[18:19], vcc
	s_cbranch_execz .LBB6_8072
; %bb.8065:                             ;   in Loop: Header=BB6_7336 Depth=2
	v_cmp_ne_u16_e32 vcc, s49, v49
	v_bfrev_b32_e32 v2, 1
	s_and_saveexec_b64 s[78:79], vcc
	s_cbranch_execz .LBB6_8071
; %bb.8066:                             ;   in Loop: Header=BB6_7336 Depth=2
	v_and_b32_e32 v2, 0x7c, v49
	v_and_b32_e32 v4, 3, v49
	v_cmp_ne_u32_e32 vcc, s50, v2
                                        ; implicit-def: $vgpr2
	s_and_saveexec_b64 s[88:89], vcc
	s_xor_b64 s[88:89], exec, s[88:89]
	s_cbranch_execz .LBB6_8068
; %bb.8067:                             ;   in Loop: Header=BB6_7336 Depth=2
	v_ffbh_u32_e32 v27, v4
	v_min_u32_e32 v27, 32, v27
	v_and_b32_e32 v2, 0xff, v49
	v_mov_b32_e32 v50, v28
	v_subrev_u32_e32 v29, 29, v27
	v_bfe_u32 v2, v2, 2, 5
	v_lshlrev_b64 v[29:30], v29, v[49:50]
	v_sub_u32_e32 v27, 30, v27
	v_cmp_eq_u32_e32 vcc, 0, v2
	v_and_b32_e32 v29, 3, v29
	v_cndmask_b32_e32 v2, v2, v27, vcc
	v_and_b32_sdwa v27, sext(v49), s51 dst_sel:DWORD dst_unused:UNUSED_PAD src0_sel:WORD_0 src1_sel:DWORD
	v_cndmask_b32_e32 v4, v4, v29, vcc
	v_lshl_add_u32 v2, v2, 23, v27
	v_lshl_or_b32 v2, v4, 21, v2
	v_add_u32_e32 v2, 0x38000000, v2
                                        ; implicit-def: $vgpr4
                                        ; implicit-def: $vgpr49
.LBB6_8068:                             ;   in Loop: Header=BB6_7336 Depth=2
	s_andn2_saveexec_b64 s[88:89], s[88:89]
; %bb.8069:                             ;   in Loop: Header=BB6_7336 Depth=2
	v_cmp_lt_i16_e32 vcc, -1, v49
	v_mov_b32_e32 v2, 0xff800000
	v_mov_b32_e32 v27, 0x7f800000
	v_cndmask_b32_e32 v2, v2, v27, vcc
	v_cmp_eq_u32_e32 vcc, 0, v4
	v_mov_b32_e32 v4, 0x7f800001
	v_cndmask_b32_e32 v2, v4, v2, vcc
; %bb.8070:                             ;   in Loop: Header=BB6_7336 Depth=2
	s_or_b64 exec, exec, s[88:89]
.LBB6_8071:                             ;   in Loop: Header=BB6_7336 Depth=2
	s_or_b64 exec, exec, s[78:79]
.LBB6_8072:                             ;   in Loop: Header=BB6_7336 Depth=2
	s_or_b64 exec, exec, s[18:19]
	v_mul_f32_e32 v2, v3, v2
	v_and_b32_e32 v3, 0x7f800000, v2
	v_mov_b32_e32 v4, v28
	v_cmp_ne_u64_e32 vcc, s[58:59], v[3:4]
	v_and_b32_e32 v27, 0x7fffff, v2
                                        ; implicit-def: $vgpr29
	s_and_saveexec_b64 s[18:19], vcc
	s_xor_b64 s[78:79], exec, s[18:19]
	s_cbranch_execz .LBB6_8090
; %bb.8073:                             ;   in Loop: Header=BB6_7336 Depth=2
	v_and_b32_e32 v3, 0x7fffffff, v2
	v_mov_b32_e32 v4, v28
	v_cmp_gt_u64_e32 vcc, s[60:61], v[3:4]
	v_and_b32_sdwa v30, v2, s52 dst_sel:DWORD dst_unused:UNUSED_PAD src0_sel:BYTE_3 src1_sel:DWORD
                                        ; implicit-def: $vgpr29
	s_and_saveexec_b64 s[18:19], vcc
	s_xor_b64 s[88:89], exec, s[18:19]
	s_cbranch_execz .LBB6_8087
; %bb.8074:                             ;   in Loop: Header=BB6_7336 Depth=2
	v_cmp_ne_u32_e32 vcc, 0, v2
	v_mov_b32_e32 v29, 0
	s_and_saveexec_b64 s[90:91], vcc
	s_cbranch_execz .LBB6_8086
; %bb.8075:                             ;   in Loop: Header=BB6_7336 Depth=2
	v_bfe_u32 v29, v2, 23, 8
	v_cmp_gt_u32_e64 s[18:19], s53, v29
	v_sub_u32_e32 v2, 0x71, v29
	v_cmp_eq_u32_e32 vcc, 0, v29
	v_cndmask_b32_e64 v2, 0, v2, s[18:19]
	v_mov_b32_e32 v4, 0x70
	v_cndmask_b32_e32 v39, v2, v4, vcc
	v_add_u32_e32 v4, 21, v39
	v_or_b32_e32 v3, 0x800000, v27
	s_waitcnt vmcnt(0)
	v_lshlrev_b64 v[32:33], v4, -1
	v_cndmask_b32_e32 v2, v3, v27, vcc
	v_mov_b32_e32 v3, v28
	v_add_u32_e32 v4, 20, v39
	v_bfi_b32 v32, v32, 0, v2
	v_lshlrev_b64 v[49:50], v4, 1
	v_lshrrev_b64 v[2:3], v39, v[2:3]
	v_bfi_b32 v33, v33, 0, 0
	v_cmp_eq_u64_e64 s[18:19], v[32:33], v[49:50]
	v_mov_b32_e32 v4, v3
	v_mov_b32_e32 v3, v2
	s_and_saveexec_b64 s[92:93], s[18:19]
; %bb.8076:                             ;   in Loop: Header=BB6_7336 Depth=2
	v_bfe_u32 v3, v2, 21, 1
	v_add_co_u32_e64 v3, s[18:19], v2, v3
	v_add_co_u32_e64 v3, s[18:19], -1, v3
; %bb.8077:                             ;   in Loop: Header=BB6_7336 Depth=2
	s_or_b64 exec, exec, s[92:93]
	v_add_u32_e32 v4, 0xffffff81, v29
	v_mov_b32_e32 v27, 0xffffff82
	v_cndmask_b32_e32 v4, v4, v27, vcc
	v_lshrrev_b32_e32 v27, 23, v2
	v_add3_u32 v39, v39, v4, v27
	v_add_u32_e32 v29, 14, v39
	v_and_b32_e32 v3, 0x1fffff, v3
	v_add_u32_e32 v27, v3, v2
	v_cmp_ne_u32_e32 vcc, 0, v29
                                        ; implicit-def: $vgpr2_vgpr3
                                        ; implicit-def: $vgpr4
	s_and_saveexec_b64 s[18:19], vcc
	s_xor_b64 s[18:19], exec, s[18:19]
; %bb.8078:                             ;   in Loop: Header=BB6_7336 Depth=2
	v_cmp_lt_u64_e32 vcc, s[62:63], v[27:28]
	v_add_u32_e32 v2, 15, v39
	v_cndmask_b32_e32 v4, v29, v2, vcc
	v_cndmask_b32_e64 v2, 0, 1, vcc
	v_lshrrev_b64 v[2:3], v2, v[27:28]
; %bb.8079:                             ;   in Loop: Header=BB6_7336 Depth=2
	s_or_saveexec_b64 s[18:19], s[18:19]
	buffer_load_dword v32, off, s[0:3], s33 offset:76 ; 4-byte Folded Reload
	buffer_load_dword v33, off, s[0:3], s33 offset:80 ; 4-byte Folded Reload
	s_xor_b64 exec, exec, s[18:19]
; %bb.8080:                             ;   in Loop: Header=BB6_7336 Depth=2
	v_mov_b32_e32 v2, v27
	v_mov_b32_e32 v3, v28
	v_bfe_u32 v4, v27, 23, 1
; %bb.8081:                             ;   in Loop: Header=BB6_7336 Depth=2
	s_or_b64 exec, exec, s[18:19]
	v_lshrrev_b64 v[2:3], 21, v[2:3]
	v_cmp_gt_i32_e32 vcc, 32, v4
	v_cndmask_b32_e32 v3, 0, v3, vcc
	v_cndmask_b32_e32 v2, 3, v2, vcc
	v_cmp_ne_u64_e32 vcc, 0, v[2:3]
	v_cmp_ne_u32_e64 s[18:19], 0, v4
	s_or_b64 s[18:19], s[18:19], vcc
                                        ; implicit-def: $vgpr29
	s_and_saveexec_b64 s[92:93], s[18:19]
	s_xor_b64 s[18:19], exec, s[92:93]
; %bb.8082:                             ;   in Loop: Header=BB6_7336 Depth=2
	v_min_i32_e32 v3, 31, v4
	v_lshl_or_b32 v3, v3, 2, v30
	v_and_or_b32 v29, v2, 3, v3
                                        ; implicit-def: $vgpr30
; %bb.8083:                             ;   in Loop: Header=BB6_7336 Depth=2
	s_andn2_saveexec_b64 s[18:19], s[18:19]
; %bb.8084:                             ;   in Loop: Header=BB6_7336 Depth=2
	v_mov_b32_e32 v29, v30
; %bb.8085:                             ;   in Loop: Header=BB6_7336 Depth=2
	s_or_b64 exec, exec, s[18:19]
.LBB6_8086:                             ;   in Loop: Header=BB6_7336 Depth=2
	s_or_b64 exec, exec, s[90:91]
                                        ; implicit-def: $vgpr30
.LBB6_8087:                             ;   in Loop: Header=BB6_7336 Depth=2
	s_andn2_saveexec_b64 s[18:19], s[88:89]
; %bb.8088:                             ;   in Loop: Header=BB6_7336 Depth=2
	v_or_b32_e32 v29, 0x7b, v30
; %bb.8089:                             ;   in Loop: Header=BB6_7336 Depth=2
	s_or_b64 exec, exec, s[18:19]
                                        ; implicit-def: $vgpr2
.LBB6_8090:                             ;   in Loop: Header=BB6_7336 Depth=2
	s_andn2_saveexec_b64 s[18:19], s[78:79]
	s_cbranch_execz .LBB6_8096
; %bb.8091:                             ;   in Loop: Header=BB6_7336 Depth=2
	v_cmp_ne_u64_e32 vcc, 0, v[27:28]
                                        ; implicit-def: $vgpr29
	s_and_saveexec_b64 s[78:79], vcc
	s_xor_b64 s[78:79], exec, s[78:79]
; %bb.8092:                             ;   in Loop: Header=BB6_7336 Depth=2
	v_or_b32_sdwa v29, v2, s54 dst_sel:DWORD dst_unused:UNUSED_PAD src0_sel:BYTE_3 src1_sel:DWORD
                                        ; implicit-def: $vgpr2
; %bb.8093:                             ;   in Loop: Header=BB6_7336 Depth=2
	s_andn2_saveexec_b64 s[78:79], s[78:79]
; %bb.8094:                             ;   in Loop: Header=BB6_7336 Depth=2
	v_cmp_lt_i32_e32 vcc, -1, v2
	v_mov_b32_e32 v2, 0x7c
	v_cndmask_b32_e32 v29, -4, v2, vcc
; %bb.8095:                             ;   in Loop: Header=BB6_7336 Depth=2
	s_or_b64 exec, exec, s[78:79]
.LBB6_8096:                             ;   in Loop: Header=BB6_7336 Depth=2
	s_or_b64 exec, exec, s[18:19]
	v_cmp_ne_u16_e32 vcc, 0, v48
	v_mov_b32_e32 v2, 0
	v_mov_b32_e32 v3, 0
	s_and_saveexec_b64 s[18:19], vcc
	s_cbranch_execz .LBB6_8104
; %bb.8097:                             ;   in Loop: Header=BB6_7336 Depth=2
	v_cmp_ne_u16_e32 vcc, s49, v48
	v_bfrev_b32_e32 v3, 1
	s_and_saveexec_b64 s[78:79], vcc
	s_cbranch_execz .LBB6_8103
; %bb.8098:                             ;   in Loop: Header=BB6_7336 Depth=2
	v_and_b32_e32 v3, 0x7c, v48
	v_and_b32_e32 v4, 3, v48
	v_cmp_ne_u32_e32 vcc, s50, v3
                                        ; implicit-def: $vgpr3
	s_and_saveexec_b64 s[88:89], vcc
	s_xor_b64 s[88:89], exec, s[88:89]
	s_cbranch_execz .LBB6_8100
; %bb.8099:                             ;   in Loop: Header=BB6_7336 Depth=2
	v_ffbh_u32_e32 v27, v4
	v_min_u32_e32 v27, 32, v27
	v_mov_b32_e32 v49, v28
	v_subrev_u32_e32 v30, 29, v27
	s_waitcnt vmcnt(0)
	v_lshlrev_b64 v[32:33], v30, v[48:49]
	v_and_b32_e32 v3, 0xff, v48
	v_and_b32_e32 v30, 3, v32
	buffer_load_dword v32, off, s[0:3], s33 offset:76 ; 4-byte Folded Reload
	buffer_load_dword v33, off, s[0:3], s33 offset:80 ; 4-byte Folded Reload
	v_bfe_u32 v3, v3, 2, 5
	v_sub_u32_e32 v27, 30, v27
	v_cmp_eq_u32_e32 vcc, 0, v3
	v_cndmask_b32_e32 v3, v3, v27, vcc
	v_and_b32_sdwa v27, sext(v48), s51 dst_sel:DWORD dst_unused:UNUSED_PAD src0_sel:WORD_0 src1_sel:DWORD
	v_cndmask_b32_e32 v4, v4, v30, vcc
	v_lshl_add_u32 v3, v3, 23, v27
	v_lshl_or_b32 v3, v4, 21, v3
	v_add_u32_e32 v3, 0x38000000, v3
                                        ; implicit-def: $vgpr4
                                        ; implicit-def: $vgpr48
.LBB6_8100:                             ;   in Loop: Header=BB6_7336 Depth=2
	s_andn2_saveexec_b64 s[88:89], s[88:89]
; %bb.8101:                             ;   in Loop: Header=BB6_7336 Depth=2
	v_cmp_lt_i16_e32 vcc, -1, v48
	v_mov_b32_e32 v3, 0xff800000
	v_mov_b32_e32 v27, 0x7f800000
	v_cndmask_b32_e32 v3, v3, v27, vcc
	v_cmp_eq_u32_e32 vcc, 0, v4
	v_mov_b32_e32 v4, 0x7f800001
	v_cndmask_b32_e32 v3, v4, v3, vcc
; %bb.8102:                             ;   in Loop: Header=BB6_7336 Depth=2
	s_or_b64 exec, exec, s[88:89]
.LBB6_8103:                             ;   in Loop: Header=BB6_7336 Depth=2
	s_or_b64 exec, exec, s[78:79]
.LBB6_8104:                             ;   in Loop: Header=BB6_7336 Depth=2
	s_or_b64 exec, exec, s[18:19]
	v_cmp_ne_u16_e32 vcc, 0, v38
	s_and_saveexec_b64 s[18:19], vcc
	s_cbranch_execz .LBB6_8112
; %bb.8105:                             ;   in Loop: Header=BB6_7336 Depth=2
	v_cmp_ne_u16_e32 vcc, s49, v38
	v_bfrev_b32_e32 v2, 1
	s_and_saveexec_b64 s[78:79], vcc
	s_cbranch_execz .LBB6_8111
; %bb.8106:                             ;   in Loop: Header=BB6_7336 Depth=2
	v_and_b32_e32 v2, 0x7c, v38
	v_and_b32_e32 v4, 3, v38
	v_cmp_ne_u32_e32 vcc, s50, v2
                                        ; implicit-def: $vgpr2
	s_and_saveexec_b64 s[88:89], vcc
	s_xor_b64 s[88:89], exec, s[88:89]
	s_cbranch_execz .LBB6_8108
; %bb.8107:                             ;   in Loop: Header=BB6_7336 Depth=2
	v_ffbh_u32_e32 v27, v4
	v_min_u32_e32 v27, 32, v27
	v_mov_b32_e32 v39, v28
	v_subrev_u32_e32 v30, 29, v27
	s_waitcnt vmcnt(0)
	v_lshlrev_b64 v[32:33], v30, v[38:39]
	v_and_b32_e32 v2, 0xff, v38
	v_and_b32_e32 v30, 3, v32
	buffer_load_dword v32, off, s[0:3], s33 offset:76 ; 4-byte Folded Reload
	buffer_load_dword v33, off, s[0:3], s33 offset:80 ; 4-byte Folded Reload
	v_bfe_u32 v2, v2, 2, 5
	v_sub_u32_e32 v27, 30, v27
	v_cmp_eq_u32_e32 vcc, 0, v2
	v_cndmask_b32_e32 v2, v2, v27, vcc
	v_and_b32_sdwa v27, sext(v38), s51 dst_sel:DWORD dst_unused:UNUSED_PAD src0_sel:WORD_0 src1_sel:DWORD
	v_cndmask_b32_e32 v4, v4, v30, vcc
	v_lshl_add_u32 v2, v2, 23, v27
	v_lshl_or_b32 v2, v4, 21, v2
	v_add_u32_e32 v2, 0x38000000, v2
                                        ; implicit-def: $vgpr4
                                        ; implicit-def: $vgpr38
.LBB6_8108:                             ;   in Loop: Header=BB6_7336 Depth=2
	s_andn2_saveexec_b64 s[88:89], s[88:89]
; %bb.8109:                             ;   in Loop: Header=BB6_7336 Depth=2
	v_cmp_lt_i16_e32 vcc, -1, v38
	v_mov_b32_e32 v2, 0xff800000
	v_mov_b32_e32 v27, 0x7f800000
	v_cndmask_b32_e32 v2, v2, v27, vcc
	v_cmp_eq_u32_e32 vcc, 0, v4
	v_mov_b32_e32 v4, 0x7f800001
	v_cndmask_b32_e32 v2, v4, v2, vcc
; %bb.8110:                             ;   in Loop: Header=BB6_7336 Depth=2
	s_or_b64 exec, exec, s[88:89]
.LBB6_8111:                             ;   in Loop: Header=BB6_7336 Depth=2
	s_or_b64 exec, exec, s[78:79]
.LBB6_8112:                             ;   in Loop: Header=BB6_7336 Depth=2
	s_or_b64 exec, exec, s[18:19]
	v_mul_f32_e32 v2, v3, v2
	v_and_b32_e32 v3, 0x7f800000, v2
	v_mov_b32_e32 v4, v28
	v_cmp_ne_u64_e32 vcc, s[58:59], v[3:4]
	v_and_b32_e32 v27, 0x7fffff, v2
                                        ; implicit-def: $vgpr30
	s_and_saveexec_b64 s[18:19], vcc
	s_xor_b64 s[78:79], exec, s[18:19]
	s_cbranch_execz .LBB6_8130
; %bb.8113:                             ;   in Loop: Header=BB6_7336 Depth=2
	v_and_b32_e32 v3, 0x7fffffff, v2
	v_mov_b32_e32 v4, v28
	v_cmp_gt_u64_e32 vcc, s[60:61], v[3:4]
	v_and_b32_sdwa v38, v2, s52 dst_sel:DWORD dst_unused:UNUSED_PAD src0_sel:BYTE_3 src1_sel:DWORD
                                        ; implicit-def: $vgpr30
	s_and_saveexec_b64 s[18:19], vcc
	s_xor_b64 s[88:89], exec, s[18:19]
	s_cbranch_execz .LBB6_8127
; %bb.8114:                             ;   in Loop: Header=BB6_7336 Depth=2
	v_cmp_ne_u32_e32 vcc, 0, v2
	v_mov_b32_e32 v30, 0
	s_and_saveexec_b64 s[90:91], vcc
	s_cbranch_execz .LBB6_8126
; %bb.8115:                             ;   in Loop: Header=BB6_7336 Depth=2
	v_bfe_u32 v30, v2, 23, 8
	v_cmp_gt_u32_e64 s[18:19], s53, v30
	v_sub_u32_e32 v2, 0x71, v30
	v_cmp_eq_u32_e32 vcc, 0, v30
	v_cndmask_b32_e64 v2, 0, v2, s[18:19]
	v_mov_b32_e32 v4, 0x70
	v_cndmask_b32_e32 v39, v2, v4, vcc
	v_add_u32_e32 v4, 21, v39
	v_or_b32_e32 v3, 0x800000, v27
	s_waitcnt vmcnt(0)
	v_lshlrev_b64 v[32:33], v4, -1
	v_cndmask_b32_e32 v2, v3, v27, vcc
	v_mov_b32_e32 v3, v28
	v_add_u32_e32 v4, 20, v39
	v_bfi_b32 v32, v32, 0, v2
	v_lshlrev_b64 v[48:49], v4, 1
	v_lshrrev_b64 v[2:3], v39, v[2:3]
	v_bfi_b32 v33, v33, 0, 0
	v_cmp_eq_u64_e64 s[18:19], v[32:33], v[48:49]
	v_mov_b32_e32 v4, v3
	v_mov_b32_e32 v3, v2
	s_and_saveexec_b64 s[92:93], s[18:19]
; %bb.8116:                             ;   in Loop: Header=BB6_7336 Depth=2
	v_bfe_u32 v3, v2, 21, 1
	v_add_co_u32_e64 v3, s[18:19], v2, v3
	v_add_co_u32_e64 v3, s[18:19], -1, v3
; %bb.8117:                             ;   in Loop: Header=BB6_7336 Depth=2
	s_or_b64 exec, exec, s[92:93]
	v_add_u32_e32 v4, 0xffffff81, v30
	v_mov_b32_e32 v27, 0xffffff82
	v_cndmask_b32_e32 v4, v4, v27, vcc
	v_lshrrev_b32_e32 v27, 23, v2
	v_add3_u32 v39, v39, v4, v27
	v_add_u32_e32 v30, 14, v39
	v_and_b32_e32 v3, 0x1fffff, v3
	v_add_u32_e32 v27, v3, v2
	v_cmp_ne_u32_e32 vcc, 0, v30
                                        ; implicit-def: $vgpr2_vgpr3
                                        ; implicit-def: $vgpr4
	s_and_saveexec_b64 s[18:19], vcc
	s_xor_b64 s[18:19], exec, s[18:19]
; %bb.8118:                             ;   in Loop: Header=BB6_7336 Depth=2
	v_cmp_lt_u64_e32 vcc, s[62:63], v[27:28]
	v_add_u32_e32 v2, 15, v39
	v_cndmask_b32_e32 v4, v30, v2, vcc
	v_cndmask_b32_e64 v2, 0, 1, vcc
	v_lshrrev_b64 v[2:3], v2, v[27:28]
; %bb.8119:                             ;   in Loop: Header=BB6_7336 Depth=2
	s_or_saveexec_b64 s[18:19], s[18:19]
	buffer_load_dword v32, off, s[0:3], s33 offset:76 ; 4-byte Folded Reload
	buffer_load_dword v33, off, s[0:3], s33 offset:80 ; 4-byte Folded Reload
	s_xor_b64 exec, exec, s[18:19]
; %bb.8120:                             ;   in Loop: Header=BB6_7336 Depth=2
	v_mov_b32_e32 v2, v27
	v_mov_b32_e32 v3, v28
	v_bfe_u32 v4, v27, 23, 1
; %bb.8121:                             ;   in Loop: Header=BB6_7336 Depth=2
	s_or_b64 exec, exec, s[18:19]
	v_lshrrev_b64 v[2:3], 21, v[2:3]
	v_cmp_gt_i32_e32 vcc, 32, v4
	v_cndmask_b32_e32 v3, 0, v3, vcc
	v_cndmask_b32_e32 v2, 3, v2, vcc
	v_cmp_ne_u64_e32 vcc, 0, v[2:3]
	v_cmp_ne_u32_e64 s[18:19], 0, v4
	s_or_b64 s[18:19], s[18:19], vcc
                                        ; implicit-def: $vgpr30
	s_and_saveexec_b64 s[92:93], s[18:19]
	s_xor_b64 s[18:19], exec, s[92:93]
; %bb.8122:                             ;   in Loop: Header=BB6_7336 Depth=2
	v_min_i32_e32 v3, 31, v4
	v_lshl_or_b32 v3, v3, 2, v38
	v_and_or_b32 v30, v2, 3, v3
                                        ; implicit-def: $vgpr38
; %bb.8123:                             ;   in Loop: Header=BB6_7336 Depth=2
	s_andn2_saveexec_b64 s[18:19], s[18:19]
; %bb.8124:                             ;   in Loop: Header=BB6_7336 Depth=2
	v_mov_b32_e32 v30, v38
; %bb.8125:                             ;   in Loop: Header=BB6_7336 Depth=2
	s_or_b64 exec, exec, s[18:19]
.LBB6_8126:                             ;   in Loop: Header=BB6_7336 Depth=2
	s_or_b64 exec, exec, s[90:91]
                                        ; implicit-def: $vgpr38
.LBB6_8127:                             ;   in Loop: Header=BB6_7336 Depth=2
	s_andn2_saveexec_b64 s[18:19], s[88:89]
; %bb.8128:                             ;   in Loop: Header=BB6_7336 Depth=2
	v_or_b32_e32 v30, 0x7b, v38
; %bb.8129:                             ;   in Loop: Header=BB6_7336 Depth=2
	s_or_b64 exec, exec, s[18:19]
                                        ; implicit-def: $vgpr2
.LBB6_8130:                             ;   in Loop: Header=BB6_7336 Depth=2
	s_andn2_saveexec_b64 s[18:19], s[78:79]
	s_cbranch_execz .LBB6_8136
; %bb.8131:                             ;   in Loop: Header=BB6_7336 Depth=2
	v_cmp_ne_u64_e32 vcc, 0, v[27:28]
                                        ; implicit-def: $vgpr30
	s_and_saveexec_b64 s[78:79], vcc
	s_xor_b64 s[78:79], exec, s[78:79]
; %bb.8132:                             ;   in Loop: Header=BB6_7336 Depth=2
	v_or_b32_sdwa v30, v2, s54 dst_sel:DWORD dst_unused:UNUSED_PAD src0_sel:BYTE_3 src1_sel:DWORD
                                        ; implicit-def: $vgpr2
; %bb.8133:                             ;   in Loop: Header=BB6_7336 Depth=2
	s_andn2_saveexec_b64 s[78:79], s[78:79]
; %bb.8134:                             ;   in Loop: Header=BB6_7336 Depth=2
	v_cmp_lt_i32_e32 vcc, -1, v2
	v_mov_b32_e32 v2, 0x7c
	v_cndmask_b32_e32 v30, -4, v2, vcc
; %bb.8135:                             ;   in Loop: Header=BB6_7336 Depth=2
	s_or_b64 exec, exec, s[78:79]
.LBB6_8136:                             ;   in Loop: Header=BB6_7336 Depth=2
	s_or_b64 exec, exec, s[18:19]
	v_cmp_ne_u16_e32 vcc, 0, v37
	v_mov_b32_e32 v2, 0
	v_mov_b32_e32 v3, 0
	s_and_saveexec_b64 s[18:19], vcc
	s_cbranch_execz .LBB6_8144
; %bb.8137:                             ;   in Loop: Header=BB6_7336 Depth=2
	v_cmp_ne_u16_e32 vcc, s49, v37
	v_bfrev_b32_e32 v3, 1
	s_and_saveexec_b64 s[78:79], vcc
	s_cbranch_execz .LBB6_8143
; %bb.8138:                             ;   in Loop: Header=BB6_7336 Depth=2
	v_and_b32_e32 v3, 0x7c, v37
	v_and_b32_e32 v4, 3, v37
	v_cmp_ne_u32_e32 vcc, s50, v3
                                        ; implicit-def: $vgpr3
	s_and_saveexec_b64 s[88:89], vcc
	s_xor_b64 s[88:89], exec, s[88:89]
	s_cbranch_execz .LBB6_8140
; %bb.8139:                             ;   in Loop: Header=BB6_7336 Depth=2
	v_ffbh_u32_e32 v27, v4
	v_min_u32_e32 v27, 32, v27
	v_mov_b32_e32 v38, v28
	s_waitcnt vmcnt(1)
	v_subrev_u32_e32 v32, 29, v27
	v_and_b32_e32 v3, 0xff, v37
	s_waitcnt vmcnt(0)
	v_lshlrev_b64 v[32:33], v32, v[37:38]
	v_bfe_u32 v3, v3, 2, 5
	v_and_b32_e32 v32, 3, v32
	v_cmp_eq_u32_e32 vcc, 0, v3
	v_cndmask_b32_e32 v4, v4, v32, vcc
	buffer_load_dword v32, off, s[0:3], s33 offset:76 ; 4-byte Folded Reload
	buffer_load_dword v33, off, s[0:3], s33 offset:80 ; 4-byte Folded Reload
	v_sub_u32_e32 v27, 30, v27
	v_cndmask_b32_e32 v3, v3, v27, vcc
	v_and_b32_sdwa v27, sext(v37), s51 dst_sel:DWORD dst_unused:UNUSED_PAD src0_sel:WORD_0 src1_sel:DWORD
	v_lshl_add_u32 v3, v3, 23, v27
	v_lshl_or_b32 v3, v4, 21, v3
	v_add_u32_e32 v3, 0x38000000, v3
                                        ; implicit-def: $vgpr4
                                        ; implicit-def: $vgpr37
.LBB6_8140:                             ;   in Loop: Header=BB6_7336 Depth=2
	s_andn2_saveexec_b64 s[88:89], s[88:89]
; %bb.8141:                             ;   in Loop: Header=BB6_7336 Depth=2
	v_cmp_lt_i16_e32 vcc, -1, v37
	v_mov_b32_e32 v3, 0xff800000
	v_mov_b32_e32 v27, 0x7f800000
	v_cndmask_b32_e32 v3, v3, v27, vcc
	v_cmp_eq_u32_e32 vcc, 0, v4
	v_mov_b32_e32 v4, 0x7f800001
	v_cndmask_b32_e32 v3, v4, v3, vcc
; %bb.8142:                             ;   in Loop: Header=BB6_7336 Depth=2
	s_or_b64 exec, exec, s[88:89]
.LBB6_8143:                             ;   in Loop: Header=BB6_7336 Depth=2
	s_or_b64 exec, exec, s[78:79]
.LBB6_8144:                             ;   in Loop: Header=BB6_7336 Depth=2
	s_or_b64 exec, exec, s[18:19]
	v_cmp_ne_u16_e32 vcc, 0, v36
	s_and_saveexec_b64 s[18:19], vcc
	s_cbranch_execz .LBB6_8152
; %bb.8145:                             ;   in Loop: Header=BB6_7336 Depth=2
	v_cmp_ne_u16_e32 vcc, s49, v36
	v_bfrev_b32_e32 v2, 1
	s_and_saveexec_b64 s[78:79], vcc
	s_cbranch_execz .LBB6_8151
; %bb.8146:                             ;   in Loop: Header=BB6_7336 Depth=2
	v_and_b32_e32 v2, 0x7c, v36
	v_and_b32_e32 v4, 3, v36
	v_cmp_ne_u32_e32 vcc, s50, v2
                                        ; implicit-def: $vgpr2
	s_and_saveexec_b64 s[88:89], vcc
	s_xor_b64 s[88:89], exec, s[88:89]
	s_cbranch_execz .LBB6_8148
; %bb.8147:                             ;   in Loop: Header=BB6_7336 Depth=2
	v_ffbh_u32_e32 v27, v4
	v_min_u32_e32 v27, 32, v27
	v_mov_b32_e32 v37, v28
	s_waitcnt vmcnt(1)
	v_subrev_u32_e32 v32, 29, v27
	v_and_b32_e32 v2, 0xff, v36
	s_waitcnt vmcnt(0)
	v_lshlrev_b64 v[32:33], v32, v[36:37]
	v_bfe_u32 v2, v2, 2, 5
	v_and_b32_e32 v32, 3, v32
	v_cmp_eq_u32_e32 vcc, 0, v2
	v_cndmask_b32_e32 v4, v4, v32, vcc
	buffer_load_dword v32, off, s[0:3], s33 offset:76 ; 4-byte Folded Reload
	buffer_load_dword v33, off, s[0:3], s33 offset:80 ; 4-byte Folded Reload
	v_sub_u32_e32 v27, 30, v27
	v_cndmask_b32_e32 v2, v2, v27, vcc
	v_and_b32_sdwa v27, sext(v36), s51 dst_sel:DWORD dst_unused:UNUSED_PAD src0_sel:WORD_0 src1_sel:DWORD
	v_lshl_add_u32 v2, v2, 23, v27
	v_lshl_or_b32 v2, v4, 21, v2
	v_add_u32_e32 v2, 0x38000000, v2
                                        ; implicit-def: $vgpr4
                                        ; implicit-def: $vgpr36
.LBB6_8148:                             ;   in Loop: Header=BB6_7336 Depth=2
	s_andn2_saveexec_b64 s[88:89], s[88:89]
; %bb.8149:                             ;   in Loop: Header=BB6_7336 Depth=2
	v_cmp_lt_i16_e32 vcc, -1, v36
	v_mov_b32_e32 v2, 0xff800000
	v_mov_b32_e32 v27, 0x7f800000
	v_cndmask_b32_e32 v2, v2, v27, vcc
	v_cmp_eq_u32_e32 vcc, 0, v4
	v_mov_b32_e32 v4, 0x7f800001
	v_cndmask_b32_e32 v2, v4, v2, vcc
; %bb.8150:                             ;   in Loop: Header=BB6_7336 Depth=2
	s_or_b64 exec, exec, s[88:89]
.LBB6_8151:                             ;   in Loop: Header=BB6_7336 Depth=2
	s_or_b64 exec, exec, s[78:79]
.LBB6_8152:                             ;   in Loop: Header=BB6_7336 Depth=2
	s_or_b64 exec, exec, s[18:19]
	v_mul_f32_e32 v2, v3, v2
	v_and_b32_e32 v3, 0x7f800000, v2
	v_mov_b32_e32 v4, v28
	v_cmp_ne_u64_e32 vcc, s[58:59], v[3:4]
	v_and_b32_e32 v27, 0x7fffff, v2
                                        ; implicit-def: $vgpr37
	s_and_saveexec_b64 s[18:19], vcc
	s_xor_b64 s[78:79], exec, s[18:19]
	s_cbranch_execz .LBB6_8170
; %bb.8153:                             ;   in Loop: Header=BB6_7336 Depth=2
	v_and_b32_e32 v3, 0x7fffffff, v2
	v_mov_b32_e32 v4, v28
	v_cmp_gt_u64_e32 vcc, s[60:61], v[3:4]
	v_and_b32_sdwa v36, v2, s52 dst_sel:DWORD dst_unused:UNUSED_PAD src0_sel:BYTE_3 src1_sel:DWORD
                                        ; implicit-def: $vgpr37
	s_and_saveexec_b64 s[18:19], vcc
	s_xor_b64 s[88:89], exec, s[18:19]
	s_cbranch_execz .LBB6_8167
; %bb.8154:                             ;   in Loop: Header=BB6_7336 Depth=2
	v_cmp_ne_u32_e32 vcc, 0, v2
	v_mov_b32_e32 v37, 0
	s_and_saveexec_b64 s[90:91], vcc
	s_cbranch_execz .LBB6_8166
; %bb.8155:                             ;   in Loop: Header=BB6_7336 Depth=2
	v_bfe_u32 v37, v2, 23, 8
	v_cmp_gt_u32_e64 s[18:19], s53, v37
	v_sub_u32_e32 v2, 0x71, v37
	v_cmp_eq_u32_e32 vcc, 0, v37
	v_cndmask_b32_e64 v2, 0, v2, s[18:19]
	v_mov_b32_e32 v4, 0x70
	v_cndmask_b32_e32 v38, v2, v4, vcc
	v_add_u32_e32 v4, 21, v38
	v_or_b32_e32 v3, 0x800000, v27
	s_waitcnt vmcnt(0)
	v_lshlrev_b64 v[32:33], v4, -1
	v_cndmask_b32_e32 v2, v3, v27, vcc
	v_mov_b32_e32 v3, v28
	v_add_u32_e32 v4, 20, v38
	v_bfi_b32 v32, v32, 0, v2
	v_lshlrev_b64 v[48:49], v4, 1
	v_lshrrev_b64 v[2:3], v38, v[2:3]
	v_bfi_b32 v33, v33, 0, 0
	v_cmp_eq_u64_e64 s[18:19], v[32:33], v[48:49]
	v_mov_b32_e32 v4, v3
	v_mov_b32_e32 v3, v2
	s_and_saveexec_b64 s[92:93], s[18:19]
; %bb.8156:                             ;   in Loop: Header=BB6_7336 Depth=2
	v_bfe_u32 v3, v2, 21, 1
	v_add_co_u32_e64 v3, s[18:19], v2, v3
	v_add_co_u32_e64 v3, s[18:19], -1, v3
; %bb.8157:                             ;   in Loop: Header=BB6_7336 Depth=2
	s_or_b64 exec, exec, s[92:93]
	v_add_u32_e32 v4, 0xffffff81, v37
	v_mov_b32_e32 v27, 0xffffff82
	v_cndmask_b32_e32 v4, v4, v27, vcc
	v_lshrrev_b32_e32 v27, 23, v2
	v_add3_u32 v38, v38, v4, v27
	v_add_u32_e32 v37, 14, v38
	v_and_b32_e32 v3, 0x1fffff, v3
	v_add_u32_e32 v27, v3, v2
	v_cmp_ne_u32_e32 vcc, 0, v37
                                        ; implicit-def: $vgpr2_vgpr3
                                        ; implicit-def: $vgpr4
	s_and_saveexec_b64 s[18:19], vcc
	s_xor_b64 s[18:19], exec, s[18:19]
; %bb.8158:                             ;   in Loop: Header=BB6_7336 Depth=2
	v_cmp_lt_u64_e32 vcc, s[62:63], v[27:28]
	v_add_u32_e32 v2, 15, v38
	v_cndmask_b32_e32 v4, v37, v2, vcc
	v_cndmask_b32_e64 v2, 0, 1, vcc
	v_lshrrev_b64 v[2:3], v2, v[27:28]
; %bb.8159:                             ;   in Loop: Header=BB6_7336 Depth=2
	s_or_saveexec_b64 s[18:19], s[18:19]
	buffer_load_dword v32, off, s[0:3], s33 offset:76 ; 4-byte Folded Reload
	buffer_load_dword v33, off, s[0:3], s33 offset:80 ; 4-byte Folded Reload
	s_xor_b64 exec, exec, s[18:19]
; %bb.8160:                             ;   in Loop: Header=BB6_7336 Depth=2
	v_mov_b32_e32 v2, v27
	v_mov_b32_e32 v3, v28
	v_bfe_u32 v4, v27, 23, 1
; %bb.8161:                             ;   in Loop: Header=BB6_7336 Depth=2
	s_or_b64 exec, exec, s[18:19]
	v_lshrrev_b64 v[2:3], 21, v[2:3]
	v_cmp_gt_i32_e32 vcc, 32, v4
	v_cndmask_b32_e32 v3, 0, v3, vcc
	v_cndmask_b32_e32 v2, 3, v2, vcc
	v_cmp_ne_u64_e32 vcc, 0, v[2:3]
	v_cmp_ne_u32_e64 s[18:19], 0, v4
	s_or_b64 s[18:19], s[18:19], vcc
                                        ; implicit-def: $vgpr37
	s_and_saveexec_b64 s[92:93], s[18:19]
	s_xor_b64 s[18:19], exec, s[92:93]
; %bb.8162:                             ;   in Loop: Header=BB6_7336 Depth=2
	v_min_i32_e32 v3, 31, v4
	v_lshl_or_b32 v3, v3, 2, v36
	v_and_or_b32 v37, v2, 3, v3
                                        ; implicit-def: $vgpr36
; %bb.8163:                             ;   in Loop: Header=BB6_7336 Depth=2
	s_andn2_saveexec_b64 s[18:19], s[18:19]
; %bb.8164:                             ;   in Loop: Header=BB6_7336 Depth=2
	v_mov_b32_e32 v37, v36
; %bb.8165:                             ;   in Loop: Header=BB6_7336 Depth=2
	s_or_b64 exec, exec, s[18:19]
.LBB6_8166:                             ;   in Loop: Header=BB6_7336 Depth=2
	s_or_b64 exec, exec, s[90:91]
                                        ; implicit-def: $vgpr36
.LBB6_8167:                             ;   in Loop: Header=BB6_7336 Depth=2
	s_andn2_saveexec_b64 s[18:19], s[88:89]
; %bb.8168:                             ;   in Loop: Header=BB6_7336 Depth=2
	v_or_b32_e32 v37, 0x7b, v36
; %bb.8169:                             ;   in Loop: Header=BB6_7336 Depth=2
	s_or_b64 exec, exec, s[18:19]
                                        ; implicit-def: $vgpr2
.LBB6_8170:                             ;   in Loop: Header=BB6_7336 Depth=2
	s_andn2_saveexec_b64 s[18:19], s[78:79]
	s_cbranch_execz .LBB6_8176
; %bb.8171:                             ;   in Loop: Header=BB6_7336 Depth=2
	v_cmp_ne_u64_e32 vcc, 0, v[27:28]
                                        ; implicit-def: $vgpr37
	s_and_saveexec_b64 s[78:79], vcc
	s_xor_b64 s[78:79], exec, s[78:79]
; %bb.8172:                             ;   in Loop: Header=BB6_7336 Depth=2
	v_or_b32_sdwa v37, v2, s54 dst_sel:DWORD dst_unused:UNUSED_PAD src0_sel:BYTE_3 src1_sel:DWORD
                                        ; implicit-def: $vgpr2
; %bb.8173:                             ;   in Loop: Header=BB6_7336 Depth=2
	s_andn2_saveexec_b64 s[78:79], s[78:79]
; %bb.8174:                             ;   in Loop: Header=BB6_7336 Depth=2
	v_cmp_lt_i32_e32 vcc, -1, v2
	v_mov_b32_e32 v2, 0x7c
	v_cndmask_b32_e32 v37, -4, v2, vcc
; %bb.8175:                             ;   in Loop: Header=BB6_7336 Depth=2
	s_or_b64 exec, exec, s[78:79]
.LBB6_8176:                             ;   in Loop: Header=BB6_7336 Depth=2
	s_or_b64 exec, exec, s[18:19]
	v_cmp_ne_u16_e32 vcc, 0, v35
	v_mov_b32_e32 v2, 0
	v_mov_b32_e32 v3, 0
	s_and_saveexec_b64 s[18:19], vcc
	s_cbranch_execz .LBB6_8184
; %bb.8177:                             ;   in Loop: Header=BB6_7336 Depth=2
	v_cmp_ne_u16_e32 vcc, s49, v35
	v_bfrev_b32_e32 v3, 1
	s_and_saveexec_b64 s[78:79], vcc
	s_cbranch_execz .LBB6_8183
; %bb.8178:                             ;   in Loop: Header=BB6_7336 Depth=2
	v_and_b32_e32 v3, 0x7c, v35
	v_and_b32_e32 v4, 3, v35
	v_cmp_ne_u32_e32 vcc, s50, v3
                                        ; implicit-def: $vgpr3
	s_and_saveexec_b64 s[88:89], vcc
	s_xor_b64 s[88:89], exec, s[88:89]
	s_cbranch_execz .LBB6_8180
; %bb.8179:                             ;   in Loop: Header=BB6_7336 Depth=2
	v_ffbh_u32_e32 v27, v4
	v_min_u32_e32 v27, 32, v27
	v_mov_b32_e32 v36, v28
	s_waitcnt vmcnt(1)
	v_subrev_u32_e32 v32, 29, v27
	v_and_b32_e32 v3, 0xff, v35
	s_waitcnt vmcnt(0)
	v_lshlrev_b64 v[32:33], v32, v[35:36]
	v_bfe_u32 v3, v3, 2, 5
	v_and_b32_e32 v32, 3, v32
	v_cmp_eq_u32_e32 vcc, 0, v3
	v_cndmask_b32_e32 v4, v4, v32, vcc
	buffer_load_dword v32, off, s[0:3], s33 offset:76 ; 4-byte Folded Reload
	buffer_load_dword v33, off, s[0:3], s33 offset:80 ; 4-byte Folded Reload
	v_sub_u32_e32 v27, 30, v27
	v_cndmask_b32_e32 v3, v3, v27, vcc
	v_and_b32_sdwa v27, sext(v35), s51 dst_sel:DWORD dst_unused:UNUSED_PAD src0_sel:WORD_0 src1_sel:DWORD
	v_lshl_add_u32 v3, v3, 23, v27
	v_lshl_or_b32 v3, v4, 21, v3
	v_add_u32_e32 v3, 0x38000000, v3
                                        ; implicit-def: $vgpr4
                                        ; implicit-def: $vgpr35
.LBB6_8180:                             ;   in Loop: Header=BB6_7336 Depth=2
	s_andn2_saveexec_b64 s[88:89], s[88:89]
; %bb.8181:                             ;   in Loop: Header=BB6_7336 Depth=2
	v_cmp_lt_i16_e32 vcc, -1, v35
	v_mov_b32_e32 v3, 0xff800000
	v_mov_b32_e32 v27, 0x7f800000
	v_cndmask_b32_e32 v3, v3, v27, vcc
	v_cmp_eq_u32_e32 vcc, 0, v4
	v_mov_b32_e32 v4, 0x7f800001
	v_cndmask_b32_e32 v3, v4, v3, vcc
; %bb.8182:                             ;   in Loop: Header=BB6_7336 Depth=2
	s_or_b64 exec, exec, s[88:89]
.LBB6_8183:                             ;   in Loop: Header=BB6_7336 Depth=2
	s_or_b64 exec, exec, s[78:79]
.LBB6_8184:                             ;   in Loop: Header=BB6_7336 Depth=2
	s_or_b64 exec, exec, s[18:19]
	v_cmp_ne_u16_e32 vcc, 0, v34
	s_and_saveexec_b64 s[18:19], vcc
	s_cbranch_execz .LBB6_8192
; %bb.8185:                             ;   in Loop: Header=BB6_7336 Depth=2
	v_cmp_ne_u16_e32 vcc, s49, v34
	v_bfrev_b32_e32 v2, 1
	s_and_saveexec_b64 s[78:79], vcc
	s_cbranch_execz .LBB6_8191
; %bb.8186:                             ;   in Loop: Header=BB6_7336 Depth=2
	v_and_b32_e32 v2, 0x7c, v34
	v_and_b32_e32 v4, 3, v34
	v_cmp_ne_u32_e32 vcc, s50, v2
                                        ; implicit-def: $vgpr2
	s_and_saveexec_b64 s[88:89], vcc
	s_xor_b64 s[88:89], exec, s[88:89]
	s_cbranch_execz .LBB6_8188
; %bb.8187:                             ;   in Loop: Header=BB6_7336 Depth=2
	v_ffbh_u32_e32 v27, v4
	v_min_u32_e32 v27, 32, v27
	v_mov_b32_e32 v35, v28
	s_waitcnt vmcnt(1)
	v_subrev_u32_e32 v32, 29, v27
	v_and_b32_e32 v2, 0xff, v34
	s_waitcnt vmcnt(0)
	v_lshlrev_b64 v[32:33], v32, v[34:35]
	v_bfe_u32 v2, v2, 2, 5
	v_and_b32_e32 v32, 3, v32
	v_cmp_eq_u32_e32 vcc, 0, v2
	v_cndmask_b32_e32 v4, v4, v32, vcc
	buffer_load_dword v32, off, s[0:3], s33 offset:76 ; 4-byte Folded Reload
	buffer_load_dword v33, off, s[0:3], s33 offset:80 ; 4-byte Folded Reload
	v_sub_u32_e32 v27, 30, v27
	v_cndmask_b32_e32 v2, v2, v27, vcc
	v_and_b32_sdwa v27, sext(v34), s51 dst_sel:DWORD dst_unused:UNUSED_PAD src0_sel:WORD_0 src1_sel:DWORD
	v_lshl_add_u32 v2, v2, 23, v27
	v_lshl_or_b32 v2, v4, 21, v2
	v_add_u32_e32 v2, 0x38000000, v2
                                        ; implicit-def: $vgpr4
                                        ; implicit-def: $vgpr34
.LBB6_8188:                             ;   in Loop: Header=BB6_7336 Depth=2
	s_andn2_saveexec_b64 s[88:89], s[88:89]
; %bb.8189:                             ;   in Loop: Header=BB6_7336 Depth=2
	v_cmp_lt_i16_e32 vcc, -1, v34
	v_mov_b32_e32 v2, 0xff800000
	v_mov_b32_e32 v27, 0x7f800000
	v_cndmask_b32_e32 v2, v2, v27, vcc
	v_cmp_eq_u32_e32 vcc, 0, v4
	v_mov_b32_e32 v4, 0x7f800001
	v_cndmask_b32_e32 v2, v4, v2, vcc
; %bb.8190:                             ;   in Loop: Header=BB6_7336 Depth=2
	s_or_b64 exec, exec, s[88:89]
.LBB6_8191:                             ;   in Loop: Header=BB6_7336 Depth=2
	s_or_b64 exec, exec, s[78:79]
.LBB6_8192:                             ;   in Loop: Header=BB6_7336 Depth=2
	s_or_b64 exec, exec, s[18:19]
	v_mul_f32_e32 v2, v3, v2
	v_and_b32_e32 v3, 0x7f800000, v2
	v_mov_b32_e32 v4, v28
	v_cmp_ne_u64_e32 vcc, s[58:59], v[3:4]
	v_and_b32_e32 v27, 0x7fffff, v2
                                        ; implicit-def: $vgpr35
	s_and_saveexec_b64 s[18:19], vcc
	s_xor_b64 s[78:79], exec, s[18:19]
	s_cbranch_execz .LBB6_8210
; %bb.8193:                             ;   in Loop: Header=BB6_7336 Depth=2
	v_and_b32_e32 v3, 0x7fffffff, v2
	v_mov_b32_e32 v4, v28
	v_cmp_gt_u64_e32 vcc, s[60:61], v[3:4]
	v_and_b32_sdwa v34, v2, s52 dst_sel:DWORD dst_unused:UNUSED_PAD src0_sel:BYTE_3 src1_sel:DWORD
                                        ; implicit-def: $vgpr35
	s_and_saveexec_b64 s[18:19], vcc
	s_xor_b64 s[88:89], exec, s[18:19]
	s_cbranch_execz .LBB6_8207
; %bb.8194:                             ;   in Loop: Header=BB6_7336 Depth=2
	v_cmp_ne_u32_e32 vcc, 0, v2
	v_mov_b32_e32 v35, 0
	s_and_saveexec_b64 s[90:91], vcc
	s_cbranch_execz .LBB6_8206
; %bb.8195:                             ;   in Loop: Header=BB6_7336 Depth=2
	v_bfe_u32 v35, v2, 23, 8
	v_cmp_gt_u32_e64 s[18:19], s53, v35
	v_sub_u32_e32 v2, 0x71, v35
	v_cmp_eq_u32_e32 vcc, 0, v35
	v_cndmask_b32_e64 v2, 0, v2, s[18:19]
	v_mov_b32_e32 v4, 0x70
	v_cndmask_b32_e32 v36, v2, v4, vcc
	v_add_u32_e32 v4, 21, v36
	v_or_b32_e32 v3, 0x800000, v27
	s_waitcnt vmcnt(0)
	v_lshlrev_b64 v[32:33], v4, -1
	v_cndmask_b32_e32 v2, v3, v27, vcc
	v_mov_b32_e32 v3, v28
	v_add_u32_e32 v4, 20, v36
	v_bfi_b32 v32, v32, 0, v2
	v_lshlrev_b64 v[38:39], v4, 1
	v_lshrrev_b64 v[2:3], v36, v[2:3]
	v_bfi_b32 v33, v33, 0, 0
	v_cmp_eq_u64_e64 s[18:19], v[32:33], v[38:39]
	v_mov_b32_e32 v4, v3
	v_mov_b32_e32 v3, v2
	s_and_saveexec_b64 s[92:93], s[18:19]
; %bb.8196:                             ;   in Loop: Header=BB6_7336 Depth=2
	v_bfe_u32 v3, v2, 21, 1
	v_add_co_u32_e64 v3, s[18:19], v2, v3
	v_add_co_u32_e64 v3, s[18:19], -1, v3
; %bb.8197:                             ;   in Loop: Header=BB6_7336 Depth=2
	s_or_b64 exec, exec, s[92:93]
	v_add_u32_e32 v4, 0xffffff81, v35
	v_mov_b32_e32 v27, 0xffffff82
	v_cndmask_b32_e32 v4, v4, v27, vcc
	v_lshrrev_b32_e32 v27, 23, v2
	v_add3_u32 v36, v36, v4, v27
	v_add_u32_e32 v35, 14, v36
	v_and_b32_e32 v3, 0x1fffff, v3
	v_add_u32_e32 v27, v3, v2
	v_cmp_ne_u32_e32 vcc, 0, v35
                                        ; implicit-def: $vgpr2_vgpr3
                                        ; implicit-def: $vgpr4
	s_and_saveexec_b64 s[18:19], vcc
	s_xor_b64 s[18:19], exec, s[18:19]
; %bb.8198:                             ;   in Loop: Header=BB6_7336 Depth=2
	v_cmp_lt_u64_e32 vcc, s[62:63], v[27:28]
	v_add_u32_e32 v2, 15, v36
	v_cndmask_b32_e32 v4, v35, v2, vcc
	v_cndmask_b32_e64 v2, 0, 1, vcc
	v_lshrrev_b64 v[2:3], v2, v[27:28]
; %bb.8199:                             ;   in Loop: Header=BB6_7336 Depth=2
	s_or_saveexec_b64 s[18:19], s[18:19]
	buffer_load_dword v32, off, s[0:3], s33 offset:76 ; 4-byte Folded Reload
	buffer_load_dword v33, off, s[0:3], s33 offset:80 ; 4-byte Folded Reload
	s_xor_b64 exec, exec, s[18:19]
; %bb.8200:                             ;   in Loop: Header=BB6_7336 Depth=2
	v_mov_b32_e32 v2, v27
	v_mov_b32_e32 v3, v28
	v_bfe_u32 v4, v27, 23, 1
; %bb.8201:                             ;   in Loop: Header=BB6_7336 Depth=2
	s_or_b64 exec, exec, s[18:19]
	v_lshrrev_b64 v[2:3], 21, v[2:3]
	v_cmp_gt_i32_e32 vcc, 32, v4
	v_cndmask_b32_e32 v3, 0, v3, vcc
	v_cndmask_b32_e32 v2, 3, v2, vcc
	v_cmp_ne_u64_e32 vcc, 0, v[2:3]
	v_cmp_ne_u32_e64 s[18:19], 0, v4
	s_or_b64 s[18:19], s[18:19], vcc
                                        ; implicit-def: $vgpr35
	s_and_saveexec_b64 s[92:93], s[18:19]
	s_xor_b64 s[18:19], exec, s[92:93]
; %bb.8202:                             ;   in Loop: Header=BB6_7336 Depth=2
	v_min_i32_e32 v3, 31, v4
	v_lshl_or_b32 v3, v3, 2, v34
	v_and_or_b32 v35, v2, 3, v3
                                        ; implicit-def: $vgpr34
; %bb.8203:                             ;   in Loop: Header=BB6_7336 Depth=2
	s_andn2_saveexec_b64 s[18:19], s[18:19]
; %bb.8204:                             ;   in Loop: Header=BB6_7336 Depth=2
	v_mov_b32_e32 v35, v34
; %bb.8205:                             ;   in Loop: Header=BB6_7336 Depth=2
	s_or_b64 exec, exec, s[18:19]
.LBB6_8206:                             ;   in Loop: Header=BB6_7336 Depth=2
	s_or_b64 exec, exec, s[90:91]
                                        ; implicit-def: $vgpr34
.LBB6_8207:                             ;   in Loop: Header=BB6_7336 Depth=2
	s_andn2_saveexec_b64 s[18:19], s[88:89]
; %bb.8208:                             ;   in Loop: Header=BB6_7336 Depth=2
	v_or_b32_e32 v35, 0x7b, v34
; %bb.8209:                             ;   in Loop: Header=BB6_7336 Depth=2
	s_or_b64 exec, exec, s[18:19]
                                        ; implicit-def: $vgpr2
.LBB6_8210:                             ;   in Loop: Header=BB6_7336 Depth=2
	s_andn2_saveexec_b64 s[18:19], s[78:79]
	s_cbranch_execz .LBB6_8216
; %bb.8211:                             ;   in Loop: Header=BB6_7336 Depth=2
	v_cmp_ne_u64_e32 vcc, 0, v[27:28]
                                        ; implicit-def: $vgpr35
	s_and_saveexec_b64 s[78:79], vcc
	s_xor_b64 s[78:79], exec, s[78:79]
; %bb.8212:                             ;   in Loop: Header=BB6_7336 Depth=2
	v_or_b32_sdwa v35, v2, s54 dst_sel:DWORD dst_unused:UNUSED_PAD src0_sel:BYTE_3 src1_sel:DWORD
                                        ; implicit-def: $vgpr2
; %bb.8213:                             ;   in Loop: Header=BB6_7336 Depth=2
	s_andn2_saveexec_b64 s[78:79], s[78:79]
; %bb.8214:                             ;   in Loop: Header=BB6_7336 Depth=2
	v_cmp_lt_i32_e32 vcc, -1, v2
	v_mov_b32_e32 v2, 0x7c
	v_cndmask_b32_e32 v35, -4, v2, vcc
; %bb.8215:                             ;   in Loop: Header=BB6_7336 Depth=2
	s_or_b64 exec, exec, s[78:79]
.LBB6_8216:                             ;   in Loop: Header=BB6_7336 Depth=2
	s_or_b64 exec, exec, s[18:19]
	buffer_load_dword v2, off, s[0:3], s33 offset:228 ; 4-byte Folded Reload
	buffer_load_dword v3, off, s[0:3], s33 offset:232 ; 4-byte Folded Reload
	s_waitcnt vmcnt(0)
	v_mov_b32_e32 v3, 0
	v_mov_b32_e32 v27, v2
	v_cmp_ne_u16_e32 vcc, 0, v27
	v_mov_b32_e32 v2, 0
	s_and_saveexec_b64 s[18:19], vcc
	s_cbranch_execz .LBB6_8224
; %bb.8217:                             ;   in Loop: Header=BB6_7336 Depth=2
	v_cmp_ne_u16_e32 vcc, s49, v27
	v_bfrev_b32_e32 v3, 1
	s_and_saveexec_b64 s[78:79], vcc
	s_cbranch_execz .LBB6_8223
; %bb.8218:                             ;   in Loop: Header=BB6_7336 Depth=2
	v_and_b32_e32 v3, 0x7c, v27
	v_and_b32_e32 v4, 3, v27
	v_cmp_ne_u32_e32 vcc, s50, v3
                                        ; implicit-def: $vgpr3
	s_and_saveexec_b64 s[88:89], vcc
	s_xor_b64 s[88:89], exec, s[88:89]
	s_cbranch_execz .LBB6_8220
; %bb.8219:                             ;   in Loop: Header=BB6_7336 Depth=2
	buffer_load_dword v38, off, s[0:3], s33 offset:228 ; 4-byte Folded Reload
	buffer_load_dword v39, off, s[0:3], s33 offset:232 ; 4-byte Folded Reload
	v_ffbh_u32_e32 v27, v4
	v_min_u32_e32 v27, 32, v27
	s_waitcnt vmcnt(0)
	v_mov_b32_e32 v39, v28
	v_subrev_u32_e32 v32, 29, v27
	v_sub_u32_e32 v27, 30, v27
	v_and_b32_e32 v3, 0xff, v38
	v_lshlrev_b64 v[32:33], v32, v[38:39]
	v_bfe_u32 v3, v3, 2, 5
	v_and_b32_e32 v32, 3, v32
	v_cmp_eq_u32_e32 vcc, 0, v3
	v_cndmask_b32_e32 v4, v4, v32, vcc
	buffer_load_dword v32, off, s[0:3], s33 offset:76 ; 4-byte Folded Reload
	buffer_load_dword v33, off, s[0:3], s33 offset:80 ; 4-byte Folded Reload
	v_cndmask_b32_e32 v3, v3, v27, vcc
	v_and_b32_sdwa v27, sext(v38), s51 dst_sel:DWORD dst_unused:UNUSED_PAD src0_sel:WORD_0 src1_sel:DWORD
	v_lshl_add_u32 v3, v3, 23, v27
	v_lshl_or_b32 v3, v4, 21, v3
	v_add_u32_e32 v3, 0x38000000, v3
                                        ; implicit-def: $vgpr27
                                        ; implicit-def: $vgpr4
	buffer_store_dword v27, off, s[0:3], s33 offset:228 ; 4-byte Folded Spill
	s_nop 0
	buffer_store_dword v28, off, s[0:3], s33 offset:232 ; 4-byte Folded Spill
.LBB6_8220:                             ;   in Loop: Header=BB6_7336 Depth=2
	s_andn2_saveexec_b64 s[88:89], s[88:89]
	s_cbranch_execz .LBB6_8222
; %bb.8221:                             ;   in Loop: Header=BB6_7336 Depth=2
	buffer_load_dword v33, off, s[0:3], s33 offset:228 ; 4-byte Folded Reload
	buffer_load_dword v34, off, s[0:3], s33 offset:232 ; 4-byte Folded Reload
	v_mov_b32_e32 v3, 0xff800000
	v_mov_b32_e32 v27, 0x7f800000
	s_waitcnt vmcnt(1)
	v_cmp_lt_i16_e32 vcc, -1, v33
	v_cndmask_b32_e32 v3, v3, v27, vcc
	v_cmp_eq_u32_e32 vcc, 0, v4
	v_mov_b32_e32 v4, 0x7f800001
	v_cndmask_b32_e32 v3, v4, v3, vcc
.LBB6_8222:                             ;   in Loop: Header=BB6_7336 Depth=2
	s_or_b64 exec, exec, s[88:89]
.LBB6_8223:                             ;   in Loop: Header=BB6_7336 Depth=2
	s_or_b64 exec, exec, s[78:79]
.LBB6_8224:                             ;   in Loop: Header=BB6_7336 Depth=2
	s_or_b64 exec, exec, s[18:19]
	s_waitcnt vmcnt(3)
	v_cmp_ne_u16_e32 vcc, 0, v32
	s_and_saveexec_b64 s[18:19], vcc
	s_cbranch_execz .LBB6_8232
; %bb.8225:                             ;   in Loop: Header=BB6_7336 Depth=2
	v_cmp_ne_u16_e32 vcc, s49, v32
	v_bfrev_b32_e32 v2, 1
	s_and_saveexec_b64 s[78:79], vcc
	s_cbranch_execz .LBB6_8231
; %bb.8226:                             ;   in Loop: Header=BB6_7336 Depth=2
	v_and_b32_e32 v2, 0x7c, v32
	v_and_b32_e32 v4, 3, v32
	v_cmp_ne_u32_e32 vcc, s50, v2
                                        ; implicit-def: $vgpr2
	s_and_saveexec_b64 s[88:89], vcc
	s_xor_b64 s[88:89], exec, s[88:89]
	s_cbranch_execz .LBB6_8228
; %bb.8227:                             ;   in Loop: Header=BB6_7336 Depth=2
	s_waitcnt vmcnt(2)
	v_mov_b32_e32 v33, v28
	v_ffbh_u32_e32 v27, v4
	v_min_u32_e32 v27, 32, v27
	v_mov_b32_e32 v39, v33
	v_and_b32_e32 v2, 0xff, v32
	v_mov_b32_e32 v38, v32
	v_subrev_u32_e32 v32, 29, v27
	v_bfe_u32 v2, v2, 2, 5
	v_lshlrev_b64 v[32:33], v32, v[38:39]
	v_sub_u32_e32 v27, 30, v27
	v_cmp_eq_u32_e32 vcc, 0, v2
	v_and_b32_e32 v32, 3, v32
	v_cndmask_b32_e32 v2, v2, v27, vcc
	v_and_b32_sdwa v27, sext(v38), s51 dst_sel:DWORD dst_unused:UNUSED_PAD src0_sel:WORD_0 src1_sel:DWORD
	v_cndmask_b32_e32 v4, v4, v32, vcc
	v_lshl_add_u32 v2, v2, 23, v27
	v_lshl_or_b32 v2, v4, 21, v2
	v_add_u32_e32 v2, 0x38000000, v2
                                        ; implicit-def: $vgpr4
                                        ; implicit-def: $vgpr32
.LBB6_8228:                             ;   in Loop: Header=BB6_7336 Depth=2
	s_andn2_saveexec_b64 s[88:89], s[88:89]
; %bb.8229:                             ;   in Loop: Header=BB6_7336 Depth=2
	v_cmp_lt_i16_e32 vcc, -1, v32
	v_mov_b32_e32 v2, 0xff800000
	v_mov_b32_e32 v27, 0x7f800000
	v_cndmask_b32_e32 v2, v2, v27, vcc
	v_cmp_eq_u32_e32 vcc, 0, v4
	v_mov_b32_e32 v4, 0x7f800001
	v_cndmask_b32_e32 v2, v4, v2, vcc
; %bb.8230:                             ;   in Loop: Header=BB6_7336 Depth=2
	s_or_b64 exec, exec, s[88:89]
.LBB6_8231:                             ;   in Loop: Header=BB6_7336 Depth=2
	s_or_b64 exec, exec, s[78:79]
.LBB6_8232:                             ;   in Loop: Header=BB6_7336 Depth=2
	s_or_b64 exec, exec, s[18:19]
	v_mul_f32_e32 v2, v3, v2
	v_and_b32_e32 v3, 0x7f800000, v2
	v_mov_b32_e32 v4, v28
	v_cmp_ne_u64_e32 vcc, s[58:59], v[3:4]
	v_and_b32_e32 v27, 0x7fffff, v2
                                        ; implicit-def: $vgpr32
	s_and_saveexec_b64 s[18:19], vcc
	s_xor_b64 s[78:79], exec, s[18:19]
	s_cbranch_execz .LBB6_8250
; %bb.8233:                             ;   in Loop: Header=BB6_7336 Depth=2
	v_and_b32_e32 v3, 0x7fffffff, v2
	v_mov_b32_e32 v4, v28
	v_cmp_gt_u64_e32 vcc, s[60:61], v[3:4]
	s_waitcnt vmcnt(2)
	v_and_b32_sdwa v33, v2, s52 dst_sel:DWORD dst_unused:UNUSED_PAD src0_sel:BYTE_3 src1_sel:DWORD
                                        ; implicit-def: $vgpr32
	s_and_saveexec_b64 s[18:19], vcc
	s_xor_b64 s[88:89], exec, s[18:19]
	s_cbranch_execz .LBB6_8247
; %bb.8234:                             ;   in Loop: Header=BB6_7336 Depth=2
	v_cmp_ne_u32_e32 vcc, 0, v2
	v_mov_b32_e32 v32, 0
	s_and_saveexec_b64 s[90:91], vcc
	s_cbranch_execz .LBB6_8246
; %bb.8235:                             ;   in Loop: Header=BB6_7336 Depth=2
	v_bfe_u32 v32, v2, 23, 8
	v_cmp_gt_u32_e64 s[18:19], s53, v32
	v_sub_u32_e32 v2, 0x71, v32
	v_cmp_eq_u32_e32 vcc, 0, v32
	v_cndmask_b32_e64 v2, 0, v2, s[18:19]
	v_mov_b32_e32 v4, 0x70
	s_waitcnt vmcnt(0)
	v_cndmask_b32_e32 v34, v2, v4, vcc
	v_add_u32_e32 v4, 21, v34
	v_or_b32_e32 v3, 0x800000, v27
	v_lshlrev_b64 v[38:39], v4, -1
	v_cndmask_b32_e32 v2, v3, v27, vcc
	v_mov_b32_e32 v3, v28
	v_add_u32_e32 v4, 20, v34
	v_bfi_b32 v38, v38, 0, v2
	v_lshlrev_b64 v[48:49], v4, 1
	v_lshrrev_b64 v[2:3], v34, v[2:3]
	v_bfi_b32 v39, v39, 0, 0
	v_cmp_eq_u64_e64 s[18:19], v[38:39], v[48:49]
	v_mov_b32_e32 v4, v3
	v_mov_b32_e32 v3, v2
	s_and_saveexec_b64 s[92:93], s[18:19]
; %bb.8236:                             ;   in Loop: Header=BB6_7336 Depth=2
	v_bfe_u32 v3, v2, 21, 1
	v_add_co_u32_e64 v3, s[18:19], v2, v3
	v_add_co_u32_e64 v3, s[18:19], -1, v3
; %bb.8237:                             ;   in Loop: Header=BB6_7336 Depth=2
	s_or_b64 exec, exec, s[92:93]
	v_add_u32_e32 v4, 0xffffff81, v32
	v_mov_b32_e32 v27, 0xffffff82
	v_cndmask_b32_e32 v4, v4, v27, vcc
	v_lshrrev_b32_e32 v27, 23, v2
	v_add3_u32 v34, v34, v4, v27
	v_add_u32_e32 v32, 14, v34
	v_and_b32_e32 v3, 0x1fffff, v3
	v_add_u32_e32 v27, v3, v2
	v_cmp_ne_u32_e32 vcc, 0, v32
                                        ; implicit-def: $vgpr2_vgpr3
                                        ; implicit-def: $vgpr4
	s_and_saveexec_b64 s[18:19], vcc
	s_xor_b64 s[18:19], exec, s[18:19]
; %bb.8238:                             ;   in Loop: Header=BB6_7336 Depth=2
	v_cmp_lt_u64_e32 vcc, s[62:63], v[27:28]
	v_add_u32_e32 v2, 15, v34
	v_cndmask_b32_e32 v4, v32, v2, vcc
	v_cndmask_b32_e64 v2, 0, 1, vcc
	v_lshrrev_b64 v[2:3], v2, v[27:28]
; %bb.8239:                             ;   in Loop: Header=BB6_7336 Depth=2
	s_andn2_saveexec_b64 s[18:19], s[18:19]
; %bb.8240:                             ;   in Loop: Header=BB6_7336 Depth=2
	v_mov_b32_e32 v2, v27
	v_mov_b32_e32 v3, v28
	v_bfe_u32 v4, v27, 23, 1
; %bb.8241:                             ;   in Loop: Header=BB6_7336 Depth=2
	s_or_b64 exec, exec, s[18:19]
	v_lshrrev_b64 v[2:3], 21, v[2:3]
	v_cmp_gt_i32_e32 vcc, 32, v4
	v_cndmask_b32_e32 v3, 0, v3, vcc
	v_cndmask_b32_e32 v2, 3, v2, vcc
	v_cmp_ne_u64_e32 vcc, 0, v[2:3]
	v_cmp_ne_u32_e64 s[18:19], 0, v4
	s_or_b64 s[18:19], s[18:19], vcc
                                        ; implicit-def: $vgpr32
	s_and_saveexec_b64 s[92:93], s[18:19]
	s_xor_b64 s[18:19], exec, s[92:93]
; %bb.8242:                             ;   in Loop: Header=BB6_7336 Depth=2
	v_min_i32_e32 v3, 31, v4
	v_lshl_or_b32 v3, v3, 2, v33
	v_and_or_b32 v32, v2, 3, v3
                                        ; implicit-def: $vgpr33
; %bb.8243:                             ;   in Loop: Header=BB6_7336 Depth=2
	s_andn2_saveexec_b64 s[18:19], s[18:19]
; %bb.8244:                             ;   in Loop: Header=BB6_7336 Depth=2
	v_mov_b32_e32 v32, v33
; %bb.8245:                             ;   in Loop: Header=BB6_7336 Depth=2
	s_or_b64 exec, exec, s[18:19]
.LBB6_8246:                             ;   in Loop: Header=BB6_7336 Depth=2
	s_or_b64 exec, exec, s[90:91]
                                        ; implicit-def: $vgpr33
.LBB6_8247:                             ;   in Loop: Header=BB6_7336 Depth=2
	s_andn2_saveexec_b64 s[18:19], s[88:89]
; %bb.8248:                             ;   in Loop: Header=BB6_7336 Depth=2
	v_or_b32_e32 v32, 0x7b, v33
; %bb.8249:                             ;   in Loop: Header=BB6_7336 Depth=2
	s_or_b64 exec, exec, s[18:19]
                                        ; implicit-def: $vgpr2
.LBB6_8250:                             ;   in Loop: Header=BB6_7336 Depth=2
	s_andn2_saveexec_b64 s[18:19], s[78:79]
	s_cbranch_execz .LBB6_8256
; %bb.8251:                             ;   in Loop: Header=BB6_7336 Depth=2
	v_cmp_ne_u64_e32 vcc, 0, v[27:28]
                                        ; implicit-def: $vgpr32
	s_and_saveexec_b64 s[78:79], vcc
	s_xor_b64 s[78:79], exec, s[78:79]
; %bb.8252:                             ;   in Loop: Header=BB6_7336 Depth=2
	v_or_b32_sdwa v32, v2, s54 dst_sel:DWORD dst_unused:UNUSED_PAD src0_sel:BYTE_3 src1_sel:DWORD
                                        ; implicit-def: $vgpr2
; %bb.8253:                             ;   in Loop: Header=BB6_7336 Depth=2
	s_andn2_saveexec_b64 s[78:79], s[78:79]
; %bb.8254:                             ;   in Loop: Header=BB6_7336 Depth=2
	v_cmp_lt_i32_e32 vcc, -1, v2
	v_mov_b32_e32 v2, 0x7c
	v_cndmask_b32_e32 v32, -4, v2, vcc
; %bb.8255:                             ;   in Loop: Header=BB6_7336 Depth=2
	s_or_b64 exec, exec, s[78:79]
.LBB6_8256:                             ;   in Loop: Header=BB6_7336 Depth=2
	s_or_b64 exec, exec, s[18:19]
	buffer_load_dword v2, off, s[0:3], s33 offset:220 ; 4-byte Folded Reload
	buffer_load_dword v3, off, s[0:3], s33 offset:224 ; 4-byte Folded Reload
	s_waitcnt vmcnt(0)
	v_mov_b32_e32 v3, 0
	v_mov_b32_e32 v27, v2
	v_cmp_ne_u16_e32 vcc, 0, v27
	v_mov_b32_e32 v2, 0
	s_and_saveexec_b64 s[18:19], vcc
	s_cbranch_execz .LBB6_8264
; %bb.8257:                             ;   in Loop: Header=BB6_7336 Depth=2
	v_cmp_ne_u16_e32 vcc, s49, v27
	v_bfrev_b32_e32 v3, 1
	s_and_saveexec_b64 s[78:79], vcc
	s_cbranch_execz .LBB6_8263
; %bb.8258:                             ;   in Loop: Header=BB6_7336 Depth=2
	v_and_b32_e32 v3, 0x7c, v27
	v_and_b32_e32 v4, 3, v27
	v_cmp_ne_u32_e32 vcc, s50, v3
                                        ; implicit-def: $vgpr3
	s_and_saveexec_b64 s[88:89], vcc
	s_xor_b64 s[88:89], exec, s[88:89]
	s_cbranch_execz .LBB6_8260
; %bb.8259:                             ;   in Loop: Header=BB6_7336 Depth=2
	buffer_load_dword v38, off, s[0:3], s33 offset:220 ; 4-byte Folded Reload
	buffer_load_dword v39, off, s[0:3], s33 offset:224 ; 4-byte Folded Reload
	v_ffbh_u32_e32 v27, v4
	v_min_u32_e32 v27, 32, v27
	s_waitcnt vmcnt(0)
	v_mov_b32_e32 v39, v28
	v_subrev_u32_e32 v33, 29, v27
	v_sub_u32_e32 v27, 30, v27
	v_and_b32_e32 v3, 0xff, v38
	v_bfe_u32 v3, v3, 2, 5
	v_lshlrev_b64 v[33:34], v33, v[38:39]
	v_cmp_eq_u32_e32 vcc, 0, v3
	v_and_b32_e32 v33, 3, v33
	v_cndmask_b32_e32 v3, v3, v27, vcc
	v_and_b32_sdwa v27, sext(v38), s51 dst_sel:DWORD dst_unused:UNUSED_PAD src0_sel:WORD_0 src1_sel:DWORD
	v_cndmask_b32_e32 v4, v4, v33, vcc
	v_lshl_add_u32 v3, v3, 23, v27
	v_lshl_or_b32 v3, v4, 21, v3
	v_add_u32_e32 v3, 0x38000000, v3
                                        ; implicit-def: $vgpr27
                                        ; implicit-def: $vgpr4
	buffer_store_dword v27, off, s[0:3], s33 offset:220 ; 4-byte Folded Spill
	s_nop 0
	buffer_store_dword v28, off, s[0:3], s33 offset:224 ; 4-byte Folded Spill
.LBB6_8260:                             ;   in Loop: Header=BB6_7336 Depth=2
	s_andn2_saveexec_b64 s[88:89], s[88:89]
	s_cbranch_execz .LBB6_8262
; %bb.8261:                             ;   in Loop: Header=BB6_7336 Depth=2
	buffer_load_dword v33, off, s[0:3], s33 offset:220 ; 4-byte Folded Reload
	buffer_load_dword v34, off, s[0:3], s33 offset:224 ; 4-byte Folded Reload
	v_mov_b32_e32 v3, 0xff800000
	v_mov_b32_e32 v27, 0x7f800000
	s_waitcnt vmcnt(1)
	v_cmp_lt_i16_e32 vcc, -1, v33
	v_cndmask_b32_e32 v3, v3, v27, vcc
	v_cmp_eq_u32_e32 vcc, 0, v4
	v_mov_b32_e32 v4, 0x7f800001
	v_cndmask_b32_e32 v3, v4, v3, vcc
.LBB6_8262:                             ;   in Loop: Header=BB6_7336 Depth=2
	s_or_b64 exec, exec, s[88:89]
.LBB6_8263:                             ;   in Loop: Header=BB6_7336 Depth=2
	s_or_b64 exec, exec, s[78:79]
.LBB6_8264:                             ;   in Loop: Header=BB6_7336 Depth=2
	s_or_b64 exec, exec, s[18:19]
	buffer_load_dword v33, off, s[0:3], s33 offset:212 ; 4-byte Folded Reload
	buffer_load_dword v34, off, s[0:3], s33 offset:216 ; 4-byte Folded Reload
	s_waitcnt vmcnt(1)
	v_mov_b32_e32 v27, v33
	v_cmp_ne_u16_e32 vcc, 0, v27
	s_and_saveexec_b64 s[18:19], vcc
	s_cbranch_execz .LBB6_8272
; %bb.8265:                             ;   in Loop: Header=BB6_7336 Depth=2
	v_cmp_ne_u16_e32 vcc, s49, v27
	v_bfrev_b32_e32 v2, 1
	s_and_saveexec_b64 s[78:79], vcc
	s_cbranch_execz .LBB6_8271
; %bb.8266:                             ;   in Loop: Header=BB6_7336 Depth=2
	v_and_b32_e32 v2, 0x7c, v27
	v_and_b32_e32 v4, 3, v27
	v_cmp_ne_u32_e32 vcc, s50, v2
                                        ; implicit-def: $vgpr2
	s_and_saveexec_b64 s[88:89], vcc
	s_xor_b64 s[88:89], exec, s[88:89]
	s_cbranch_execz .LBB6_8268
; %bb.8267:                             ;   in Loop: Header=BB6_7336 Depth=2
	buffer_load_dword v38, off, s[0:3], s33 offset:212 ; 4-byte Folded Reload
	buffer_load_dword v39, off, s[0:3], s33 offset:216 ; 4-byte Folded Reload
	v_ffbh_u32_e32 v27, v4
	v_min_u32_e32 v27, 32, v27
	s_waitcnt vmcnt(0)
	v_mov_b32_e32 v39, v28
	v_subrev_u32_e32 v33, 29, v27
	v_sub_u32_e32 v27, 30, v27
	v_and_b32_e32 v2, 0xff, v38
	v_bfe_u32 v2, v2, 2, 5
	v_lshlrev_b64 v[33:34], v33, v[38:39]
	v_cmp_eq_u32_e32 vcc, 0, v2
	v_and_b32_e32 v33, 3, v33
	v_cndmask_b32_e32 v2, v2, v27, vcc
	v_and_b32_sdwa v27, sext(v38), s51 dst_sel:DWORD dst_unused:UNUSED_PAD src0_sel:WORD_0 src1_sel:DWORD
	v_cndmask_b32_e32 v4, v4, v33, vcc
	v_lshl_add_u32 v2, v2, 23, v27
	v_lshl_or_b32 v2, v4, 21, v2
	v_add_u32_e32 v2, 0x38000000, v2
                                        ; implicit-def: $vgpr27
                                        ; implicit-def: $vgpr4
	buffer_store_dword v27, off, s[0:3], s33 offset:212 ; 4-byte Folded Spill
	s_nop 0
	buffer_store_dword v28, off, s[0:3], s33 offset:216 ; 4-byte Folded Spill
.LBB6_8268:                             ;   in Loop: Header=BB6_7336 Depth=2
	s_andn2_saveexec_b64 s[88:89], s[88:89]
	s_cbranch_execz .LBB6_8270
; %bb.8269:                             ;   in Loop: Header=BB6_7336 Depth=2
	buffer_load_dword v33, off, s[0:3], s33 offset:212 ; 4-byte Folded Reload
	buffer_load_dword v34, off, s[0:3], s33 offset:216 ; 4-byte Folded Reload
	v_mov_b32_e32 v2, 0xff800000
	v_mov_b32_e32 v27, 0x7f800000
	s_waitcnt vmcnt(1)
	v_cmp_lt_i16_e32 vcc, -1, v33
	v_cndmask_b32_e32 v2, v2, v27, vcc
	v_cmp_eq_u32_e32 vcc, 0, v4
	v_mov_b32_e32 v4, 0x7f800001
	v_cndmask_b32_e32 v2, v4, v2, vcc
.LBB6_8270:                             ;   in Loop: Header=BB6_7336 Depth=2
	s_or_b64 exec, exec, s[88:89]
.LBB6_8271:                             ;   in Loop: Header=BB6_7336 Depth=2
	s_or_b64 exec, exec, s[78:79]
.LBB6_8272:                             ;   in Loop: Header=BB6_7336 Depth=2
	s_or_b64 exec, exec, s[18:19]
	v_mul_f32_e32 v2, v3, v2
	v_and_b32_e32 v3, 0x7f800000, v2
	v_mov_b32_e32 v4, v28
	v_cmp_ne_u64_e32 vcc, s[58:59], v[3:4]
	v_and_b32_e32 v27, 0x7fffff, v2
                                        ; implicit-def: $vgpr33
	s_and_saveexec_b64 s[18:19], vcc
	s_xor_b64 s[78:79], exec, s[18:19]
	s_cbranch_execz .LBB6_8290
; %bb.8273:                             ;   in Loop: Header=BB6_7336 Depth=2
	v_and_b32_e32 v3, 0x7fffffff, v2
	v_mov_b32_e32 v4, v28
	v_cmp_gt_u64_e32 vcc, s[60:61], v[3:4]
	s_waitcnt vmcnt(0)
	v_and_b32_sdwa v34, v2, s52 dst_sel:DWORD dst_unused:UNUSED_PAD src0_sel:BYTE_3 src1_sel:DWORD
                                        ; implicit-def: $vgpr33
	s_and_saveexec_b64 s[18:19], vcc
	s_xor_b64 s[88:89], exec, s[18:19]
	s_cbranch_execz .LBB6_8287
; %bb.8274:                             ;   in Loop: Header=BB6_7336 Depth=2
	v_cmp_ne_u32_e32 vcc, 0, v2
	v_mov_b32_e32 v33, 0
	s_and_saveexec_b64 s[90:91], vcc
	s_cbranch_execz .LBB6_8286
; %bb.8275:                             ;   in Loop: Header=BB6_7336 Depth=2
	v_bfe_u32 v33, v2, 23, 8
	v_cmp_gt_u32_e64 s[18:19], s53, v33
	v_sub_u32_e32 v2, 0x71, v33
	v_cmp_eq_u32_e32 vcc, 0, v33
	v_cndmask_b32_e64 v2, 0, v2, s[18:19]
	v_mov_b32_e32 v4, 0x70
	v_cndmask_b32_e32 v36, v2, v4, vcc
	v_add_u32_e32 v4, 21, v36
	v_or_b32_e32 v3, 0x800000, v27
	v_lshlrev_b64 v[38:39], v4, -1
	v_cndmask_b32_e32 v2, v3, v27, vcc
	v_mov_b32_e32 v3, v28
	v_add_u32_e32 v4, 20, v36
	v_bfi_b32 v38, v38, 0, v2
	v_lshlrev_b64 v[48:49], v4, 1
	v_lshrrev_b64 v[2:3], v36, v[2:3]
	v_bfi_b32 v39, v39, 0, 0
	v_cmp_eq_u64_e64 s[18:19], v[38:39], v[48:49]
	v_mov_b32_e32 v4, v3
	v_mov_b32_e32 v3, v2
	s_and_saveexec_b64 s[92:93], s[18:19]
; %bb.8276:                             ;   in Loop: Header=BB6_7336 Depth=2
	v_bfe_u32 v3, v2, 21, 1
	v_add_co_u32_e64 v3, s[18:19], v2, v3
	v_add_co_u32_e64 v3, s[18:19], -1, v3
; %bb.8277:                             ;   in Loop: Header=BB6_7336 Depth=2
	s_or_b64 exec, exec, s[92:93]
	v_add_u32_e32 v4, 0xffffff81, v33
	v_mov_b32_e32 v27, 0xffffff82
	v_cndmask_b32_e32 v4, v4, v27, vcc
	v_lshrrev_b32_e32 v27, 23, v2
	v_add3_u32 v36, v36, v4, v27
	v_add_u32_e32 v33, 14, v36
	v_and_b32_e32 v3, 0x1fffff, v3
	v_add_u32_e32 v27, v3, v2
	v_cmp_ne_u32_e32 vcc, 0, v33
                                        ; implicit-def: $vgpr2_vgpr3
                                        ; implicit-def: $vgpr4
	s_and_saveexec_b64 s[18:19], vcc
	s_xor_b64 s[18:19], exec, s[18:19]
; %bb.8278:                             ;   in Loop: Header=BB6_7336 Depth=2
	v_cmp_lt_u64_e32 vcc, s[62:63], v[27:28]
	v_add_u32_e32 v2, 15, v36
	v_cndmask_b32_e32 v4, v33, v2, vcc
	v_cndmask_b32_e64 v2, 0, 1, vcc
	v_lshrrev_b64 v[2:3], v2, v[27:28]
; %bb.8279:                             ;   in Loop: Header=BB6_7336 Depth=2
	s_andn2_saveexec_b64 s[18:19], s[18:19]
; %bb.8280:                             ;   in Loop: Header=BB6_7336 Depth=2
	v_mov_b32_e32 v2, v27
	v_mov_b32_e32 v3, v28
	v_bfe_u32 v4, v27, 23, 1
; %bb.8281:                             ;   in Loop: Header=BB6_7336 Depth=2
	s_or_b64 exec, exec, s[18:19]
	v_lshrrev_b64 v[2:3], 21, v[2:3]
	v_cmp_gt_i32_e32 vcc, 32, v4
	v_cndmask_b32_e32 v3, 0, v3, vcc
	v_cndmask_b32_e32 v2, 3, v2, vcc
	v_cmp_ne_u64_e32 vcc, 0, v[2:3]
	v_cmp_ne_u32_e64 s[18:19], 0, v4
	s_or_b64 s[18:19], s[18:19], vcc
                                        ; implicit-def: $vgpr33
	s_and_saveexec_b64 s[92:93], s[18:19]
	s_xor_b64 s[18:19], exec, s[92:93]
; %bb.8282:                             ;   in Loop: Header=BB6_7336 Depth=2
	v_min_i32_e32 v3, 31, v4
	v_lshl_or_b32 v3, v3, 2, v34
	v_and_or_b32 v33, v2, 3, v3
                                        ; implicit-def: $vgpr34
; %bb.8283:                             ;   in Loop: Header=BB6_7336 Depth=2
	s_andn2_saveexec_b64 s[18:19], s[18:19]
; %bb.8284:                             ;   in Loop: Header=BB6_7336 Depth=2
	v_mov_b32_e32 v33, v34
; %bb.8285:                             ;   in Loop: Header=BB6_7336 Depth=2
	s_or_b64 exec, exec, s[18:19]
.LBB6_8286:                             ;   in Loop: Header=BB6_7336 Depth=2
	s_or_b64 exec, exec, s[90:91]
                                        ; implicit-def: $vgpr34
.LBB6_8287:                             ;   in Loop: Header=BB6_7336 Depth=2
	s_andn2_saveexec_b64 s[18:19], s[88:89]
; %bb.8288:                             ;   in Loop: Header=BB6_7336 Depth=2
	v_or_b32_e32 v33, 0x7b, v34
; %bb.8289:                             ;   in Loop: Header=BB6_7336 Depth=2
	s_or_b64 exec, exec, s[18:19]
                                        ; implicit-def: $vgpr2
.LBB6_8290:                             ;   in Loop: Header=BB6_7336 Depth=2
	s_andn2_saveexec_b64 s[18:19], s[78:79]
	s_cbranch_execz .LBB6_8296
; %bb.8291:                             ;   in Loop: Header=BB6_7336 Depth=2
	v_cmp_ne_u64_e32 vcc, 0, v[27:28]
                                        ; implicit-def: $vgpr33
	s_and_saveexec_b64 s[78:79], vcc
	s_xor_b64 s[78:79], exec, s[78:79]
; %bb.8292:                             ;   in Loop: Header=BB6_7336 Depth=2
	v_or_b32_sdwa v33, v2, s54 dst_sel:DWORD dst_unused:UNUSED_PAD src0_sel:BYTE_3 src1_sel:DWORD
                                        ; implicit-def: $vgpr2
; %bb.8293:                             ;   in Loop: Header=BB6_7336 Depth=2
	s_andn2_saveexec_b64 s[78:79], s[78:79]
; %bb.8294:                             ;   in Loop: Header=BB6_7336 Depth=2
	v_cmp_lt_i32_e32 vcc, -1, v2
	v_mov_b32_e32 v2, 0x7c
	v_cndmask_b32_e32 v33, -4, v2, vcc
; %bb.8295:                             ;   in Loop: Header=BB6_7336 Depth=2
	s_or_b64 exec, exec, s[78:79]
.LBB6_8296:                             ;   in Loop: Header=BB6_7336 Depth=2
	s_or_b64 exec, exec, s[18:19]
	buffer_load_dword v2, off, s[0:3], s33 offset:204 ; 4-byte Folded Reload
	buffer_load_dword v3, off, s[0:3], s33 offset:208 ; 4-byte Folded Reload
	s_waitcnt vmcnt(0)
	v_mov_b32_e32 v3, 0
	v_mov_b32_e32 v27, v2
	v_cmp_ne_u16_e32 vcc, 0, v27
	v_mov_b32_e32 v2, 0
	s_and_saveexec_b64 s[18:19], vcc
	s_cbranch_execz .LBB6_8304
; %bb.8297:                             ;   in Loop: Header=BB6_7336 Depth=2
	v_cmp_ne_u16_e32 vcc, s49, v27
	v_bfrev_b32_e32 v3, 1
	s_and_saveexec_b64 s[78:79], vcc
	s_cbranch_execz .LBB6_8303
; %bb.8298:                             ;   in Loop: Header=BB6_7336 Depth=2
	v_and_b32_e32 v3, 0x7c, v27
	v_and_b32_e32 v4, 3, v27
	v_cmp_ne_u32_e32 vcc, s50, v3
                                        ; implicit-def: $vgpr3
	s_and_saveexec_b64 s[88:89], vcc
	s_xor_b64 s[88:89], exec, s[88:89]
	s_cbranch_execz .LBB6_8300
; %bb.8299:                             ;   in Loop: Header=BB6_7336 Depth=2
	buffer_load_dword v48, off, s[0:3], s33 offset:204 ; 4-byte Folded Reload
	buffer_load_dword v49, off, s[0:3], s33 offset:208 ; 4-byte Folded Reload
	v_ffbh_u32_e32 v27, v4
	v_min_u32_e32 v27, 32, v27
	s_waitcnt vmcnt(0)
	v_mov_b32_e32 v49, v28
	v_subrev_u32_e32 v34, 29, v27
	v_sub_u32_e32 v27, 30, v27
	v_and_b32_e32 v3, 0xff, v48
	v_bfe_u32 v3, v3, 2, 5
	v_lshlrev_b64 v[38:39], v34, v[48:49]
	v_cmp_eq_u32_e32 vcc, 0, v3
	v_and_b32_e32 v34, 3, v38
	v_cndmask_b32_e32 v3, v3, v27, vcc
	v_and_b32_sdwa v27, sext(v48), s51 dst_sel:DWORD dst_unused:UNUSED_PAD src0_sel:WORD_0 src1_sel:DWORD
	v_cndmask_b32_e32 v4, v4, v34, vcc
	v_lshl_add_u32 v3, v3, 23, v27
	v_lshl_or_b32 v3, v4, 21, v3
	v_add_u32_e32 v3, 0x38000000, v3
                                        ; implicit-def: $vgpr27
                                        ; implicit-def: $vgpr4
	buffer_store_dword v27, off, s[0:3], s33 offset:204 ; 4-byte Folded Spill
	s_nop 0
	buffer_store_dword v28, off, s[0:3], s33 offset:208 ; 4-byte Folded Spill
.LBB6_8300:                             ;   in Loop: Header=BB6_7336 Depth=2
	s_andn2_saveexec_b64 s[88:89], s[88:89]
	s_cbranch_execz .LBB6_8302
; %bb.8301:                             ;   in Loop: Header=BB6_7336 Depth=2
	buffer_load_dword v38, off, s[0:3], s33 offset:204 ; 4-byte Folded Reload
	buffer_load_dword v39, off, s[0:3], s33 offset:208 ; 4-byte Folded Reload
	v_mov_b32_e32 v3, 0xff800000
	v_mov_b32_e32 v27, 0x7f800000
	s_waitcnt vmcnt(1)
	v_cmp_lt_i16_e32 vcc, -1, v38
	v_cndmask_b32_e32 v3, v3, v27, vcc
	v_cmp_eq_u32_e32 vcc, 0, v4
	v_mov_b32_e32 v4, 0x7f800001
	v_cndmask_b32_e32 v3, v4, v3, vcc
.LBB6_8302:                             ;   in Loop: Header=BB6_7336 Depth=2
	s_or_b64 exec, exec, s[88:89]
.LBB6_8303:                             ;   in Loop: Header=BB6_7336 Depth=2
	s_or_b64 exec, exec, s[78:79]
.LBB6_8304:                             ;   in Loop: Header=BB6_7336 Depth=2
	s_or_b64 exec, exec, s[18:19]
	buffer_load_dword v38, off, s[0:3], s33 offset:196 ; 4-byte Folded Reload
	buffer_load_dword v39, off, s[0:3], s33 offset:200 ; 4-byte Folded Reload
	s_waitcnt vmcnt(1)
	v_mov_b32_e32 v27, v38
	v_cmp_ne_u16_e32 vcc, 0, v27
	s_and_saveexec_b64 s[18:19], vcc
	s_cbranch_execz .LBB6_8312
; %bb.8305:                             ;   in Loop: Header=BB6_7336 Depth=2
	v_cmp_ne_u16_e32 vcc, s49, v27
	v_bfrev_b32_e32 v2, 1
	s_and_saveexec_b64 s[78:79], vcc
	s_cbranch_execz .LBB6_8311
; %bb.8306:                             ;   in Loop: Header=BB6_7336 Depth=2
	v_and_b32_e32 v2, 0x7c, v27
	v_and_b32_e32 v4, 3, v27
	v_cmp_ne_u32_e32 vcc, s50, v2
                                        ; implicit-def: $vgpr2
	s_and_saveexec_b64 s[88:89], vcc
	s_xor_b64 s[88:89], exec, s[88:89]
	s_cbranch_execz .LBB6_8308
; %bb.8307:                             ;   in Loop: Header=BB6_7336 Depth=2
	buffer_load_dword v48, off, s[0:3], s33 offset:196 ; 4-byte Folded Reload
	buffer_load_dword v49, off, s[0:3], s33 offset:200 ; 4-byte Folded Reload
	v_ffbh_u32_e32 v27, v4
	v_min_u32_e32 v27, 32, v27
	s_waitcnt vmcnt(0)
	v_mov_b32_e32 v49, v28
	v_subrev_u32_e32 v34, 29, v27
	v_sub_u32_e32 v27, 30, v27
	v_and_b32_e32 v2, 0xff, v48
	v_bfe_u32 v2, v2, 2, 5
	v_lshlrev_b64 v[38:39], v34, v[48:49]
	v_cmp_eq_u32_e32 vcc, 0, v2
	v_and_b32_e32 v34, 3, v38
	v_cndmask_b32_e32 v2, v2, v27, vcc
	v_and_b32_sdwa v27, sext(v48), s51 dst_sel:DWORD dst_unused:UNUSED_PAD src0_sel:WORD_0 src1_sel:DWORD
	v_cndmask_b32_e32 v4, v4, v34, vcc
	v_lshl_add_u32 v2, v2, 23, v27
	v_lshl_or_b32 v2, v4, 21, v2
	v_add_u32_e32 v2, 0x38000000, v2
                                        ; implicit-def: $vgpr27
                                        ; implicit-def: $vgpr4
	buffer_store_dword v27, off, s[0:3], s33 offset:196 ; 4-byte Folded Spill
	s_nop 0
	buffer_store_dword v28, off, s[0:3], s33 offset:200 ; 4-byte Folded Spill
.LBB6_8308:                             ;   in Loop: Header=BB6_7336 Depth=2
	s_andn2_saveexec_b64 s[88:89], s[88:89]
	s_cbranch_execz .LBB6_8310
; %bb.8309:                             ;   in Loop: Header=BB6_7336 Depth=2
	buffer_load_dword v38, off, s[0:3], s33 offset:196 ; 4-byte Folded Reload
	buffer_load_dword v39, off, s[0:3], s33 offset:200 ; 4-byte Folded Reload
	v_mov_b32_e32 v2, 0xff800000
	v_mov_b32_e32 v27, 0x7f800000
	s_waitcnt vmcnt(1)
	v_cmp_lt_i16_e32 vcc, -1, v38
	v_cndmask_b32_e32 v2, v2, v27, vcc
	v_cmp_eq_u32_e32 vcc, 0, v4
	v_mov_b32_e32 v4, 0x7f800001
	v_cndmask_b32_e32 v2, v4, v2, vcc
.LBB6_8310:                             ;   in Loop: Header=BB6_7336 Depth=2
	s_or_b64 exec, exec, s[88:89]
.LBB6_8311:                             ;   in Loop: Header=BB6_7336 Depth=2
	s_or_b64 exec, exec, s[78:79]
.LBB6_8312:                             ;   in Loop: Header=BB6_7336 Depth=2
	s_or_b64 exec, exec, s[18:19]
	v_mul_f32_e32 v2, v3, v2
	v_and_b32_e32 v3, 0x7f800000, v2
	v_mov_b32_e32 v4, v28
	v_cmp_ne_u64_e32 vcc, s[58:59], v[3:4]
	v_and_b32_e32 v27, 0x7fffff, v2
                                        ; implicit-def: $vgpr34
	s_and_saveexec_b64 s[18:19], vcc
	s_xor_b64 s[78:79], exec, s[18:19]
	s_cbranch_execz .LBB6_8330
; %bb.8313:                             ;   in Loop: Header=BB6_7336 Depth=2
	v_and_b32_e32 v3, 0x7fffffff, v2
	v_mov_b32_e32 v4, v28
	v_cmp_gt_u64_e32 vcc, s[60:61], v[3:4]
	v_and_b32_sdwa v36, v2, s52 dst_sel:DWORD dst_unused:UNUSED_PAD src0_sel:BYTE_3 src1_sel:DWORD
                                        ; implicit-def: $vgpr34
	s_and_saveexec_b64 s[18:19], vcc
	s_xor_b64 s[88:89], exec, s[18:19]
	s_cbranch_execz .LBB6_8327
; %bb.8314:                             ;   in Loop: Header=BB6_7336 Depth=2
	v_cmp_ne_u32_e32 vcc, 0, v2
	v_mov_b32_e32 v34, 0
	s_and_saveexec_b64 s[90:91], vcc
	s_cbranch_execz .LBB6_8326
; %bb.8315:                             ;   in Loop: Header=BB6_7336 Depth=2
	v_bfe_u32 v34, v2, 23, 8
	v_cmp_gt_u32_e64 s[18:19], s53, v34
	v_sub_u32_e32 v2, 0x71, v34
	v_cmp_eq_u32_e32 vcc, 0, v34
	v_cndmask_b32_e64 v2, 0, v2, s[18:19]
	v_mov_b32_e32 v4, 0x70
	v_cndmask_b32_e32 v38, v2, v4, vcc
	v_add_u32_e32 v4, 21, v38
	v_or_b32_e32 v3, 0x800000, v27
	v_lshlrev_b64 v[48:49], v4, -1
	v_cndmask_b32_e32 v2, v3, v27, vcc
	v_mov_b32_e32 v3, v28
	v_add_u32_e32 v4, 20, v38
	v_bfi_b32 v48, v48, 0, v2
	v_lshlrev_b64 v[50:51], v4, 1
	v_lshrrev_b64 v[2:3], v38, v[2:3]
	v_bfi_b32 v49, v49, 0, 0
	v_cmp_eq_u64_e64 s[18:19], v[48:49], v[50:51]
	v_mov_b32_e32 v4, v3
	v_mov_b32_e32 v3, v2
	s_and_saveexec_b64 s[92:93], s[18:19]
; %bb.8316:                             ;   in Loop: Header=BB6_7336 Depth=2
	v_bfe_u32 v3, v2, 21, 1
	v_add_co_u32_e64 v3, s[18:19], v2, v3
	v_add_co_u32_e64 v3, s[18:19], -1, v3
; %bb.8317:                             ;   in Loop: Header=BB6_7336 Depth=2
	s_or_b64 exec, exec, s[92:93]
	v_add_u32_e32 v4, 0xffffff81, v34
	v_mov_b32_e32 v27, 0xffffff82
	v_cndmask_b32_e32 v4, v4, v27, vcc
	v_lshrrev_b32_e32 v27, 23, v2
	v_add3_u32 v38, v38, v4, v27
	v_add_u32_e32 v34, 14, v38
	v_and_b32_e32 v3, 0x1fffff, v3
	v_add_u32_e32 v27, v3, v2
	v_cmp_ne_u32_e32 vcc, 0, v34
                                        ; implicit-def: $vgpr2_vgpr3
                                        ; implicit-def: $vgpr4
	s_and_saveexec_b64 s[18:19], vcc
	s_xor_b64 s[18:19], exec, s[18:19]
; %bb.8318:                             ;   in Loop: Header=BB6_7336 Depth=2
	v_cmp_lt_u64_e32 vcc, s[62:63], v[27:28]
	v_add_u32_e32 v2, 15, v38
	v_cndmask_b32_e32 v4, v34, v2, vcc
	v_cndmask_b32_e64 v2, 0, 1, vcc
	v_lshrrev_b64 v[2:3], v2, v[27:28]
; %bb.8319:                             ;   in Loop: Header=BB6_7336 Depth=2
	s_andn2_saveexec_b64 s[18:19], s[18:19]
; %bb.8320:                             ;   in Loop: Header=BB6_7336 Depth=2
	v_mov_b32_e32 v2, v27
	v_mov_b32_e32 v3, v28
	v_bfe_u32 v4, v27, 23, 1
; %bb.8321:                             ;   in Loop: Header=BB6_7336 Depth=2
	s_or_b64 exec, exec, s[18:19]
	v_lshrrev_b64 v[2:3], 21, v[2:3]
	v_cmp_gt_i32_e32 vcc, 32, v4
	v_cndmask_b32_e32 v3, 0, v3, vcc
	v_cndmask_b32_e32 v2, 3, v2, vcc
	v_cmp_ne_u64_e32 vcc, 0, v[2:3]
	v_cmp_ne_u32_e64 s[18:19], 0, v4
	s_or_b64 s[18:19], s[18:19], vcc
                                        ; implicit-def: $vgpr34
	s_and_saveexec_b64 s[92:93], s[18:19]
	s_xor_b64 s[18:19], exec, s[92:93]
; %bb.8322:                             ;   in Loop: Header=BB6_7336 Depth=2
	v_min_i32_e32 v3, 31, v4
	v_lshl_or_b32 v3, v3, 2, v36
	v_and_or_b32 v34, v2, 3, v3
                                        ; implicit-def: $vgpr36
; %bb.8323:                             ;   in Loop: Header=BB6_7336 Depth=2
	s_andn2_saveexec_b64 s[18:19], s[18:19]
; %bb.8324:                             ;   in Loop: Header=BB6_7336 Depth=2
	v_mov_b32_e32 v34, v36
; %bb.8325:                             ;   in Loop: Header=BB6_7336 Depth=2
	s_or_b64 exec, exec, s[18:19]
.LBB6_8326:                             ;   in Loop: Header=BB6_7336 Depth=2
	s_or_b64 exec, exec, s[90:91]
                                        ; implicit-def: $vgpr36
.LBB6_8327:                             ;   in Loop: Header=BB6_7336 Depth=2
	s_andn2_saveexec_b64 s[18:19], s[88:89]
; %bb.8328:                             ;   in Loop: Header=BB6_7336 Depth=2
	v_or_b32_e32 v34, 0x7b, v36
; %bb.8329:                             ;   in Loop: Header=BB6_7336 Depth=2
	s_or_b64 exec, exec, s[18:19]
                                        ; implicit-def: $vgpr2
.LBB6_8330:                             ;   in Loop: Header=BB6_7336 Depth=2
	s_andn2_saveexec_b64 s[18:19], s[78:79]
	s_cbranch_execz .LBB6_8336
; %bb.8331:                             ;   in Loop: Header=BB6_7336 Depth=2
	v_cmp_ne_u64_e32 vcc, 0, v[27:28]
                                        ; implicit-def: $vgpr34
	s_and_saveexec_b64 s[78:79], vcc
	s_xor_b64 s[78:79], exec, s[78:79]
; %bb.8332:                             ;   in Loop: Header=BB6_7336 Depth=2
	v_or_b32_sdwa v34, v2, s54 dst_sel:DWORD dst_unused:UNUSED_PAD src0_sel:BYTE_3 src1_sel:DWORD
                                        ; implicit-def: $vgpr2
; %bb.8333:                             ;   in Loop: Header=BB6_7336 Depth=2
	s_andn2_saveexec_b64 s[78:79], s[78:79]
; %bb.8334:                             ;   in Loop: Header=BB6_7336 Depth=2
	v_cmp_lt_i32_e32 vcc, -1, v2
	v_mov_b32_e32 v2, 0x7c
	v_cndmask_b32_e32 v34, -4, v2, vcc
; %bb.8335:                             ;   in Loop: Header=BB6_7336 Depth=2
	s_or_b64 exec, exec, s[78:79]
.LBB6_8336:                             ;   in Loop: Header=BB6_7336 Depth=2
	s_or_b64 exec, exec, s[18:19]
	buffer_load_dword v2, off, s[0:3], s33 offset:188 ; 4-byte Folded Reload
	buffer_load_dword v3, off, s[0:3], s33 offset:192 ; 4-byte Folded Reload
	s_waitcnt vmcnt(0)
	v_mov_b32_e32 v3, 0
	v_mov_b32_e32 v27, v2
	v_cmp_ne_u16_e32 vcc, 0, v27
	v_mov_b32_e32 v2, 0
	s_and_saveexec_b64 s[18:19], vcc
	s_cbranch_execz .LBB6_8344
; %bb.8337:                             ;   in Loop: Header=BB6_7336 Depth=2
	v_cmp_ne_u16_e32 vcc, s49, v27
	v_bfrev_b32_e32 v3, 1
	s_and_saveexec_b64 s[78:79], vcc
	s_cbranch_execz .LBB6_8343
; %bb.8338:                             ;   in Loop: Header=BB6_7336 Depth=2
	v_and_b32_e32 v3, 0x7c, v27
	v_and_b32_e32 v4, 3, v27
	v_cmp_ne_u32_e32 vcc, s50, v3
                                        ; implicit-def: $vgpr3
	s_and_saveexec_b64 s[88:89], vcc
	s_xor_b64 s[88:89], exec, s[88:89]
	s_cbranch_execz .LBB6_8340
; %bb.8339:                             ;   in Loop: Header=BB6_7336 Depth=2
	buffer_load_dword v48, off, s[0:3], s33 offset:188 ; 4-byte Folded Reload
	buffer_load_dword v49, off, s[0:3], s33 offset:192 ; 4-byte Folded Reload
	v_ffbh_u32_e32 v27, v4
	v_min_u32_e32 v27, 32, v27
	s_waitcnt vmcnt(0)
	v_mov_b32_e32 v49, v28
	v_subrev_u32_e32 v36, 29, v27
	v_sub_u32_e32 v27, 30, v27
	v_and_b32_e32 v3, 0xff, v48
	v_bfe_u32 v3, v3, 2, 5
	v_lshlrev_b64 v[38:39], v36, v[48:49]
	v_cmp_eq_u32_e32 vcc, 0, v3
	v_and_b32_e32 v36, 3, v38
	v_cndmask_b32_e32 v3, v3, v27, vcc
	v_and_b32_sdwa v27, sext(v48), s51 dst_sel:DWORD dst_unused:UNUSED_PAD src0_sel:WORD_0 src1_sel:DWORD
	v_cndmask_b32_e32 v4, v4, v36, vcc
	v_lshl_add_u32 v3, v3, 23, v27
	v_lshl_or_b32 v3, v4, 21, v3
	v_add_u32_e32 v3, 0x38000000, v3
                                        ; implicit-def: $vgpr27
                                        ; implicit-def: $vgpr4
	buffer_store_dword v27, off, s[0:3], s33 offset:188 ; 4-byte Folded Spill
	s_nop 0
	buffer_store_dword v28, off, s[0:3], s33 offset:192 ; 4-byte Folded Spill
.LBB6_8340:                             ;   in Loop: Header=BB6_7336 Depth=2
	s_andn2_saveexec_b64 s[88:89], s[88:89]
	s_cbranch_execz .LBB6_8342
; %bb.8341:                             ;   in Loop: Header=BB6_7336 Depth=2
	buffer_load_dword v38, off, s[0:3], s33 offset:188 ; 4-byte Folded Reload
	buffer_load_dword v39, off, s[0:3], s33 offset:192 ; 4-byte Folded Reload
	v_mov_b32_e32 v3, 0xff800000
	v_mov_b32_e32 v27, 0x7f800000
	s_waitcnt vmcnt(1)
	v_cmp_lt_i16_e32 vcc, -1, v38
	v_cndmask_b32_e32 v3, v3, v27, vcc
	v_cmp_eq_u32_e32 vcc, 0, v4
	v_mov_b32_e32 v4, 0x7f800001
	v_cndmask_b32_e32 v3, v4, v3, vcc
.LBB6_8342:                             ;   in Loop: Header=BB6_7336 Depth=2
	s_or_b64 exec, exec, s[88:89]
.LBB6_8343:                             ;   in Loop: Header=BB6_7336 Depth=2
	s_or_b64 exec, exec, s[78:79]
.LBB6_8344:                             ;   in Loop: Header=BB6_7336 Depth=2
	s_or_b64 exec, exec, s[18:19]
	buffer_load_dword v38, off, s[0:3], s33 offset:180 ; 4-byte Folded Reload
	buffer_load_dword v39, off, s[0:3], s33 offset:184 ; 4-byte Folded Reload
	s_waitcnt vmcnt(1)
	v_mov_b32_e32 v27, v38
	v_cmp_ne_u16_e32 vcc, 0, v27
	s_and_saveexec_b64 s[18:19], vcc
	s_cbranch_execz .LBB6_8352
; %bb.8345:                             ;   in Loop: Header=BB6_7336 Depth=2
	v_cmp_ne_u16_e32 vcc, s49, v27
	v_bfrev_b32_e32 v2, 1
	s_and_saveexec_b64 s[78:79], vcc
	s_cbranch_execz .LBB6_8351
; %bb.8346:                             ;   in Loop: Header=BB6_7336 Depth=2
	v_and_b32_e32 v2, 0x7c, v27
	v_and_b32_e32 v4, 3, v27
	v_cmp_ne_u32_e32 vcc, s50, v2
                                        ; implicit-def: $vgpr2
	s_and_saveexec_b64 s[88:89], vcc
	s_xor_b64 s[88:89], exec, s[88:89]
	s_cbranch_execz .LBB6_8348
; %bb.8347:                             ;   in Loop: Header=BB6_7336 Depth=2
	buffer_load_dword v48, off, s[0:3], s33 offset:180 ; 4-byte Folded Reload
	buffer_load_dword v49, off, s[0:3], s33 offset:184 ; 4-byte Folded Reload
	v_ffbh_u32_e32 v27, v4
	v_min_u32_e32 v27, 32, v27
	s_waitcnt vmcnt(0)
	v_mov_b32_e32 v49, v28
	v_subrev_u32_e32 v36, 29, v27
	v_sub_u32_e32 v27, 30, v27
	v_and_b32_e32 v2, 0xff, v48
	v_bfe_u32 v2, v2, 2, 5
	v_lshlrev_b64 v[38:39], v36, v[48:49]
	v_cmp_eq_u32_e32 vcc, 0, v2
	v_and_b32_e32 v36, 3, v38
	v_cndmask_b32_e32 v2, v2, v27, vcc
	v_and_b32_sdwa v27, sext(v48), s51 dst_sel:DWORD dst_unused:UNUSED_PAD src0_sel:WORD_0 src1_sel:DWORD
	v_cndmask_b32_e32 v4, v4, v36, vcc
	v_lshl_add_u32 v2, v2, 23, v27
	v_lshl_or_b32 v2, v4, 21, v2
	v_add_u32_e32 v2, 0x38000000, v2
                                        ; implicit-def: $vgpr27
                                        ; implicit-def: $vgpr4
	buffer_store_dword v27, off, s[0:3], s33 offset:180 ; 4-byte Folded Spill
	s_nop 0
	buffer_store_dword v28, off, s[0:3], s33 offset:184 ; 4-byte Folded Spill
.LBB6_8348:                             ;   in Loop: Header=BB6_7336 Depth=2
	s_andn2_saveexec_b64 s[88:89], s[88:89]
	s_cbranch_execz .LBB6_8350
; %bb.8349:                             ;   in Loop: Header=BB6_7336 Depth=2
	buffer_load_dword v38, off, s[0:3], s33 offset:180 ; 4-byte Folded Reload
	buffer_load_dword v39, off, s[0:3], s33 offset:184 ; 4-byte Folded Reload
	v_mov_b32_e32 v2, 0xff800000
	v_mov_b32_e32 v27, 0x7f800000
	s_waitcnt vmcnt(1)
	v_cmp_lt_i16_e32 vcc, -1, v38
	v_cndmask_b32_e32 v2, v2, v27, vcc
	v_cmp_eq_u32_e32 vcc, 0, v4
	v_mov_b32_e32 v4, 0x7f800001
	v_cndmask_b32_e32 v2, v4, v2, vcc
.LBB6_8350:                             ;   in Loop: Header=BB6_7336 Depth=2
	s_or_b64 exec, exec, s[88:89]
.LBB6_8351:                             ;   in Loop: Header=BB6_7336 Depth=2
	s_or_b64 exec, exec, s[78:79]
.LBB6_8352:                             ;   in Loop: Header=BB6_7336 Depth=2
	s_or_b64 exec, exec, s[18:19]
	v_mul_f32_e32 v2, v3, v2
	v_and_b32_e32 v3, 0x7f800000, v2
	v_mov_b32_e32 v4, v28
	v_cmp_ne_u64_e32 vcc, s[58:59], v[3:4]
	v_and_b32_e32 v27, 0x7fffff, v2
                                        ; implicit-def: $vgpr36
	s_and_saveexec_b64 s[18:19], vcc
	s_xor_b64 s[78:79], exec, s[18:19]
	s_cbranch_execz .LBB6_8370
; %bb.8353:                             ;   in Loop: Header=BB6_7336 Depth=2
	v_and_b32_e32 v3, 0x7fffffff, v2
	v_mov_b32_e32 v4, v28
	v_cmp_gt_u64_e32 vcc, s[60:61], v[3:4]
	v_and_b32_sdwa v38, v2, s52 dst_sel:DWORD dst_unused:UNUSED_PAD src0_sel:BYTE_3 src1_sel:DWORD
                                        ; implicit-def: $vgpr36
	s_and_saveexec_b64 s[18:19], vcc
	s_xor_b64 s[88:89], exec, s[18:19]
	s_cbranch_execz .LBB6_8367
; %bb.8354:                             ;   in Loop: Header=BB6_7336 Depth=2
	v_cmp_ne_u32_e32 vcc, 0, v2
	v_mov_b32_e32 v36, 0
	s_and_saveexec_b64 s[90:91], vcc
	s_cbranch_execz .LBB6_8366
; %bb.8355:                             ;   in Loop: Header=BB6_7336 Depth=2
	v_bfe_u32 v36, v2, 23, 8
	v_cmp_gt_u32_e64 s[18:19], s53, v36
	v_sub_u32_e32 v2, 0x71, v36
	v_cmp_eq_u32_e32 vcc, 0, v36
	v_cndmask_b32_e64 v2, 0, v2, s[18:19]
	v_mov_b32_e32 v4, 0x70
	s_waitcnt vmcnt(0)
	v_cndmask_b32_e32 v39, v2, v4, vcc
	v_add_u32_e32 v4, 21, v39
	v_or_b32_e32 v3, 0x800000, v27
	v_lshlrev_b64 v[48:49], v4, -1
	v_cndmask_b32_e32 v2, v3, v27, vcc
	v_mov_b32_e32 v3, v28
	v_add_u32_e32 v4, 20, v39
	v_bfi_b32 v48, v48, 0, v2
	v_lshlrev_b64 v[50:51], v4, 1
	v_lshrrev_b64 v[2:3], v39, v[2:3]
	v_bfi_b32 v49, v49, 0, 0
	v_cmp_eq_u64_e64 s[18:19], v[48:49], v[50:51]
	v_mov_b32_e32 v4, v3
	v_mov_b32_e32 v3, v2
	s_and_saveexec_b64 s[92:93], s[18:19]
; %bb.8356:                             ;   in Loop: Header=BB6_7336 Depth=2
	v_bfe_u32 v3, v2, 21, 1
	v_add_co_u32_e64 v3, s[18:19], v2, v3
	v_add_co_u32_e64 v3, s[18:19], -1, v3
; %bb.8357:                             ;   in Loop: Header=BB6_7336 Depth=2
	s_or_b64 exec, exec, s[92:93]
	v_add_u32_e32 v4, 0xffffff81, v36
	v_mov_b32_e32 v27, 0xffffff82
	v_cndmask_b32_e32 v4, v4, v27, vcc
	v_lshrrev_b32_e32 v27, 23, v2
	v_add3_u32 v39, v39, v4, v27
	v_add_u32_e32 v36, 14, v39
	v_and_b32_e32 v3, 0x1fffff, v3
	v_add_u32_e32 v27, v3, v2
	v_cmp_ne_u32_e32 vcc, 0, v36
                                        ; implicit-def: $vgpr2_vgpr3
                                        ; implicit-def: $vgpr4
	s_and_saveexec_b64 s[18:19], vcc
	s_xor_b64 s[18:19], exec, s[18:19]
; %bb.8358:                             ;   in Loop: Header=BB6_7336 Depth=2
	v_cmp_lt_u64_e32 vcc, s[62:63], v[27:28]
	v_add_u32_e32 v2, 15, v39
	v_cndmask_b32_e32 v4, v36, v2, vcc
	v_cndmask_b32_e64 v2, 0, 1, vcc
	v_lshrrev_b64 v[2:3], v2, v[27:28]
; %bb.8359:                             ;   in Loop: Header=BB6_7336 Depth=2
	s_andn2_saveexec_b64 s[18:19], s[18:19]
; %bb.8360:                             ;   in Loop: Header=BB6_7336 Depth=2
	v_mov_b32_e32 v2, v27
	v_mov_b32_e32 v3, v28
	v_bfe_u32 v4, v27, 23, 1
; %bb.8361:                             ;   in Loop: Header=BB6_7336 Depth=2
	s_or_b64 exec, exec, s[18:19]
	v_lshrrev_b64 v[2:3], 21, v[2:3]
	v_cmp_gt_i32_e32 vcc, 32, v4
	v_cndmask_b32_e32 v3, 0, v3, vcc
	v_cndmask_b32_e32 v2, 3, v2, vcc
	v_cmp_ne_u64_e32 vcc, 0, v[2:3]
	v_cmp_ne_u32_e64 s[18:19], 0, v4
	s_or_b64 s[18:19], s[18:19], vcc
                                        ; implicit-def: $vgpr36
	s_and_saveexec_b64 s[92:93], s[18:19]
	s_xor_b64 s[18:19], exec, s[92:93]
; %bb.8362:                             ;   in Loop: Header=BB6_7336 Depth=2
	v_min_i32_e32 v3, 31, v4
	v_lshl_or_b32 v3, v3, 2, v38
	v_and_or_b32 v36, v2, 3, v3
                                        ; implicit-def: $vgpr38
; %bb.8363:                             ;   in Loop: Header=BB6_7336 Depth=2
	s_andn2_saveexec_b64 s[18:19], s[18:19]
; %bb.8364:                             ;   in Loop: Header=BB6_7336 Depth=2
	v_mov_b32_e32 v36, v38
; %bb.8365:                             ;   in Loop: Header=BB6_7336 Depth=2
	s_or_b64 exec, exec, s[18:19]
.LBB6_8366:                             ;   in Loop: Header=BB6_7336 Depth=2
	s_or_b64 exec, exec, s[90:91]
                                        ; implicit-def: $vgpr38
.LBB6_8367:                             ;   in Loop: Header=BB6_7336 Depth=2
	s_andn2_saveexec_b64 s[18:19], s[88:89]
; %bb.8368:                             ;   in Loop: Header=BB6_7336 Depth=2
	v_or_b32_e32 v36, 0x7b, v38
; %bb.8369:                             ;   in Loop: Header=BB6_7336 Depth=2
	s_or_b64 exec, exec, s[18:19]
                                        ; implicit-def: $vgpr2
.LBB6_8370:                             ;   in Loop: Header=BB6_7336 Depth=2
	s_andn2_saveexec_b64 s[18:19], s[78:79]
	s_cbranch_execz .LBB6_8376
; %bb.8371:                             ;   in Loop: Header=BB6_7336 Depth=2
	v_cmp_ne_u64_e32 vcc, 0, v[27:28]
                                        ; implicit-def: $vgpr36
	s_and_saveexec_b64 s[78:79], vcc
	s_xor_b64 s[78:79], exec, s[78:79]
; %bb.8372:                             ;   in Loop: Header=BB6_7336 Depth=2
	v_or_b32_sdwa v36, v2, s54 dst_sel:DWORD dst_unused:UNUSED_PAD src0_sel:BYTE_3 src1_sel:DWORD
                                        ; implicit-def: $vgpr2
; %bb.8373:                             ;   in Loop: Header=BB6_7336 Depth=2
	s_andn2_saveexec_b64 s[78:79], s[78:79]
; %bb.8374:                             ;   in Loop: Header=BB6_7336 Depth=2
	v_cmp_lt_i32_e32 vcc, -1, v2
	v_mov_b32_e32 v2, 0x7c
	v_cndmask_b32_e32 v36, -4, v2, vcc
; %bb.8375:                             ;   in Loop: Header=BB6_7336 Depth=2
	s_or_b64 exec, exec, s[78:79]
.LBB6_8376:                             ;   in Loop: Header=BB6_7336 Depth=2
	s_or_b64 exec, exec, s[18:19]
	buffer_load_dword v2, off, s[0:3], s33 offset:172 ; 4-byte Folded Reload
	buffer_load_dword v3, off, s[0:3], s33 offset:176 ; 4-byte Folded Reload
	s_waitcnt vmcnt(0)
	v_mov_b32_e32 v3, 0
	v_mov_b32_e32 v27, v2
	v_cmp_ne_u16_e32 vcc, 0, v27
	v_mov_b32_e32 v2, 0
	s_and_saveexec_b64 s[18:19], vcc
	s_cbranch_execz .LBB6_8384
; %bb.8377:                             ;   in Loop: Header=BB6_7336 Depth=2
	v_cmp_ne_u16_e32 vcc, s49, v27
	v_bfrev_b32_e32 v3, 1
	s_and_saveexec_b64 s[78:79], vcc
	s_cbranch_execz .LBB6_8383
; %bb.8378:                             ;   in Loop: Header=BB6_7336 Depth=2
	v_and_b32_e32 v3, 0x7c, v27
	v_and_b32_e32 v4, 3, v27
	v_cmp_ne_u32_e32 vcc, s50, v3
                                        ; implicit-def: $vgpr3
	s_and_saveexec_b64 s[88:89], vcc
	s_xor_b64 s[88:89], exec, s[88:89]
	s_cbranch_execz .LBB6_8380
; %bb.8379:                             ;   in Loop: Header=BB6_7336 Depth=2
	buffer_load_dword v48, off, s[0:3], s33 offset:172 ; 4-byte Folded Reload
	buffer_load_dword v49, off, s[0:3], s33 offset:176 ; 4-byte Folded Reload
	v_ffbh_u32_e32 v27, v4
	v_min_u32_e32 v27, 32, v27
	s_waitcnt vmcnt(0)
	v_mov_b32_e32 v49, v28
	v_subrev_u32_e32 v38, 29, v27
	v_sub_u32_e32 v27, 30, v27
	v_and_b32_e32 v3, 0xff, v48
	v_bfe_u32 v3, v3, 2, 5
	v_lshlrev_b64 v[38:39], v38, v[48:49]
	v_cmp_eq_u32_e32 vcc, 0, v3
	v_and_b32_e32 v38, 3, v38
	v_cndmask_b32_e32 v3, v3, v27, vcc
	v_and_b32_sdwa v27, sext(v48), s51 dst_sel:DWORD dst_unused:UNUSED_PAD src0_sel:WORD_0 src1_sel:DWORD
	v_cndmask_b32_e32 v4, v4, v38, vcc
	v_lshl_add_u32 v3, v3, 23, v27
	v_lshl_or_b32 v3, v4, 21, v3
	v_add_u32_e32 v3, 0x38000000, v3
                                        ; implicit-def: $vgpr27
                                        ; implicit-def: $vgpr4
	buffer_store_dword v27, off, s[0:3], s33 offset:172 ; 4-byte Folded Spill
	s_nop 0
	buffer_store_dword v28, off, s[0:3], s33 offset:176 ; 4-byte Folded Spill
.LBB6_8380:                             ;   in Loop: Header=BB6_7336 Depth=2
	s_andn2_saveexec_b64 s[88:89], s[88:89]
	s_cbranch_execz .LBB6_8382
; %bb.8381:                             ;   in Loop: Header=BB6_7336 Depth=2
	buffer_load_dword v38, off, s[0:3], s33 offset:172 ; 4-byte Folded Reload
	buffer_load_dword v39, off, s[0:3], s33 offset:176 ; 4-byte Folded Reload
	v_mov_b32_e32 v3, 0xff800000
	v_mov_b32_e32 v27, 0x7f800000
	s_waitcnt vmcnt(1)
	v_cmp_lt_i16_e32 vcc, -1, v38
	v_cndmask_b32_e32 v3, v3, v27, vcc
	v_cmp_eq_u32_e32 vcc, 0, v4
	v_mov_b32_e32 v4, 0x7f800001
	v_cndmask_b32_e32 v3, v4, v3, vcc
.LBB6_8382:                             ;   in Loop: Header=BB6_7336 Depth=2
	s_or_b64 exec, exec, s[88:89]
.LBB6_8383:                             ;   in Loop: Header=BB6_7336 Depth=2
	s_or_b64 exec, exec, s[78:79]
.LBB6_8384:                             ;   in Loop: Header=BB6_7336 Depth=2
	s_or_b64 exec, exec, s[18:19]
	buffer_load_dword v38, off, s[0:3], s33 offset:164 ; 4-byte Folded Reload
	buffer_load_dword v39, off, s[0:3], s33 offset:168 ; 4-byte Folded Reload
	s_waitcnt vmcnt(1)
	v_mov_b32_e32 v27, v38
	v_cmp_ne_u16_e32 vcc, 0, v27
	s_and_saveexec_b64 s[18:19], vcc
	s_cbranch_execz .LBB6_8392
; %bb.8385:                             ;   in Loop: Header=BB6_7336 Depth=2
	v_cmp_ne_u16_e32 vcc, s49, v27
	v_bfrev_b32_e32 v2, 1
	s_and_saveexec_b64 s[78:79], vcc
	s_cbranch_execz .LBB6_8391
; %bb.8386:                             ;   in Loop: Header=BB6_7336 Depth=2
	v_and_b32_e32 v2, 0x7c, v27
	v_and_b32_e32 v4, 3, v27
	v_cmp_ne_u32_e32 vcc, s50, v2
                                        ; implicit-def: $vgpr2
	s_and_saveexec_b64 s[88:89], vcc
	s_xor_b64 s[88:89], exec, s[88:89]
	s_cbranch_execz .LBB6_8388
; %bb.8387:                             ;   in Loop: Header=BB6_7336 Depth=2
	buffer_load_dword v48, off, s[0:3], s33 offset:164 ; 4-byte Folded Reload
	buffer_load_dword v49, off, s[0:3], s33 offset:168 ; 4-byte Folded Reload
	v_ffbh_u32_e32 v27, v4
	v_min_u32_e32 v27, 32, v27
	s_waitcnt vmcnt(0)
	v_mov_b32_e32 v49, v28
	v_subrev_u32_e32 v38, 29, v27
	v_sub_u32_e32 v27, 30, v27
	v_and_b32_e32 v2, 0xff, v48
	v_bfe_u32 v2, v2, 2, 5
	v_lshlrev_b64 v[38:39], v38, v[48:49]
	v_cmp_eq_u32_e32 vcc, 0, v2
	v_and_b32_e32 v38, 3, v38
	v_cndmask_b32_e32 v2, v2, v27, vcc
	v_and_b32_sdwa v27, sext(v48), s51 dst_sel:DWORD dst_unused:UNUSED_PAD src0_sel:WORD_0 src1_sel:DWORD
	v_cndmask_b32_e32 v4, v4, v38, vcc
	v_lshl_add_u32 v2, v2, 23, v27
	v_lshl_or_b32 v2, v4, 21, v2
	v_add_u32_e32 v2, 0x38000000, v2
                                        ; implicit-def: $vgpr27
                                        ; implicit-def: $vgpr4
	buffer_store_dword v27, off, s[0:3], s33 offset:164 ; 4-byte Folded Spill
	s_nop 0
	buffer_store_dword v28, off, s[0:3], s33 offset:168 ; 4-byte Folded Spill
.LBB6_8388:                             ;   in Loop: Header=BB6_7336 Depth=2
	s_andn2_saveexec_b64 s[88:89], s[88:89]
	s_cbranch_execz .LBB6_8390
; %bb.8389:                             ;   in Loop: Header=BB6_7336 Depth=2
	buffer_load_dword v38, off, s[0:3], s33 offset:164 ; 4-byte Folded Reload
	buffer_load_dword v39, off, s[0:3], s33 offset:168 ; 4-byte Folded Reload
	v_mov_b32_e32 v2, 0xff800000
	v_mov_b32_e32 v27, 0x7f800000
	s_waitcnt vmcnt(1)
	v_cmp_lt_i16_e32 vcc, -1, v38
	v_cndmask_b32_e32 v2, v2, v27, vcc
	v_cmp_eq_u32_e32 vcc, 0, v4
	v_mov_b32_e32 v4, 0x7f800001
	v_cndmask_b32_e32 v2, v4, v2, vcc
.LBB6_8390:                             ;   in Loop: Header=BB6_7336 Depth=2
	s_or_b64 exec, exec, s[88:89]
.LBB6_8391:                             ;   in Loop: Header=BB6_7336 Depth=2
	s_or_b64 exec, exec, s[78:79]
.LBB6_8392:                             ;   in Loop: Header=BB6_7336 Depth=2
	s_or_b64 exec, exec, s[18:19]
	v_mul_f32_e32 v2, v3, v2
	v_and_b32_e32 v3, 0x7f800000, v2
	v_mov_b32_e32 v4, v28
	v_cmp_ne_u64_e32 vcc, s[58:59], v[3:4]
	v_and_b32_e32 v27, 0x7fffff, v2
                                        ; implicit-def: $vgpr38
	s_and_saveexec_b64 s[18:19], vcc
	s_xor_b64 s[78:79], exec, s[18:19]
	s_cbranch_execz .LBB6_8410
; %bb.8393:                             ;   in Loop: Header=BB6_7336 Depth=2
	v_and_b32_e32 v3, 0x7fffffff, v2
	v_mov_b32_e32 v4, v28
	v_cmp_gt_u64_e32 vcc, s[60:61], v[3:4]
	s_waitcnt vmcnt(0)
	v_and_b32_sdwa v39, v2, s52 dst_sel:DWORD dst_unused:UNUSED_PAD src0_sel:BYTE_3 src1_sel:DWORD
                                        ; implicit-def: $vgpr38
	s_and_saveexec_b64 s[18:19], vcc
	s_xor_b64 s[88:89], exec, s[18:19]
	s_cbranch_execz .LBB6_8407
; %bb.8394:                             ;   in Loop: Header=BB6_7336 Depth=2
	v_cmp_ne_u32_e32 vcc, 0, v2
	v_mov_b32_e32 v38, 0
	s_and_saveexec_b64 s[90:91], vcc
	s_cbranch_execz .LBB6_8406
; %bb.8395:                             ;   in Loop: Header=BB6_7336 Depth=2
	v_bfe_u32 v38, v2, 23, 8
	v_cmp_gt_u32_e64 s[18:19], s53, v38
	v_sub_u32_e32 v2, 0x71, v38
	v_cmp_eq_u32_e32 vcc, 0, v38
	v_cndmask_b32_e64 v2, 0, v2, s[18:19]
	v_mov_b32_e32 v4, 0x70
	v_cndmask_b32_e32 v48, v2, v4, vcc
	v_add_u32_e32 v4, 21, v48
	v_or_b32_e32 v3, 0x800000, v27
	v_lshlrev_b64 v[49:50], v4, -1
	v_cndmask_b32_e32 v2, v3, v27, vcc
	v_mov_b32_e32 v3, v28
	v_add_u32_e32 v4, 20, v48
	v_bfi_b32 v49, v49, 0, v2
	v_lshlrev_b64 v[51:52], v4, 1
	v_lshrrev_b64 v[2:3], v48, v[2:3]
	v_bfi_b32 v50, v50, 0, 0
	v_cmp_eq_u64_e64 s[18:19], v[49:50], v[51:52]
	v_mov_b32_e32 v4, v3
	v_mov_b32_e32 v3, v2
	s_and_saveexec_b64 s[92:93], s[18:19]
; %bb.8396:                             ;   in Loop: Header=BB6_7336 Depth=2
	v_bfe_u32 v3, v2, 21, 1
	v_add_co_u32_e64 v3, s[18:19], v2, v3
	v_add_co_u32_e64 v3, s[18:19], -1, v3
; %bb.8397:                             ;   in Loop: Header=BB6_7336 Depth=2
	s_or_b64 exec, exec, s[92:93]
	v_add_u32_e32 v4, 0xffffff81, v38
	v_mov_b32_e32 v27, 0xffffff82
	v_cndmask_b32_e32 v4, v4, v27, vcc
	v_lshrrev_b32_e32 v27, 23, v2
	v_add3_u32 v48, v48, v4, v27
	v_add_u32_e32 v38, 14, v48
	v_and_b32_e32 v3, 0x1fffff, v3
	v_add_u32_e32 v27, v3, v2
	v_cmp_ne_u32_e32 vcc, 0, v38
                                        ; implicit-def: $vgpr2_vgpr3
                                        ; implicit-def: $vgpr4
	s_and_saveexec_b64 s[18:19], vcc
	s_xor_b64 s[18:19], exec, s[18:19]
; %bb.8398:                             ;   in Loop: Header=BB6_7336 Depth=2
	v_cmp_lt_u64_e32 vcc, s[62:63], v[27:28]
	v_add_u32_e32 v2, 15, v48
	v_cndmask_b32_e32 v4, v38, v2, vcc
	v_cndmask_b32_e64 v2, 0, 1, vcc
	v_lshrrev_b64 v[2:3], v2, v[27:28]
; %bb.8399:                             ;   in Loop: Header=BB6_7336 Depth=2
	s_andn2_saveexec_b64 s[18:19], s[18:19]
; %bb.8400:                             ;   in Loop: Header=BB6_7336 Depth=2
	v_mov_b32_e32 v2, v27
	v_mov_b32_e32 v3, v28
	v_bfe_u32 v4, v27, 23, 1
; %bb.8401:                             ;   in Loop: Header=BB6_7336 Depth=2
	s_or_b64 exec, exec, s[18:19]
	v_lshrrev_b64 v[2:3], 21, v[2:3]
	v_cmp_gt_i32_e32 vcc, 32, v4
	v_cndmask_b32_e32 v3, 0, v3, vcc
	v_cndmask_b32_e32 v2, 3, v2, vcc
	v_cmp_ne_u64_e32 vcc, 0, v[2:3]
	v_cmp_ne_u32_e64 s[18:19], 0, v4
	s_or_b64 s[18:19], s[18:19], vcc
                                        ; implicit-def: $vgpr38
	s_and_saveexec_b64 s[92:93], s[18:19]
	s_xor_b64 s[18:19], exec, s[92:93]
; %bb.8402:                             ;   in Loop: Header=BB6_7336 Depth=2
	v_min_i32_e32 v3, 31, v4
	v_lshl_or_b32 v3, v3, 2, v39
	v_and_or_b32 v38, v2, 3, v3
                                        ; implicit-def: $vgpr39
; %bb.8403:                             ;   in Loop: Header=BB6_7336 Depth=2
	s_andn2_saveexec_b64 s[18:19], s[18:19]
; %bb.8404:                             ;   in Loop: Header=BB6_7336 Depth=2
	v_mov_b32_e32 v38, v39
; %bb.8405:                             ;   in Loop: Header=BB6_7336 Depth=2
	s_or_b64 exec, exec, s[18:19]
.LBB6_8406:                             ;   in Loop: Header=BB6_7336 Depth=2
	s_or_b64 exec, exec, s[90:91]
                                        ; implicit-def: $vgpr39
.LBB6_8407:                             ;   in Loop: Header=BB6_7336 Depth=2
	s_andn2_saveexec_b64 s[18:19], s[88:89]
; %bb.8408:                             ;   in Loop: Header=BB6_7336 Depth=2
	v_or_b32_e32 v38, 0x7b, v39
; %bb.8409:                             ;   in Loop: Header=BB6_7336 Depth=2
	s_or_b64 exec, exec, s[18:19]
                                        ; implicit-def: $vgpr2
.LBB6_8410:                             ;   in Loop: Header=BB6_7336 Depth=2
	s_andn2_saveexec_b64 s[18:19], s[78:79]
	s_cbranch_execz .LBB6_8416
; %bb.8411:                             ;   in Loop: Header=BB6_7336 Depth=2
	v_cmp_ne_u64_e32 vcc, 0, v[27:28]
                                        ; implicit-def: $vgpr38
	s_and_saveexec_b64 s[78:79], vcc
	s_xor_b64 s[78:79], exec, s[78:79]
; %bb.8412:                             ;   in Loop: Header=BB6_7336 Depth=2
	v_or_b32_sdwa v38, v2, s54 dst_sel:DWORD dst_unused:UNUSED_PAD src0_sel:BYTE_3 src1_sel:DWORD
                                        ; implicit-def: $vgpr2
; %bb.8413:                             ;   in Loop: Header=BB6_7336 Depth=2
	s_andn2_saveexec_b64 s[78:79], s[78:79]
; %bb.8414:                             ;   in Loop: Header=BB6_7336 Depth=2
	v_cmp_lt_i32_e32 vcc, -1, v2
	v_mov_b32_e32 v2, 0x7c
	v_cndmask_b32_e32 v38, -4, v2, vcc
; %bb.8415:                             ;   in Loop: Header=BB6_7336 Depth=2
	s_or_b64 exec, exec, s[78:79]
.LBB6_8416:                             ;   in Loop: Header=BB6_7336 Depth=2
	s_or_b64 exec, exec, s[18:19]
	buffer_load_dword v2, off, s[0:3], s33 offset:156 ; 4-byte Folded Reload
	buffer_load_dword v3, off, s[0:3], s33 offset:160 ; 4-byte Folded Reload
	s_waitcnt vmcnt(0)
	v_mov_b32_e32 v3, 0
	v_mov_b32_e32 v27, v2
	v_cmp_ne_u16_e32 vcc, 0, v27
	v_mov_b32_e32 v2, 0
	s_and_saveexec_b64 s[18:19], vcc
	s_cbranch_execz .LBB6_8424
; %bb.8417:                             ;   in Loop: Header=BB6_7336 Depth=2
	v_cmp_ne_u16_e32 vcc, s49, v27
	v_bfrev_b32_e32 v3, 1
	s_and_saveexec_b64 s[78:79], vcc
	s_cbranch_execz .LBB6_8423
; %bb.8418:                             ;   in Loop: Header=BB6_7336 Depth=2
	v_and_b32_e32 v3, 0x7c, v27
	v_and_b32_e32 v4, 3, v27
	v_cmp_ne_u32_e32 vcc, s50, v3
                                        ; implicit-def: $vgpr3
	s_and_saveexec_b64 s[88:89], vcc
	s_xor_b64 s[88:89], exec, s[88:89]
	s_cbranch_execz .LBB6_8420
; %bb.8419:                             ;   in Loop: Header=BB6_7336 Depth=2
	buffer_load_dword v50, off, s[0:3], s33 offset:156 ; 4-byte Folded Reload
	buffer_load_dword v51, off, s[0:3], s33 offset:160 ; 4-byte Folded Reload
	v_ffbh_u32_e32 v27, v4
	v_min_u32_e32 v27, 32, v27
	s_waitcnt vmcnt(0)
	v_mov_b32_e32 v51, v28
	v_subrev_u32_e32 v39, 29, v27
	v_sub_u32_e32 v27, 30, v27
	v_and_b32_e32 v3, 0xff, v50
	v_bfe_u32 v3, v3, 2, 5
	v_lshlrev_b64 v[48:49], v39, v[50:51]
	v_cmp_eq_u32_e32 vcc, 0, v3
	v_and_b32_e32 v39, 3, v48
	v_cndmask_b32_e32 v3, v3, v27, vcc
	v_and_b32_sdwa v27, sext(v50), s51 dst_sel:DWORD dst_unused:UNUSED_PAD src0_sel:WORD_0 src1_sel:DWORD
	v_cndmask_b32_e32 v4, v4, v39, vcc
	v_lshl_add_u32 v3, v3, 23, v27
	v_lshl_or_b32 v3, v4, 21, v3
	v_add_u32_e32 v3, 0x38000000, v3
                                        ; implicit-def: $vgpr27
                                        ; implicit-def: $vgpr4
	buffer_store_dword v27, off, s[0:3], s33 offset:156 ; 4-byte Folded Spill
	s_nop 0
	buffer_store_dword v28, off, s[0:3], s33 offset:160 ; 4-byte Folded Spill
.LBB6_8420:                             ;   in Loop: Header=BB6_7336 Depth=2
	s_andn2_saveexec_b64 s[88:89], s[88:89]
	s_cbranch_execz .LBB6_8422
; %bb.8421:                             ;   in Loop: Header=BB6_7336 Depth=2
	buffer_load_dword v48, off, s[0:3], s33 offset:156 ; 4-byte Folded Reload
	buffer_load_dword v49, off, s[0:3], s33 offset:160 ; 4-byte Folded Reload
	v_mov_b32_e32 v3, 0xff800000
	v_mov_b32_e32 v27, 0x7f800000
	s_waitcnt vmcnt(1)
	v_cmp_lt_i16_e32 vcc, -1, v48
	v_cndmask_b32_e32 v3, v3, v27, vcc
	v_cmp_eq_u32_e32 vcc, 0, v4
	v_mov_b32_e32 v4, 0x7f800001
	v_cndmask_b32_e32 v3, v4, v3, vcc
.LBB6_8422:                             ;   in Loop: Header=BB6_7336 Depth=2
	s_or_b64 exec, exec, s[88:89]
.LBB6_8423:                             ;   in Loop: Header=BB6_7336 Depth=2
	s_or_b64 exec, exec, s[78:79]
.LBB6_8424:                             ;   in Loop: Header=BB6_7336 Depth=2
	s_or_b64 exec, exec, s[18:19]
	buffer_load_dword v48, off, s[0:3], s33 offset:148 ; 4-byte Folded Reload
	buffer_load_dword v49, off, s[0:3], s33 offset:152 ; 4-byte Folded Reload
	s_waitcnt vmcnt(1)
	v_mov_b32_e32 v27, v48
	v_cmp_ne_u16_e32 vcc, 0, v27
	s_and_saveexec_b64 s[18:19], vcc
	s_cbranch_execz .LBB6_8432
; %bb.8425:                             ;   in Loop: Header=BB6_7336 Depth=2
	v_cmp_ne_u16_e32 vcc, s49, v27
	v_bfrev_b32_e32 v2, 1
	s_and_saveexec_b64 s[78:79], vcc
	s_cbranch_execz .LBB6_8431
; %bb.8426:                             ;   in Loop: Header=BB6_7336 Depth=2
	v_and_b32_e32 v2, 0x7c, v27
	v_and_b32_e32 v4, 3, v27
	v_cmp_ne_u32_e32 vcc, s50, v2
                                        ; implicit-def: $vgpr2
	s_and_saveexec_b64 s[88:89], vcc
	s_xor_b64 s[88:89], exec, s[88:89]
	s_cbranch_execz .LBB6_8428
; %bb.8427:                             ;   in Loop: Header=BB6_7336 Depth=2
	buffer_load_dword v50, off, s[0:3], s33 offset:148 ; 4-byte Folded Reload
	buffer_load_dword v51, off, s[0:3], s33 offset:152 ; 4-byte Folded Reload
	v_ffbh_u32_e32 v27, v4
	v_min_u32_e32 v27, 32, v27
	s_waitcnt vmcnt(0)
	v_mov_b32_e32 v51, v28
	v_subrev_u32_e32 v39, 29, v27
	v_sub_u32_e32 v27, 30, v27
	v_and_b32_e32 v2, 0xff, v50
	v_bfe_u32 v2, v2, 2, 5
	v_lshlrev_b64 v[48:49], v39, v[50:51]
	v_cmp_eq_u32_e32 vcc, 0, v2
	v_and_b32_e32 v39, 3, v48
	v_cndmask_b32_e32 v2, v2, v27, vcc
	v_and_b32_sdwa v27, sext(v50), s51 dst_sel:DWORD dst_unused:UNUSED_PAD src0_sel:WORD_0 src1_sel:DWORD
	v_cndmask_b32_e32 v4, v4, v39, vcc
	v_lshl_add_u32 v2, v2, 23, v27
	v_lshl_or_b32 v2, v4, 21, v2
	v_add_u32_e32 v2, 0x38000000, v2
                                        ; implicit-def: $vgpr27
                                        ; implicit-def: $vgpr4
	buffer_store_dword v27, off, s[0:3], s33 offset:148 ; 4-byte Folded Spill
	s_nop 0
	buffer_store_dword v28, off, s[0:3], s33 offset:152 ; 4-byte Folded Spill
.LBB6_8428:                             ;   in Loop: Header=BB6_7336 Depth=2
	s_andn2_saveexec_b64 s[88:89], s[88:89]
	s_cbranch_execz .LBB6_8430
; %bb.8429:                             ;   in Loop: Header=BB6_7336 Depth=2
	buffer_load_dword v48, off, s[0:3], s33 offset:148 ; 4-byte Folded Reload
	buffer_load_dword v49, off, s[0:3], s33 offset:152 ; 4-byte Folded Reload
	v_mov_b32_e32 v2, 0xff800000
	v_mov_b32_e32 v27, 0x7f800000
	s_waitcnt vmcnt(1)
	v_cmp_lt_i16_e32 vcc, -1, v48
	v_cndmask_b32_e32 v2, v2, v27, vcc
	v_cmp_eq_u32_e32 vcc, 0, v4
	v_mov_b32_e32 v4, 0x7f800001
	v_cndmask_b32_e32 v2, v4, v2, vcc
.LBB6_8430:                             ;   in Loop: Header=BB6_7336 Depth=2
	s_or_b64 exec, exec, s[88:89]
.LBB6_8431:                             ;   in Loop: Header=BB6_7336 Depth=2
	s_or_b64 exec, exec, s[78:79]
.LBB6_8432:                             ;   in Loop: Header=BB6_7336 Depth=2
	s_or_b64 exec, exec, s[18:19]
	v_mul_f32_e32 v2, v3, v2
	v_and_b32_e32 v3, 0x7f800000, v2
	v_mov_b32_e32 v4, v28
	v_cmp_ne_u64_e32 vcc, s[58:59], v[3:4]
	v_and_b32_e32 v27, 0x7fffff, v2
                                        ; implicit-def: $vgpr39
	s_and_saveexec_b64 s[18:19], vcc
	s_xor_b64 s[78:79], exec, s[18:19]
	s_cbranch_execz .LBB6_8450
; %bb.8433:                             ;   in Loop: Header=BB6_7336 Depth=2
	v_and_b32_e32 v3, 0x7fffffff, v2
	v_mov_b32_e32 v4, v28
	v_cmp_gt_u64_e32 vcc, s[60:61], v[3:4]
	v_and_b32_sdwa v48, v2, s52 dst_sel:DWORD dst_unused:UNUSED_PAD src0_sel:BYTE_3 src1_sel:DWORD
                                        ; implicit-def: $vgpr39
	s_and_saveexec_b64 s[18:19], vcc
	s_xor_b64 s[88:89], exec, s[18:19]
	s_cbranch_execz .LBB6_8447
; %bb.8434:                             ;   in Loop: Header=BB6_7336 Depth=2
	v_cmp_ne_u32_e32 vcc, 0, v2
	v_mov_b32_e32 v39, 0
	s_and_saveexec_b64 s[90:91], vcc
	s_cbranch_execz .LBB6_8446
; %bb.8435:                             ;   in Loop: Header=BB6_7336 Depth=2
	v_bfe_u32 v39, v2, 23, 8
	v_cmp_gt_u32_e64 s[18:19], s53, v39
	v_sub_u32_e32 v2, 0x71, v39
	v_cmp_eq_u32_e32 vcc, 0, v39
	v_cndmask_b32_e64 v2, 0, v2, s[18:19]
	v_mov_b32_e32 v4, 0x70
	s_waitcnt vmcnt(0)
	v_cndmask_b32_e32 v49, v2, v4, vcc
	v_add_u32_e32 v4, 21, v49
	v_or_b32_e32 v3, 0x800000, v27
	v_lshlrev_b64 v[50:51], v4, -1
	v_cndmask_b32_e32 v2, v3, v27, vcc
	v_mov_b32_e32 v3, v28
	v_add_u32_e32 v4, 20, v49
	v_bfi_b32 v50, v50, 0, v2
	v_lshlrev_b64 v[52:53], v4, 1
	v_lshrrev_b64 v[2:3], v49, v[2:3]
	v_bfi_b32 v51, v51, 0, 0
	v_cmp_eq_u64_e64 s[18:19], v[50:51], v[52:53]
	v_mov_b32_e32 v4, v3
	v_mov_b32_e32 v3, v2
	s_and_saveexec_b64 s[92:93], s[18:19]
; %bb.8436:                             ;   in Loop: Header=BB6_7336 Depth=2
	v_bfe_u32 v3, v2, 21, 1
	v_add_co_u32_e64 v3, s[18:19], v2, v3
	v_add_co_u32_e64 v3, s[18:19], -1, v3
; %bb.8437:                             ;   in Loop: Header=BB6_7336 Depth=2
	s_or_b64 exec, exec, s[92:93]
	v_add_u32_e32 v4, 0xffffff81, v39
	v_mov_b32_e32 v27, 0xffffff82
	v_cndmask_b32_e32 v4, v4, v27, vcc
	v_lshrrev_b32_e32 v27, 23, v2
	v_add3_u32 v49, v49, v4, v27
	v_add_u32_e32 v39, 14, v49
	v_and_b32_e32 v3, 0x1fffff, v3
	v_add_u32_e32 v27, v3, v2
	v_cmp_ne_u32_e32 vcc, 0, v39
                                        ; implicit-def: $vgpr2_vgpr3
                                        ; implicit-def: $vgpr4
	s_and_saveexec_b64 s[18:19], vcc
	s_xor_b64 s[18:19], exec, s[18:19]
; %bb.8438:                             ;   in Loop: Header=BB6_7336 Depth=2
	v_cmp_lt_u64_e32 vcc, s[62:63], v[27:28]
	v_add_u32_e32 v2, 15, v49
	v_cndmask_b32_e32 v4, v39, v2, vcc
	v_cndmask_b32_e64 v2, 0, 1, vcc
	v_lshrrev_b64 v[2:3], v2, v[27:28]
; %bb.8439:                             ;   in Loop: Header=BB6_7336 Depth=2
	s_andn2_saveexec_b64 s[18:19], s[18:19]
; %bb.8440:                             ;   in Loop: Header=BB6_7336 Depth=2
	v_mov_b32_e32 v2, v27
	v_mov_b32_e32 v3, v28
	v_bfe_u32 v4, v27, 23, 1
; %bb.8441:                             ;   in Loop: Header=BB6_7336 Depth=2
	s_or_b64 exec, exec, s[18:19]
	v_lshrrev_b64 v[2:3], 21, v[2:3]
	v_cmp_gt_i32_e32 vcc, 32, v4
	v_cndmask_b32_e32 v3, 0, v3, vcc
	v_cndmask_b32_e32 v2, 3, v2, vcc
	v_cmp_ne_u64_e32 vcc, 0, v[2:3]
	v_cmp_ne_u32_e64 s[18:19], 0, v4
	s_or_b64 s[18:19], s[18:19], vcc
                                        ; implicit-def: $vgpr39
	s_and_saveexec_b64 s[92:93], s[18:19]
	s_xor_b64 s[18:19], exec, s[92:93]
; %bb.8442:                             ;   in Loop: Header=BB6_7336 Depth=2
	v_min_i32_e32 v3, 31, v4
	v_lshl_or_b32 v3, v3, 2, v48
	v_and_or_b32 v39, v2, 3, v3
                                        ; implicit-def: $vgpr48
; %bb.8443:                             ;   in Loop: Header=BB6_7336 Depth=2
	s_andn2_saveexec_b64 s[18:19], s[18:19]
; %bb.8444:                             ;   in Loop: Header=BB6_7336 Depth=2
	v_mov_b32_e32 v39, v48
; %bb.8445:                             ;   in Loop: Header=BB6_7336 Depth=2
	s_or_b64 exec, exec, s[18:19]
.LBB6_8446:                             ;   in Loop: Header=BB6_7336 Depth=2
	s_or_b64 exec, exec, s[90:91]
                                        ; implicit-def: $vgpr48
.LBB6_8447:                             ;   in Loop: Header=BB6_7336 Depth=2
	s_andn2_saveexec_b64 s[18:19], s[88:89]
; %bb.8448:                             ;   in Loop: Header=BB6_7336 Depth=2
	v_or_b32_e32 v39, 0x7b, v48
; %bb.8449:                             ;   in Loop: Header=BB6_7336 Depth=2
	s_or_b64 exec, exec, s[18:19]
                                        ; implicit-def: $vgpr2
.LBB6_8450:                             ;   in Loop: Header=BB6_7336 Depth=2
	s_andn2_saveexec_b64 s[18:19], s[78:79]
	s_cbranch_execz .LBB6_8456
; %bb.8451:                             ;   in Loop: Header=BB6_7336 Depth=2
	v_cmp_ne_u64_e32 vcc, 0, v[27:28]
                                        ; implicit-def: $vgpr39
	s_and_saveexec_b64 s[78:79], vcc
	s_xor_b64 s[78:79], exec, s[78:79]
; %bb.8452:                             ;   in Loop: Header=BB6_7336 Depth=2
	v_or_b32_sdwa v39, v2, s54 dst_sel:DWORD dst_unused:UNUSED_PAD src0_sel:BYTE_3 src1_sel:DWORD
                                        ; implicit-def: $vgpr2
; %bb.8453:                             ;   in Loop: Header=BB6_7336 Depth=2
	s_andn2_saveexec_b64 s[78:79], s[78:79]
; %bb.8454:                             ;   in Loop: Header=BB6_7336 Depth=2
	v_cmp_lt_i32_e32 vcc, -1, v2
	v_mov_b32_e32 v2, 0x7c
	v_cndmask_b32_e32 v39, -4, v2, vcc
; %bb.8455:                             ;   in Loop: Header=BB6_7336 Depth=2
	s_or_b64 exec, exec, s[78:79]
.LBB6_8456:                             ;   in Loop: Header=BB6_7336 Depth=2
	s_or_b64 exec, exec, s[18:19]
	buffer_load_dword v2, off, s[0:3], s33 offset:140 ; 4-byte Folded Reload
	buffer_load_dword v3, off, s[0:3], s33 offset:144 ; 4-byte Folded Reload
	s_waitcnt vmcnt(0)
	v_mov_b32_e32 v3, 0
	v_mov_b32_e32 v27, v2
	v_cmp_ne_u16_e32 vcc, 0, v27
	v_mov_b32_e32 v2, 0
	s_and_saveexec_b64 s[18:19], vcc
	s_cbranch_execz .LBB6_8464
; %bb.8457:                             ;   in Loop: Header=BB6_7336 Depth=2
	v_cmp_ne_u16_e32 vcc, s49, v27
	v_bfrev_b32_e32 v3, 1
	s_and_saveexec_b64 s[78:79], vcc
	s_cbranch_execz .LBB6_8463
; %bb.8458:                             ;   in Loop: Header=BB6_7336 Depth=2
	v_and_b32_e32 v3, 0x7c, v27
	v_and_b32_e32 v4, 3, v27
	v_cmp_ne_u32_e32 vcc, s50, v3
                                        ; implicit-def: $vgpr3
	s_and_saveexec_b64 s[88:89], vcc
	s_xor_b64 s[88:89], exec, s[88:89]
	s_cbranch_execz .LBB6_8460
; %bb.8459:                             ;   in Loop: Header=BB6_7336 Depth=2
	buffer_load_dword v50, off, s[0:3], s33 offset:140 ; 4-byte Folded Reload
	buffer_load_dword v51, off, s[0:3], s33 offset:144 ; 4-byte Folded Reload
	v_ffbh_u32_e32 v27, v4
	v_min_u32_e32 v27, 32, v27
	s_waitcnt vmcnt(0)
	v_mov_b32_e32 v51, v28
	v_subrev_u32_e32 v48, 29, v27
	v_sub_u32_e32 v27, 30, v27
	v_and_b32_e32 v3, 0xff, v50
	v_bfe_u32 v3, v3, 2, 5
	v_lshlrev_b64 v[48:49], v48, v[50:51]
	v_cmp_eq_u32_e32 vcc, 0, v3
	v_and_b32_e32 v48, 3, v48
	v_cndmask_b32_e32 v3, v3, v27, vcc
	v_and_b32_sdwa v27, sext(v50), s51 dst_sel:DWORD dst_unused:UNUSED_PAD src0_sel:WORD_0 src1_sel:DWORD
	v_cndmask_b32_e32 v4, v4, v48, vcc
	v_lshl_add_u32 v3, v3, 23, v27
	v_lshl_or_b32 v3, v4, 21, v3
	v_add_u32_e32 v3, 0x38000000, v3
                                        ; implicit-def: $vgpr27
                                        ; implicit-def: $vgpr4
	buffer_store_dword v27, off, s[0:3], s33 offset:140 ; 4-byte Folded Spill
	s_nop 0
	buffer_store_dword v28, off, s[0:3], s33 offset:144 ; 4-byte Folded Spill
.LBB6_8460:                             ;   in Loop: Header=BB6_7336 Depth=2
	s_andn2_saveexec_b64 s[88:89], s[88:89]
	s_cbranch_execz .LBB6_8462
; %bb.8461:                             ;   in Loop: Header=BB6_7336 Depth=2
	buffer_load_dword v48, off, s[0:3], s33 offset:140 ; 4-byte Folded Reload
	buffer_load_dword v49, off, s[0:3], s33 offset:144 ; 4-byte Folded Reload
	v_mov_b32_e32 v3, 0xff800000
	v_mov_b32_e32 v27, 0x7f800000
	s_waitcnt vmcnt(1)
	v_cmp_lt_i16_e32 vcc, -1, v48
	v_cndmask_b32_e32 v3, v3, v27, vcc
	v_cmp_eq_u32_e32 vcc, 0, v4
	v_mov_b32_e32 v4, 0x7f800001
	v_cndmask_b32_e32 v3, v4, v3, vcc
.LBB6_8462:                             ;   in Loop: Header=BB6_7336 Depth=2
	s_or_b64 exec, exec, s[88:89]
.LBB6_8463:                             ;   in Loop: Header=BB6_7336 Depth=2
	s_or_b64 exec, exec, s[78:79]
.LBB6_8464:                             ;   in Loop: Header=BB6_7336 Depth=2
	s_or_b64 exec, exec, s[18:19]
	buffer_load_dword v48, off, s[0:3], s33 offset:132 ; 4-byte Folded Reload
	buffer_load_dword v49, off, s[0:3], s33 offset:136 ; 4-byte Folded Reload
	s_waitcnt vmcnt(1)
	v_mov_b32_e32 v27, v48
	v_cmp_ne_u16_e32 vcc, 0, v27
	s_and_saveexec_b64 s[18:19], vcc
	s_cbranch_execz .LBB6_8472
; %bb.8465:                             ;   in Loop: Header=BB6_7336 Depth=2
	v_cmp_ne_u16_e32 vcc, s49, v27
	v_bfrev_b32_e32 v2, 1
	s_and_saveexec_b64 s[78:79], vcc
	s_cbranch_execz .LBB6_8471
; %bb.8466:                             ;   in Loop: Header=BB6_7336 Depth=2
	v_and_b32_e32 v2, 0x7c, v27
	v_and_b32_e32 v4, 3, v27
	v_cmp_ne_u32_e32 vcc, s50, v2
                                        ; implicit-def: $vgpr2
	s_and_saveexec_b64 s[88:89], vcc
	s_xor_b64 s[88:89], exec, s[88:89]
	s_cbranch_execz .LBB6_8468
; %bb.8467:                             ;   in Loop: Header=BB6_7336 Depth=2
	buffer_load_dword v50, off, s[0:3], s33 offset:132 ; 4-byte Folded Reload
	buffer_load_dword v51, off, s[0:3], s33 offset:136 ; 4-byte Folded Reload
	v_ffbh_u32_e32 v27, v4
	v_min_u32_e32 v27, 32, v27
	s_waitcnt vmcnt(0)
	v_mov_b32_e32 v51, v28
	v_subrev_u32_e32 v48, 29, v27
	v_sub_u32_e32 v27, 30, v27
	v_and_b32_e32 v2, 0xff, v50
	v_bfe_u32 v2, v2, 2, 5
	v_lshlrev_b64 v[48:49], v48, v[50:51]
	v_cmp_eq_u32_e32 vcc, 0, v2
	v_and_b32_e32 v48, 3, v48
	v_cndmask_b32_e32 v2, v2, v27, vcc
	v_and_b32_sdwa v27, sext(v50), s51 dst_sel:DWORD dst_unused:UNUSED_PAD src0_sel:WORD_0 src1_sel:DWORD
	v_cndmask_b32_e32 v4, v4, v48, vcc
	v_lshl_add_u32 v2, v2, 23, v27
	v_lshl_or_b32 v2, v4, 21, v2
	v_add_u32_e32 v2, 0x38000000, v2
                                        ; implicit-def: $vgpr27
                                        ; implicit-def: $vgpr4
	buffer_store_dword v27, off, s[0:3], s33 offset:132 ; 4-byte Folded Spill
	s_nop 0
	buffer_store_dword v28, off, s[0:3], s33 offset:136 ; 4-byte Folded Spill
.LBB6_8468:                             ;   in Loop: Header=BB6_7336 Depth=2
	s_andn2_saveexec_b64 s[88:89], s[88:89]
	s_cbranch_execz .LBB6_8470
; %bb.8469:                             ;   in Loop: Header=BB6_7336 Depth=2
	buffer_load_dword v48, off, s[0:3], s33 offset:132 ; 4-byte Folded Reload
	buffer_load_dword v49, off, s[0:3], s33 offset:136 ; 4-byte Folded Reload
	v_mov_b32_e32 v2, 0xff800000
	v_mov_b32_e32 v27, 0x7f800000
	s_waitcnt vmcnt(1)
	v_cmp_lt_i16_e32 vcc, -1, v48
	v_cndmask_b32_e32 v2, v2, v27, vcc
	v_cmp_eq_u32_e32 vcc, 0, v4
	v_mov_b32_e32 v4, 0x7f800001
	v_cndmask_b32_e32 v2, v4, v2, vcc
.LBB6_8470:                             ;   in Loop: Header=BB6_7336 Depth=2
	s_or_b64 exec, exec, s[88:89]
.LBB6_8471:                             ;   in Loop: Header=BB6_7336 Depth=2
	s_or_b64 exec, exec, s[78:79]
.LBB6_8472:                             ;   in Loop: Header=BB6_7336 Depth=2
	s_or_b64 exec, exec, s[18:19]
	v_mul_f32_e32 v2, v3, v2
	v_and_b32_e32 v3, 0x7f800000, v2
	v_mov_b32_e32 v4, v28
	v_cmp_ne_u64_e32 vcc, s[58:59], v[3:4]
	v_and_b32_e32 v27, 0x7fffff, v2
                                        ; implicit-def: $vgpr48
	s_and_saveexec_b64 s[18:19], vcc
	s_xor_b64 s[78:79], exec, s[18:19]
	s_cbranch_execz .LBB6_8490
; %bb.8473:                             ;   in Loop: Header=BB6_7336 Depth=2
	v_and_b32_e32 v3, 0x7fffffff, v2
	v_mov_b32_e32 v4, v28
	v_cmp_gt_u64_e32 vcc, s[60:61], v[3:4]
	s_waitcnt vmcnt(0)
	v_and_b32_sdwa v49, v2, s52 dst_sel:DWORD dst_unused:UNUSED_PAD src0_sel:BYTE_3 src1_sel:DWORD
                                        ; implicit-def: $vgpr48
	s_and_saveexec_b64 s[18:19], vcc
	s_xor_b64 s[88:89], exec, s[18:19]
	s_cbranch_execz .LBB6_8487
; %bb.8474:                             ;   in Loop: Header=BB6_7336 Depth=2
	v_cmp_ne_u32_e32 vcc, 0, v2
	v_mov_b32_e32 v48, 0
	s_and_saveexec_b64 s[90:91], vcc
	s_cbranch_execz .LBB6_8486
; %bb.8475:                             ;   in Loop: Header=BB6_7336 Depth=2
	v_bfe_u32 v48, v2, 23, 8
	v_cmp_gt_u32_e64 s[18:19], s53, v48
	v_sub_u32_e32 v2, 0x71, v48
	v_cmp_eq_u32_e32 vcc, 0, v48
	v_cndmask_b32_e64 v2, 0, v2, s[18:19]
	v_mov_b32_e32 v4, 0x70
	v_cndmask_b32_e32 v50, v2, v4, vcc
	v_add_u32_e32 v4, 21, v50
	v_or_b32_e32 v3, 0x800000, v27
	v_lshlrev_b64 v[51:52], v4, -1
	v_cndmask_b32_e32 v2, v3, v27, vcc
	v_mov_b32_e32 v3, v28
	v_add_u32_e32 v4, 20, v50
	v_bfi_b32 v51, v51, 0, v2
	v_lshlrev_b64 v[53:54], v4, 1
	v_lshrrev_b64 v[2:3], v50, v[2:3]
	v_bfi_b32 v52, v52, 0, 0
	v_cmp_eq_u64_e64 s[18:19], v[51:52], v[53:54]
	v_mov_b32_e32 v4, v3
	v_mov_b32_e32 v3, v2
	s_and_saveexec_b64 s[92:93], s[18:19]
; %bb.8476:                             ;   in Loop: Header=BB6_7336 Depth=2
	v_bfe_u32 v3, v2, 21, 1
	v_add_co_u32_e64 v3, s[18:19], v2, v3
	v_add_co_u32_e64 v3, s[18:19], -1, v3
; %bb.8477:                             ;   in Loop: Header=BB6_7336 Depth=2
	s_or_b64 exec, exec, s[92:93]
	v_add_u32_e32 v4, 0xffffff81, v48
	v_mov_b32_e32 v27, 0xffffff82
	v_cndmask_b32_e32 v4, v4, v27, vcc
	v_lshrrev_b32_e32 v27, 23, v2
	v_add3_u32 v50, v50, v4, v27
	v_add_u32_e32 v48, 14, v50
	v_and_b32_e32 v3, 0x1fffff, v3
	v_add_u32_e32 v27, v3, v2
	v_cmp_ne_u32_e32 vcc, 0, v48
                                        ; implicit-def: $vgpr2_vgpr3
                                        ; implicit-def: $vgpr4
	s_and_saveexec_b64 s[18:19], vcc
	s_xor_b64 s[18:19], exec, s[18:19]
; %bb.8478:                             ;   in Loop: Header=BB6_7336 Depth=2
	v_cmp_lt_u64_e32 vcc, s[62:63], v[27:28]
	v_add_u32_e32 v2, 15, v50
	v_cndmask_b32_e32 v4, v48, v2, vcc
	v_cndmask_b32_e64 v2, 0, 1, vcc
	v_lshrrev_b64 v[2:3], v2, v[27:28]
; %bb.8479:                             ;   in Loop: Header=BB6_7336 Depth=2
	s_andn2_saveexec_b64 s[18:19], s[18:19]
; %bb.8480:                             ;   in Loop: Header=BB6_7336 Depth=2
	v_mov_b32_e32 v2, v27
	v_mov_b32_e32 v3, v28
	v_bfe_u32 v4, v27, 23, 1
; %bb.8481:                             ;   in Loop: Header=BB6_7336 Depth=2
	s_or_b64 exec, exec, s[18:19]
	v_lshrrev_b64 v[2:3], 21, v[2:3]
	v_cmp_gt_i32_e32 vcc, 32, v4
	v_cndmask_b32_e32 v3, 0, v3, vcc
	v_cndmask_b32_e32 v2, 3, v2, vcc
	v_cmp_ne_u64_e32 vcc, 0, v[2:3]
	v_cmp_ne_u32_e64 s[18:19], 0, v4
	s_or_b64 s[18:19], s[18:19], vcc
                                        ; implicit-def: $vgpr48
	s_and_saveexec_b64 s[92:93], s[18:19]
	s_xor_b64 s[18:19], exec, s[92:93]
; %bb.8482:                             ;   in Loop: Header=BB6_7336 Depth=2
	v_min_i32_e32 v3, 31, v4
	v_lshl_or_b32 v3, v3, 2, v49
	v_and_or_b32 v48, v2, 3, v3
                                        ; implicit-def: $vgpr49
; %bb.8483:                             ;   in Loop: Header=BB6_7336 Depth=2
	s_andn2_saveexec_b64 s[18:19], s[18:19]
; %bb.8484:                             ;   in Loop: Header=BB6_7336 Depth=2
	v_mov_b32_e32 v48, v49
; %bb.8485:                             ;   in Loop: Header=BB6_7336 Depth=2
	s_or_b64 exec, exec, s[18:19]
.LBB6_8486:                             ;   in Loop: Header=BB6_7336 Depth=2
	s_or_b64 exec, exec, s[90:91]
                                        ; implicit-def: $vgpr49
.LBB6_8487:                             ;   in Loop: Header=BB6_7336 Depth=2
	s_andn2_saveexec_b64 s[18:19], s[88:89]
; %bb.8488:                             ;   in Loop: Header=BB6_7336 Depth=2
	v_or_b32_e32 v48, 0x7b, v49
; %bb.8489:                             ;   in Loop: Header=BB6_7336 Depth=2
	s_or_b64 exec, exec, s[18:19]
                                        ; implicit-def: $vgpr2
.LBB6_8490:                             ;   in Loop: Header=BB6_7336 Depth=2
	s_andn2_saveexec_b64 s[18:19], s[78:79]
	s_cbranch_execz .LBB6_8496
; %bb.8491:                             ;   in Loop: Header=BB6_7336 Depth=2
	v_cmp_ne_u64_e32 vcc, 0, v[27:28]
                                        ; implicit-def: $vgpr48
	s_and_saveexec_b64 s[78:79], vcc
	s_xor_b64 s[78:79], exec, s[78:79]
; %bb.8492:                             ;   in Loop: Header=BB6_7336 Depth=2
	v_or_b32_sdwa v48, v2, s54 dst_sel:DWORD dst_unused:UNUSED_PAD src0_sel:BYTE_3 src1_sel:DWORD
                                        ; implicit-def: $vgpr2
; %bb.8493:                             ;   in Loop: Header=BB6_7336 Depth=2
	s_andn2_saveexec_b64 s[78:79], s[78:79]
; %bb.8494:                             ;   in Loop: Header=BB6_7336 Depth=2
	v_cmp_lt_i32_e32 vcc, -1, v2
	v_mov_b32_e32 v2, 0x7c
	v_cndmask_b32_e32 v48, -4, v2, vcc
; %bb.8495:                             ;   in Loop: Header=BB6_7336 Depth=2
	s_or_b64 exec, exec, s[78:79]
.LBB6_8496:                             ;   in Loop: Header=BB6_7336 Depth=2
	s_or_b64 exec, exec, s[18:19]
	buffer_load_dword v2, off, s[0:3], s33 offset:124 ; 4-byte Folded Reload
	buffer_load_dword v3, off, s[0:3], s33 offset:128 ; 4-byte Folded Reload
	s_waitcnt vmcnt(0)
	v_mov_b32_e32 v3, 0
	v_mov_b32_e32 v27, v2
	v_cmp_ne_u16_e32 vcc, 0, v27
	v_mov_b32_e32 v2, 0
	s_and_saveexec_b64 s[18:19], vcc
	s_cbranch_execz .LBB6_8504
; %bb.8497:                             ;   in Loop: Header=BB6_7336 Depth=2
	v_cmp_ne_u16_e32 vcc, s49, v27
	v_bfrev_b32_e32 v3, 1
	s_and_saveexec_b64 s[78:79], vcc
	s_cbranch_execz .LBB6_8503
; %bb.8498:                             ;   in Loop: Header=BB6_7336 Depth=2
	v_and_b32_e32 v3, 0x7c, v27
	v_and_b32_e32 v4, 3, v27
	v_cmp_ne_u32_e32 vcc, s50, v3
                                        ; implicit-def: $vgpr3
	s_and_saveexec_b64 s[88:89], vcc
	s_xor_b64 s[88:89], exec, s[88:89]
	s_cbranch_execz .LBB6_8500
; %bb.8499:                             ;   in Loop: Header=BB6_7336 Depth=2
	buffer_load_dword v51, off, s[0:3], s33 offset:124 ; 4-byte Folded Reload
	buffer_load_dword v52, off, s[0:3], s33 offset:128 ; 4-byte Folded Reload
	v_ffbh_u32_e32 v27, v4
	v_min_u32_e32 v27, 32, v27
	s_waitcnt vmcnt(0)
	v_mov_b32_e32 v52, v28
	v_subrev_u32_e32 v49, 29, v27
	v_sub_u32_e32 v27, 30, v27
	v_and_b32_e32 v3, 0xff, v51
	v_bfe_u32 v3, v3, 2, 5
	v_lshlrev_b64 v[49:50], v49, v[51:52]
	v_cmp_eq_u32_e32 vcc, 0, v3
	v_and_b32_e32 v49, 3, v49
	v_cndmask_b32_e32 v3, v3, v27, vcc
	v_and_b32_sdwa v27, sext(v51), s51 dst_sel:DWORD dst_unused:UNUSED_PAD src0_sel:WORD_0 src1_sel:DWORD
	v_cndmask_b32_e32 v4, v4, v49, vcc
	v_lshl_add_u32 v3, v3, 23, v27
	v_lshl_or_b32 v3, v4, 21, v3
	v_add_u32_e32 v3, 0x38000000, v3
                                        ; implicit-def: $vgpr27
                                        ; implicit-def: $vgpr4
	buffer_store_dword v27, off, s[0:3], s33 offset:124 ; 4-byte Folded Spill
	s_nop 0
	buffer_store_dword v28, off, s[0:3], s33 offset:128 ; 4-byte Folded Spill
.LBB6_8500:                             ;   in Loop: Header=BB6_7336 Depth=2
	s_andn2_saveexec_b64 s[88:89], s[88:89]
	s_cbranch_execz .LBB6_8502
; %bb.8501:                             ;   in Loop: Header=BB6_7336 Depth=2
	buffer_load_dword v49, off, s[0:3], s33 offset:124 ; 4-byte Folded Reload
	buffer_load_dword v50, off, s[0:3], s33 offset:128 ; 4-byte Folded Reload
	v_mov_b32_e32 v3, 0xff800000
	v_mov_b32_e32 v27, 0x7f800000
	s_waitcnt vmcnt(1)
	v_cmp_lt_i16_e32 vcc, -1, v49
	v_cndmask_b32_e32 v3, v3, v27, vcc
	v_cmp_eq_u32_e32 vcc, 0, v4
	v_mov_b32_e32 v4, 0x7f800001
	v_cndmask_b32_e32 v3, v4, v3, vcc
.LBB6_8502:                             ;   in Loop: Header=BB6_7336 Depth=2
	s_or_b64 exec, exec, s[88:89]
.LBB6_8503:                             ;   in Loop: Header=BB6_7336 Depth=2
	s_or_b64 exec, exec, s[78:79]
.LBB6_8504:                             ;   in Loop: Header=BB6_7336 Depth=2
	s_or_b64 exec, exec, s[18:19]
	buffer_load_dword v49, off, s[0:3], s33 offset:116 ; 4-byte Folded Reload
	buffer_load_dword v50, off, s[0:3], s33 offset:120 ; 4-byte Folded Reload
	s_waitcnt vmcnt(1)
	v_mov_b32_e32 v27, v49
	v_cmp_ne_u16_e32 vcc, 0, v27
	s_and_saveexec_b64 s[18:19], vcc
	s_cbranch_execz .LBB6_8512
; %bb.8505:                             ;   in Loop: Header=BB6_7336 Depth=2
	v_cmp_ne_u16_e32 vcc, s49, v27
	v_bfrev_b32_e32 v2, 1
	s_and_saveexec_b64 s[78:79], vcc
	s_cbranch_execz .LBB6_8511
; %bb.8506:                             ;   in Loop: Header=BB6_7336 Depth=2
	v_and_b32_e32 v2, 0x7c, v27
	v_and_b32_e32 v4, 3, v27
	v_cmp_ne_u32_e32 vcc, s50, v2
                                        ; implicit-def: $vgpr2
	s_and_saveexec_b64 s[88:89], vcc
	s_xor_b64 s[88:89], exec, s[88:89]
	s_cbranch_execz .LBB6_8508
; %bb.8507:                             ;   in Loop: Header=BB6_7336 Depth=2
	buffer_load_dword v51, off, s[0:3], s33 offset:116 ; 4-byte Folded Reload
	buffer_load_dword v52, off, s[0:3], s33 offset:120 ; 4-byte Folded Reload
	v_ffbh_u32_e32 v27, v4
	v_min_u32_e32 v27, 32, v27
	s_waitcnt vmcnt(0)
	v_mov_b32_e32 v52, v28
	v_subrev_u32_e32 v49, 29, v27
	v_sub_u32_e32 v27, 30, v27
	v_and_b32_e32 v2, 0xff, v51
	v_bfe_u32 v2, v2, 2, 5
	v_lshlrev_b64 v[49:50], v49, v[51:52]
	v_cmp_eq_u32_e32 vcc, 0, v2
	v_and_b32_e32 v49, 3, v49
	v_cndmask_b32_e32 v2, v2, v27, vcc
	v_and_b32_sdwa v27, sext(v51), s51 dst_sel:DWORD dst_unused:UNUSED_PAD src0_sel:WORD_0 src1_sel:DWORD
	v_cndmask_b32_e32 v4, v4, v49, vcc
	v_lshl_add_u32 v2, v2, 23, v27
	v_lshl_or_b32 v2, v4, 21, v2
	v_add_u32_e32 v2, 0x38000000, v2
                                        ; implicit-def: $vgpr27
                                        ; implicit-def: $vgpr4
	buffer_store_dword v27, off, s[0:3], s33 offset:116 ; 4-byte Folded Spill
	s_nop 0
	buffer_store_dword v28, off, s[0:3], s33 offset:120 ; 4-byte Folded Spill
.LBB6_8508:                             ;   in Loop: Header=BB6_7336 Depth=2
	s_andn2_saveexec_b64 s[88:89], s[88:89]
	s_cbranch_execz .LBB6_8510
; %bb.8509:                             ;   in Loop: Header=BB6_7336 Depth=2
	buffer_load_dword v49, off, s[0:3], s33 offset:116 ; 4-byte Folded Reload
	buffer_load_dword v50, off, s[0:3], s33 offset:120 ; 4-byte Folded Reload
	v_mov_b32_e32 v2, 0xff800000
	v_mov_b32_e32 v27, 0x7f800000
	s_waitcnt vmcnt(1)
	v_cmp_lt_i16_e32 vcc, -1, v49
	v_cndmask_b32_e32 v2, v2, v27, vcc
	v_cmp_eq_u32_e32 vcc, 0, v4
	v_mov_b32_e32 v4, 0x7f800001
	v_cndmask_b32_e32 v2, v4, v2, vcc
.LBB6_8510:                             ;   in Loop: Header=BB6_7336 Depth=2
	s_or_b64 exec, exec, s[88:89]
.LBB6_8511:                             ;   in Loop: Header=BB6_7336 Depth=2
	s_or_b64 exec, exec, s[78:79]
.LBB6_8512:                             ;   in Loop: Header=BB6_7336 Depth=2
	s_or_b64 exec, exec, s[18:19]
	v_mul_f32_e32 v2, v3, v2
	v_and_b32_e32 v3, 0x7f800000, v2
	v_mov_b32_e32 v4, v28
	v_cmp_ne_u64_e32 vcc, s[58:59], v[3:4]
	v_and_b32_e32 v27, 0x7fffff, v2
                                        ; implicit-def: $vgpr49
	s_and_saveexec_b64 s[18:19], vcc
	s_xor_b64 s[78:79], exec, s[18:19]
	s_cbranch_execz .LBB6_8530
; %bb.8513:                             ;   in Loop: Header=BB6_7336 Depth=2
	v_and_b32_e32 v3, 0x7fffffff, v2
	v_mov_b32_e32 v4, v28
	v_cmp_gt_u64_e32 vcc, s[60:61], v[3:4]
	s_waitcnt vmcnt(0)
	v_and_b32_sdwa v50, v2, s52 dst_sel:DWORD dst_unused:UNUSED_PAD src0_sel:BYTE_3 src1_sel:DWORD
                                        ; implicit-def: $vgpr49
	s_and_saveexec_b64 s[18:19], vcc
	s_xor_b64 s[88:89], exec, s[18:19]
	s_cbranch_execz .LBB6_8527
; %bb.8514:                             ;   in Loop: Header=BB6_7336 Depth=2
	v_cmp_ne_u32_e32 vcc, 0, v2
	v_mov_b32_e32 v49, 0
	s_and_saveexec_b64 s[90:91], vcc
	s_cbranch_execz .LBB6_8526
; %bb.8515:                             ;   in Loop: Header=BB6_7336 Depth=2
	v_bfe_u32 v49, v2, 23, 8
	v_cmp_gt_u32_e64 s[18:19], s53, v49
	v_sub_u32_e32 v2, 0x71, v49
	v_cmp_eq_u32_e32 vcc, 0, v49
	v_cndmask_b32_e64 v2, 0, v2, s[18:19]
	v_mov_b32_e32 v4, 0x70
	v_cndmask_b32_e32 v51, v2, v4, vcc
	v_add_u32_e32 v4, 21, v51
	v_or_b32_e32 v3, 0x800000, v27
	v_lshlrev_b64 v[52:53], v4, -1
	v_cndmask_b32_e32 v2, v3, v27, vcc
	v_mov_b32_e32 v3, v28
	v_add_u32_e32 v4, 20, v51
	v_bfi_b32 v52, v52, 0, v2
	v_lshlrev_b64 v[54:55], v4, 1
	v_lshrrev_b64 v[2:3], v51, v[2:3]
	v_bfi_b32 v53, v53, 0, 0
	v_cmp_eq_u64_e64 s[18:19], v[52:53], v[54:55]
	v_mov_b32_e32 v4, v3
	v_mov_b32_e32 v3, v2
	s_and_saveexec_b64 s[92:93], s[18:19]
; %bb.8516:                             ;   in Loop: Header=BB6_7336 Depth=2
	v_bfe_u32 v3, v2, 21, 1
	v_add_co_u32_e64 v3, s[18:19], v2, v3
	v_add_co_u32_e64 v3, s[18:19], -1, v3
; %bb.8517:                             ;   in Loop: Header=BB6_7336 Depth=2
	s_or_b64 exec, exec, s[92:93]
	v_add_u32_e32 v4, 0xffffff81, v49
	v_mov_b32_e32 v27, 0xffffff82
	v_cndmask_b32_e32 v4, v4, v27, vcc
	v_lshrrev_b32_e32 v27, 23, v2
	v_add3_u32 v51, v51, v4, v27
	v_add_u32_e32 v49, 14, v51
	v_and_b32_e32 v3, 0x1fffff, v3
	v_add_u32_e32 v27, v3, v2
	v_cmp_ne_u32_e32 vcc, 0, v49
                                        ; implicit-def: $vgpr2_vgpr3
                                        ; implicit-def: $vgpr4
	s_and_saveexec_b64 s[18:19], vcc
	s_xor_b64 s[18:19], exec, s[18:19]
; %bb.8518:                             ;   in Loop: Header=BB6_7336 Depth=2
	v_cmp_lt_u64_e32 vcc, s[62:63], v[27:28]
	v_add_u32_e32 v2, 15, v51
	v_cndmask_b32_e32 v4, v49, v2, vcc
	v_cndmask_b32_e64 v2, 0, 1, vcc
	v_lshrrev_b64 v[2:3], v2, v[27:28]
; %bb.8519:                             ;   in Loop: Header=BB6_7336 Depth=2
	s_andn2_saveexec_b64 s[18:19], s[18:19]
; %bb.8520:                             ;   in Loop: Header=BB6_7336 Depth=2
	v_mov_b32_e32 v2, v27
	v_mov_b32_e32 v3, v28
	v_bfe_u32 v4, v27, 23, 1
; %bb.8521:                             ;   in Loop: Header=BB6_7336 Depth=2
	s_or_b64 exec, exec, s[18:19]
	v_lshrrev_b64 v[2:3], 21, v[2:3]
	v_cmp_gt_i32_e32 vcc, 32, v4
	v_cndmask_b32_e32 v3, 0, v3, vcc
	v_cndmask_b32_e32 v2, 3, v2, vcc
	v_cmp_ne_u64_e32 vcc, 0, v[2:3]
	v_cmp_ne_u32_e64 s[18:19], 0, v4
	s_or_b64 s[18:19], s[18:19], vcc
                                        ; implicit-def: $vgpr49
	s_and_saveexec_b64 s[92:93], s[18:19]
	s_xor_b64 s[18:19], exec, s[92:93]
; %bb.8522:                             ;   in Loop: Header=BB6_7336 Depth=2
	v_min_i32_e32 v3, 31, v4
	v_lshl_or_b32 v3, v3, 2, v50
	v_and_or_b32 v49, v2, 3, v3
                                        ; implicit-def: $vgpr50
; %bb.8523:                             ;   in Loop: Header=BB6_7336 Depth=2
	s_andn2_saveexec_b64 s[18:19], s[18:19]
; %bb.8524:                             ;   in Loop: Header=BB6_7336 Depth=2
	v_mov_b32_e32 v49, v50
; %bb.8525:                             ;   in Loop: Header=BB6_7336 Depth=2
	s_or_b64 exec, exec, s[18:19]
.LBB6_8526:                             ;   in Loop: Header=BB6_7336 Depth=2
	s_or_b64 exec, exec, s[90:91]
                                        ; implicit-def: $vgpr50
.LBB6_8527:                             ;   in Loop: Header=BB6_7336 Depth=2
	s_andn2_saveexec_b64 s[18:19], s[88:89]
; %bb.8528:                             ;   in Loop: Header=BB6_7336 Depth=2
	v_or_b32_e32 v49, 0x7b, v50
; %bb.8529:                             ;   in Loop: Header=BB6_7336 Depth=2
	s_or_b64 exec, exec, s[18:19]
                                        ; implicit-def: $vgpr2
.LBB6_8530:                             ;   in Loop: Header=BB6_7336 Depth=2
	s_andn2_saveexec_b64 s[18:19], s[78:79]
	s_cbranch_execz .LBB6_8536
; %bb.8531:                             ;   in Loop: Header=BB6_7336 Depth=2
	v_cmp_ne_u64_e32 vcc, 0, v[27:28]
                                        ; implicit-def: $vgpr49
	s_and_saveexec_b64 s[78:79], vcc
	s_xor_b64 s[78:79], exec, s[78:79]
; %bb.8532:                             ;   in Loop: Header=BB6_7336 Depth=2
	v_or_b32_sdwa v49, v2, s54 dst_sel:DWORD dst_unused:UNUSED_PAD src0_sel:BYTE_3 src1_sel:DWORD
                                        ; implicit-def: $vgpr2
; %bb.8533:                             ;   in Loop: Header=BB6_7336 Depth=2
	s_andn2_saveexec_b64 s[78:79], s[78:79]
; %bb.8534:                             ;   in Loop: Header=BB6_7336 Depth=2
	v_cmp_lt_i32_e32 vcc, -1, v2
	v_mov_b32_e32 v2, 0x7c
	v_cndmask_b32_e32 v49, -4, v2, vcc
; %bb.8535:                             ;   in Loop: Header=BB6_7336 Depth=2
	s_or_b64 exec, exec, s[78:79]
.LBB6_8536:                             ;   in Loop: Header=BB6_7336 Depth=2
	s_or_b64 exec, exec, s[18:19]
	buffer_load_dword v2, off, s[0:3], s33 offset:108 ; 4-byte Folded Reload
	buffer_load_dword v3, off, s[0:3], s33 offset:112 ; 4-byte Folded Reload
	s_waitcnt vmcnt(0)
	v_mov_b32_e32 v3, 0
	v_mov_b32_e32 v27, v2
	v_cmp_ne_u16_e32 vcc, 0, v27
	v_mov_b32_e32 v2, 0
	s_and_saveexec_b64 s[18:19], vcc
	s_cbranch_execz .LBB6_8544
; %bb.8537:                             ;   in Loop: Header=BB6_7336 Depth=2
	v_cmp_ne_u16_e32 vcc, s49, v27
	v_bfrev_b32_e32 v3, 1
	s_and_saveexec_b64 s[78:79], vcc
	s_cbranch_execz .LBB6_8543
; %bb.8538:                             ;   in Loop: Header=BB6_7336 Depth=2
	v_and_b32_e32 v3, 0x7c, v27
	v_and_b32_e32 v4, 3, v27
	v_cmp_ne_u32_e32 vcc, s50, v3
                                        ; implicit-def: $vgpr3
	s_and_saveexec_b64 s[88:89], vcc
	s_xor_b64 s[88:89], exec, s[88:89]
	s_cbranch_execz .LBB6_8540
; %bb.8539:                             ;   in Loop: Header=BB6_7336 Depth=2
	buffer_load_dword v52, off, s[0:3], s33 offset:108 ; 4-byte Folded Reload
	buffer_load_dword v53, off, s[0:3], s33 offset:112 ; 4-byte Folded Reload
	v_ffbh_u32_e32 v27, v4
	v_min_u32_e32 v27, 32, v27
	s_waitcnt vmcnt(0)
	v_mov_b32_e32 v53, v28
	v_subrev_u32_e32 v50, 29, v27
	v_sub_u32_e32 v27, 30, v27
	v_and_b32_e32 v3, 0xff, v52
	v_bfe_u32 v3, v3, 2, 5
	v_lshlrev_b64 v[50:51], v50, v[52:53]
	v_cmp_eq_u32_e32 vcc, 0, v3
	v_and_b32_e32 v50, 3, v50
	v_cndmask_b32_e32 v3, v3, v27, vcc
	v_and_b32_sdwa v27, sext(v52), s51 dst_sel:DWORD dst_unused:UNUSED_PAD src0_sel:WORD_0 src1_sel:DWORD
	v_cndmask_b32_e32 v4, v4, v50, vcc
	v_lshl_add_u32 v3, v3, 23, v27
	v_lshl_or_b32 v3, v4, 21, v3
	v_add_u32_e32 v3, 0x38000000, v3
                                        ; implicit-def: $vgpr27
                                        ; implicit-def: $vgpr4
	buffer_store_dword v27, off, s[0:3], s33 offset:108 ; 4-byte Folded Spill
	s_nop 0
	buffer_store_dword v28, off, s[0:3], s33 offset:112 ; 4-byte Folded Spill
.LBB6_8540:                             ;   in Loop: Header=BB6_7336 Depth=2
	s_andn2_saveexec_b64 s[88:89], s[88:89]
	s_cbranch_execz .LBB6_8542
; %bb.8541:                             ;   in Loop: Header=BB6_7336 Depth=2
	buffer_load_dword v50, off, s[0:3], s33 offset:108 ; 4-byte Folded Reload
	buffer_load_dword v51, off, s[0:3], s33 offset:112 ; 4-byte Folded Reload
	v_mov_b32_e32 v3, 0xff800000
	v_mov_b32_e32 v27, 0x7f800000
	s_waitcnt vmcnt(1)
	v_cmp_lt_i16_e32 vcc, -1, v50
	v_cndmask_b32_e32 v3, v3, v27, vcc
	v_cmp_eq_u32_e32 vcc, 0, v4
	v_mov_b32_e32 v4, 0x7f800001
	v_cndmask_b32_e32 v3, v4, v3, vcc
.LBB6_8542:                             ;   in Loop: Header=BB6_7336 Depth=2
	s_or_b64 exec, exec, s[88:89]
.LBB6_8543:                             ;   in Loop: Header=BB6_7336 Depth=2
	s_or_b64 exec, exec, s[78:79]
.LBB6_8544:                             ;   in Loop: Header=BB6_7336 Depth=2
	s_or_b64 exec, exec, s[18:19]
	buffer_load_dword v50, off, s[0:3], s33 offset:100 ; 4-byte Folded Reload
	buffer_load_dword v51, off, s[0:3], s33 offset:104 ; 4-byte Folded Reload
	s_waitcnt vmcnt(1)
	v_mov_b32_e32 v27, v50
	v_cmp_ne_u16_e32 vcc, 0, v27
	s_and_saveexec_b64 s[18:19], vcc
	s_cbranch_execz .LBB6_8552
; %bb.8545:                             ;   in Loop: Header=BB6_7336 Depth=2
	v_cmp_ne_u16_e32 vcc, s49, v27
	v_bfrev_b32_e32 v2, 1
	s_and_saveexec_b64 s[78:79], vcc
	s_cbranch_execz .LBB6_8551
; %bb.8546:                             ;   in Loop: Header=BB6_7336 Depth=2
	v_and_b32_e32 v2, 0x7c, v27
	v_and_b32_e32 v4, 3, v27
	v_cmp_ne_u32_e32 vcc, s50, v2
                                        ; implicit-def: $vgpr2
	s_and_saveexec_b64 s[88:89], vcc
	s_xor_b64 s[88:89], exec, s[88:89]
	s_cbranch_execz .LBB6_8548
; %bb.8547:                             ;   in Loop: Header=BB6_7336 Depth=2
	buffer_load_dword v52, off, s[0:3], s33 offset:100 ; 4-byte Folded Reload
	buffer_load_dword v53, off, s[0:3], s33 offset:104 ; 4-byte Folded Reload
	v_ffbh_u32_e32 v27, v4
	v_min_u32_e32 v27, 32, v27
	s_waitcnt vmcnt(0)
	v_mov_b32_e32 v53, v28
	v_subrev_u32_e32 v50, 29, v27
	v_sub_u32_e32 v27, 30, v27
	v_and_b32_e32 v2, 0xff, v52
	v_bfe_u32 v2, v2, 2, 5
	v_lshlrev_b64 v[50:51], v50, v[52:53]
	v_cmp_eq_u32_e32 vcc, 0, v2
	v_and_b32_e32 v50, 3, v50
	v_cndmask_b32_e32 v2, v2, v27, vcc
	v_and_b32_sdwa v27, sext(v52), s51 dst_sel:DWORD dst_unused:UNUSED_PAD src0_sel:WORD_0 src1_sel:DWORD
	v_cndmask_b32_e32 v4, v4, v50, vcc
	v_lshl_add_u32 v2, v2, 23, v27
	v_lshl_or_b32 v2, v4, 21, v2
	v_add_u32_e32 v2, 0x38000000, v2
                                        ; implicit-def: $vgpr27
                                        ; implicit-def: $vgpr4
	buffer_store_dword v27, off, s[0:3], s33 offset:100 ; 4-byte Folded Spill
	s_nop 0
	buffer_store_dword v28, off, s[0:3], s33 offset:104 ; 4-byte Folded Spill
.LBB6_8548:                             ;   in Loop: Header=BB6_7336 Depth=2
	s_andn2_saveexec_b64 s[88:89], s[88:89]
	s_cbranch_execz .LBB6_8550
; %bb.8549:                             ;   in Loop: Header=BB6_7336 Depth=2
	buffer_load_dword v50, off, s[0:3], s33 offset:100 ; 4-byte Folded Reload
	buffer_load_dword v51, off, s[0:3], s33 offset:104 ; 4-byte Folded Reload
	v_mov_b32_e32 v2, 0xff800000
	v_mov_b32_e32 v27, 0x7f800000
	s_waitcnt vmcnt(1)
	v_cmp_lt_i16_e32 vcc, -1, v50
	v_cndmask_b32_e32 v2, v2, v27, vcc
	v_cmp_eq_u32_e32 vcc, 0, v4
	v_mov_b32_e32 v4, 0x7f800001
	v_cndmask_b32_e32 v2, v4, v2, vcc
.LBB6_8550:                             ;   in Loop: Header=BB6_7336 Depth=2
	s_or_b64 exec, exec, s[88:89]
.LBB6_8551:                             ;   in Loop: Header=BB6_7336 Depth=2
	s_or_b64 exec, exec, s[78:79]
.LBB6_8552:                             ;   in Loop: Header=BB6_7336 Depth=2
	s_or_b64 exec, exec, s[18:19]
	v_mul_f32_e32 v2, v3, v2
	v_and_b32_e32 v3, 0x7f800000, v2
	v_mov_b32_e32 v4, v28
	v_cmp_ne_u64_e32 vcc, s[58:59], v[3:4]
	v_and_b32_e32 v27, 0x7fffff, v2
                                        ; implicit-def: $vgpr50
	s_and_saveexec_b64 s[18:19], vcc
	s_xor_b64 s[78:79], exec, s[18:19]
	s_cbranch_execz .LBB6_8570
; %bb.8553:                             ;   in Loop: Header=BB6_7336 Depth=2
	v_and_b32_e32 v3, 0x7fffffff, v2
	v_mov_b32_e32 v4, v28
	v_cmp_gt_u64_e32 vcc, s[60:61], v[3:4]
	s_waitcnt vmcnt(0)
	v_and_b32_sdwa v51, v2, s52 dst_sel:DWORD dst_unused:UNUSED_PAD src0_sel:BYTE_3 src1_sel:DWORD
                                        ; implicit-def: $vgpr50
	s_and_saveexec_b64 s[18:19], vcc
	s_xor_b64 s[88:89], exec, s[18:19]
	s_cbranch_execz .LBB6_8567
; %bb.8554:                             ;   in Loop: Header=BB6_7336 Depth=2
	v_cmp_ne_u32_e32 vcc, 0, v2
	v_mov_b32_e32 v50, 0
	s_and_saveexec_b64 s[90:91], vcc
	s_cbranch_execz .LBB6_8566
; %bb.8555:                             ;   in Loop: Header=BB6_7336 Depth=2
	v_bfe_u32 v50, v2, 23, 8
	v_cmp_gt_u32_e64 s[18:19], s53, v50
	v_sub_u32_e32 v2, 0x71, v50
	v_cmp_eq_u32_e32 vcc, 0, v50
	v_cndmask_b32_e64 v2, 0, v2, s[18:19]
	v_mov_b32_e32 v4, 0x70
	v_cndmask_b32_e32 v52, v2, v4, vcc
	v_add_u32_e32 v4, 21, v52
	v_or_b32_e32 v3, 0x800000, v27
	v_lshlrev_b64 v[53:54], v4, -1
	v_cndmask_b32_e32 v2, v3, v27, vcc
	v_mov_b32_e32 v3, v28
	v_add_u32_e32 v4, 20, v52
	v_bfi_b32 v53, v53, 0, v2
	v_lshlrev_b64 v[40:41], v4, 1
	v_lshrrev_b64 v[2:3], v52, v[2:3]
	v_bfi_b32 v54, v54, 0, 0
	v_cmp_eq_u64_e64 s[18:19], v[53:54], v[40:41]
	v_mov_b32_e32 v4, v3
	v_mov_b32_e32 v3, v2
	s_and_saveexec_b64 s[92:93], s[18:19]
; %bb.8556:                             ;   in Loop: Header=BB6_7336 Depth=2
	v_bfe_u32 v3, v2, 21, 1
	v_add_co_u32_e64 v3, s[18:19], v2, v3
	v_add_co_u32_e64 v3, s[18:19], -1, v3
; %bb.8557:                             ;   in Loop: Header=BB6_7336 Depth=2
	s_or_b64 exec, exec, s[92:93]
	v_add_u32_e32 v4, 0xffffff81, v50
	v_mov_b32_e32 v27, 0xffffff82
	v_cndmask_b32_e32 v4, v4, v27, vcc
	v_lshrrev_b32_e32 v27, 23, v2
	v_add3_u32 v52, v52, v4, v27
	v_add_u32_e32 v50, 14, v52
	v_and_b32_e32 v3, 0x1fffff, v3
	v_add_u32_e32 v27, v3, v2
	v_cmp_ne_u32_e32 vcc, 0, v50
                                        ; implicit-def: $vgpr2_vgpr3
                                        ; implicit-def: $vgpr4
	s_and_saveexec_b64 s[18:19], vcc
	s_xor_b64 s[18:19], exec, s[18:19]
; %bb.8558:                             ;   in Loop: Header=BB6_7336 Depth=2
	v_cmp_lt_u64_e32 vcc, s[62:63], v[27:28]
	v_add_u32_e32 v2, 15, v52
	v_cndmask_b32_e32 v4, v50, v2, vcc
	v_cndmask_b32_e64 v2, 0, 1, vcc
	v_lshrrev_b64 v[2:3], v2, v[27:28]
; %bb.8559:                             ;   in Loop: Header=BB6_7336 Depth=2
	s_andn2_saveexec_b64 s[18:19], s[18:19]
; %bb.8560:                             ;   in Loop: Header=BB6_7336 Depth=2
	v_mov_b32_e32 v2, v27
	v_mov_b32_e32 v3, v28
	v_bfe_u32 v4, v27, 23, 1
; %bb.8561:                             ;   in Loop: Header=BB6_7336 Depth=2
	s_or_b64 exec, exec, s[18:19]
	v_lshrrev_b64 v[2:3], 21, v[2:3]
	v_cmp_gt_i32_e32 vcc, 32, v4
	v_cndmask_b32_e32 v3, 0, v3, vcc
	v_cndmask_b32_e32 v2, 3, v2, vcc
	v_cmp_ne_u64_e32 vcc, 0, v[2:3]
	v_cmp_ne_u32_e64 s[18:19], 0, v4
	s_or_b64 s[18:19], s[18:19], vcc
                                        ; implicit-def: $vgpr50
	s_and_saveexec_b64 s[92:93], s[18:19]
	s_xor_b64 s[18:19], exec, s[92:93]
; %bb.8562:                             ;   in Loop: Header=BB6_7336 Depth=2
	v_min_i32_e32 v3, 31, v4
	v_lshl_or_b32 v3, v3, 2, v51
	v_and_or_b32 v50, v2, 3, v3
                                        ; implicit-def: $vgpr51
; %bb.8563:                             ;   in Loop: Header=BB6_7336 Depth=2
	s_andn2_saveexec_b64 s[18:19], s[18:19]
; %bb.8564:                             ;   in Loop: Header=BB6_7336 Depth=2
	v_mov_b32_e32 v50, v51
; %bb.8565:                             ;   in Loop: Header=BB6_7336 Depth=2
	s_or_b64 exec, exec, s[18:19]
.LBB6_8566:                             ;   in Loop: Header=BB6_7336 Depth=2
	s_or_b64 exec, exec, s[90:91]
                                        ; implicit-def: $vgpr51
.LBB6_8567:                             ;   in Loop: Header=BB6_7336 Depth=2
	s_andn2_saveexec_b64 s[18:19], s[88:89]
; %bb.8568:                             ;   in Loop: Header=BB6_7336 Depth=2
	v_or_b32_e32 v50, 0x7b, v51
; %bb.8569:                             ;   in Loop: Header=BB6_7336 Depth=2
	s_or_b64 exec, exec, s[18:19]
                                        ; implicit-def: $vgpr2
.LBB6_8570:                             ;   in Loop: Header=BB6_7336 Depth=2
	s_andn2_saveexec_b64 s[18:19], s[78:79]
	s_cbranch_execz .LBB6_8576
; %bb.8571:                             ;   in Loop: Header=BB6_7336 Depth=2
	v_cmp_ne_u64_e32 vcc, 0, v[27:28]
                                        ; implicit-def: $vgpr50
	s_and_saveexec_b64 s[78:79], vcc
	s_xor_b64 s[78:79], exec, s[78:79]
; %bb.8572:                             ;   in Loop: Header=BB6_7336 Depth=2
	v_or_b32_sdwa v50, v2, s54 dst_sel:DWORD dst_unused:UNUSED_PAD src0_sel:BYTE_3 src1_sel:DWORD
                                        ; implicit-def: $vgpr2
; %bb.8573:                             ;   in Loop: Header=BB6_7336 Depth=2
	s_andn2_saveexec_b64 s[78:79], s[78:79]
; %bb.8574:                             ;   in Loop: Header=BB6_7336 Depth=2
	v_cmp_lt_i32_e32 vcc, -1, v2
	v_mov_b32_e32 v2, 0x7c
	v_cndmask_b32_e32 v50, -4, v2, vcc
; %bb.8575:                             ;   in Loop: Header=BB6_7336 Depth=2
	s_or_b64 exec, exec, s[78:79]
.LBB6_8576:                             ;   in Loop: Header=BB6_7336 Depth=2
	s_or_b64 exec, exec, s[18:19]
	buffer_load_dword v2, off, s[0:3], s33 offset:92 ; 4-byte Folded Reload
	buffer_load_dword v3, off, s[0:3], s33 offset:96 ; 4-byte Folded Reload
	s_waitcnt vmcnt(0)
	v_mov_b32_e32 v3, 0
	v_mov_b32_e32 v27, v2
	v_cmp_ne_u16_e32 vcc, 0, v27
	v_mov_b32_e32 v2, 0
	s_and_saveexec_b64 s[18:19], vcc
	s_cbranch_execz .LBB6_8584
; %bb.8577:                             ;   in Loop: Header=BB6_7336 Depth=2
	v_cmp_ne_u16_e32 vcc, s49, v27
	v_bfrev_b32_e32 v3, 1
	s_and_saveexec_b64 s[78:79], vcc
	s_cbranch_execz .LBB6_8583
; %bb.8578:                             ;   in Loop: Header=BB6_7336 Depth=2
	v_and_b32_e32 v3, 0x7c, v27
	v_and_b32_e32 v4, 3, v27
	v_cmp_ne_u32_e32 vcc, s50, v3
                                        ; implicit-def: $vgpr3
	s_and_saveexec_b64 s[88:89], vcc
	s_xor_b64 s[88:89], exec, s[88:89]
	s_cbranch_execz .LBB6_8580
; %bb.8579:                             ;   in Loop: Header=BB6_7336 Depth=2
	buffer_load_dword v53, off, s[0:3], s33 offset:92 ; 4-byte Folded Reload
	buffer_load_dword v54, off, s[0:3], s33 offset:96 ; 4-byte Folded Reload
	v_ffbh_u32_e32 v27, v4
	v_min_u32_e32 v27, 32, v27
	s_waitcnt vmcnt(0)
	v_mov_b32_e32 v54, v28
	v_subrev_u32_e32 v51, 29, v27
	v_sub_u32_e32 v27, 30, v27
	v_and_b32_e32 v3, 0xff, v53
	v_bfe_u32 v3, v3, 2, 5
	v_lshlrev_b64 v[51:52], v51, v[53:54]
	v_cmp_eq_u32_e32 vcc, 0, v3
	v_and_b32_e32 v51, 3, v51
	v_cndmask_b32_e32 v3, v3, v27, vcc
	v_and_b32_sdwa v27, sext(v53), s51 dst_sel:DWORD dst_unused:UNUSED_PAD src0_sel:WORD_0 src1_sel:DWORD
	v_cndmask_b32_e32 v4, v4, v51, vcc
	v_lshl_add_u32 v3, v3, 23, v27
	v_lshl_or_b32 v3, v4, 21, v3
	v_add_u32_e32 v3, 0x38000000, v3
                                        ; implicit-def: $vgpr27
                                        ; implicit-def: $vgpr4
	buffer_store_dword v27, off, s[0:3], s33 offset:92 ; 4-byte Folded Spill
	s_nop 0
	buffer_store_dword v28, off, s[0:3], s33 offset:96 ; 4-byte Folded Spill
.LBB6_8580:                             ;   in Loop: Header=BB6_7336 Depth=2
	s_andn2_saveexec_b64 s[88:89], s[88:89]
	s_cbranch_execz .LBB6_8582
; %bb.8581:                             ;   in Loop: Header=BB6_7336 Depth=2
	buffer_load_dword v51, off, s[0:3], s33 offset:92 ; 4-byte Folded Reload
	buffer_load_dword v52, off, s[0:3], s33 offset:96 ; 4-byte Folded Reload
	v_mov_b32_e32 v3, 0xff800000
	v_mov_b32_e32 v27, 0x7f800000
	s_waitcnt vmcnt(1)
	v_cmp_lt_i16_e32 vcc, -1, v51
	v_cndmask_b32_e32 v3, v3, v27, vcc
	v_cmp_eq_u32_e32 vcc, 0, v4
	v_mov_b32_e32 v4, 0x7f800001
	v_cndmask_b32_e32 v3, v4, v3, vcc
.LBB6_8582:                             ;   in Loop: Header=BB6_7336 Depth=2
	s_or_b64 exec, exec, s[88:89]
.LBB6_8583:                             ;   in Loop: Header=BB6_7336 Depth=2
	s_or_b64 exec, exec, s[78:79]
.LBB6_8584:                             ;   in Loop: Header=BB6_7336 Depth=2
	s_or_b64 exec, exec, s[18:19]
	buffer_load_dword v51, off, s[0:3], s33 offset:84 ; 4-byte Folded Reload
	buffer_load_dword v52, off, s[0:3], s33 offset:88 ; 4-byte Folded Reload
	s_waitcnt vmcnt(1)
	v_mov_b32_e32 v27, v51
	v_cmp_ne_u16_e32 vcc, 0, v27
	s_and_saveexec_b64 s[18:19], vcc
	s_cbranch_execz .LBB6_8592
; %bb.8585:                             ;   in Loop: Header=BB6_7336 Depth=2
	v_cmp_ne_u16_e32 vcc, s49, v27
	v_bfrev_b32_e32 v2, 1
	s_and_saveexec_b64 s[78:79], vcc
	s_cbranch_execz .LBB6_8591
; %bb.8586:                             ;   in Loop: Header=BB6_7336 Depth=2
	v_and_b32_e32 v2, 0x7c, v27
	v_and_b32_e32 v4, 3, v27
	v_cmp_ne_u32_e32 vcc, s50, v2
                                        ; implicit-def: $vgpr2
	s_and_saveexec_b64 s[88:89], vcc
	s_xor_b64 s[88:89], exec, s[88:89]
	s_cbranch_execz .LBB6_8588
; %bb.8587:                             ;   in Loop: Header=BB6_7336 Depth=2
	buffer_load_dword v53, off, s[0:3], s33 offset:84 ; 4-byte Folded Reload
	buffer_load_dword v54, off, s[0:3], s33 offset:88 ; 4-byte Folded Reload
	v_ffbh_u32_e32 v27, v4
	v_min_u32_e32 v27, 32, v27
	s_waitcnt vmcnt(0)
	v_mov_b32_e32 v54, v28
	v_subrev_u32_e32 v51, 29, v27
	v_sub_u32_e32 v27, 30, v27
	v_and_b32_e32 v2, 0xff, v53
	v_bfe_u32 v2, v2, 2, 5
	v_lshlrev_b64 v[51:52], v51, v[53:54]
	v_cmp_eq_u32_e32 vcc, 0, v2
	v_and_b32_e32 v51, 3, v51
	v_cndmask_b32_e32 v2, v2, v27, vcc
	v_and_b32_sdwa v27, sext(v53), s51 dst_sel:DWORD dst_unused:UNUSED_PAD src0_sel:WORD_0 src1_sel:DWORD
	v_cndmask_b32_e32 v4, v4, v51, vcc
	v_lshl_add_u32 v2, v2, 23, v27
	v_lshl_or_b32 v2, v4, 21, v2
	v_add_u32_e32 v2, 0x38000000, v2
                                        ; implicit-def: $vgpr27
                                        ; implicit-def: $vgpr4
	buffer_store_dword v27, off, s[0:3], s33 offset:84 ; 4-byte Folded Spill
	s_nop 0
	buffer_store_dword v28, off, s[0:3], s33 offset:88 ; 4-byte Folded Spill
.LBB6_8588:                             ;   in Loop: Header=BB6_7336 Depth=2
	s_andn2_saveexec_b64 s[88:89], s[88:89]
	s_cbranch_execz .LBB6_8590
; %bb.8589:                             ;   in Loop: Header=BB6_7336 Depth=2
	buffer_load_dword v51, off, s[0:3], s33 offset:84 ; 4-byte Folded Reload
	buffer_load_dword v52, off, s[0:3], s33 offset:88 ; 4-byte Folded Reload
	v_mov_b32_e32 v2, 0xff800000
	v_mov_b32_e32 v27, 0x7f800000
	s_waitcnt vmcnt(1)
	v_cmp_lt_i16_e32 vcc, -1, v51
	v_cndmask_b32_e32 v2, v2, v27, vcc
	v_cmp_eq_u32_e32 vcc, 0, v4
	v_mov_b32_e32 v4, 0x7f800001
	v_cndmask_b32_e32 v2, v4, v2, vcc
.LBB6_8590:                             ;   in Loop: Header=BB6_7336 Depth=2
	s_or_b64 exec, exec, s[88:89]
.LBB6_8591:                             ;   in Loop: Header=BB6_7336 Depth=2
	s_or_b64 exec, exec, s[78:79]
.LBB6_8592:                             ;   in Loop: Header=BB6_7336 Depth=2
	s_or_b64 exec, exec, s[18:19]
	v_mul_f32_e32 v2, v3, v2
	v_and_b32_e32 v3, 0x7f800000, v2
	v_mov_b32_e32 v4, v28
	v_cmp_ne_u64_e32 vcc, s[58:59], v[3:4]
	v_and_b32_e32 v27, 0x7fffff, v2
                                        ; implicit-def: $vgpr3
	s_and_saveexec_b64 s[18:19], vcc
	s_xor_b64 s[78:79], exec, s[18:19]
	s_cbranch_execz .LBB6_8610
; %bb.8593:                             ;   in Loop: Header=BB6_7336 Depth=2
	v_and_b32_e32 v3, 0x7fffffff, v2
	v_mov_b32_e32 v4, v28
	v_cmp_gt_u64_e32 vcc, s[60:61], v[3:4]
	v_and_b32_sdwa v51, v2, s52 dst_sel:DWORD dst_unused:UNUSED_PAD src0_sel:BYTE_3 src1_sel:DWORD
                                        ; implicit-def: $vgpr3
	s_and_saveexec_b64 s[18:19], vcc
	s_xor_b64 s[88:89], exec, s[18:19]
	s_cbranch_execz .LBB6_8607
; %bb.8594:                             ;   in Loop: Header=BB6_7336 Depth=2
	v_cmp_ne_u32_e32 vcc, 0, v2
	v_mov_b32_e32 v3, 0
	s_and_saveexec_b64 s[90:91], vcc
	s_cbranch_execz .LBB6_8606
; %bb.8595:                             ;   in Loop: Header=BB6_7336 Depth=2
	s_waitcnt vmcnt(0)
	v_bfe_u32 v52, v2, 23, 8
	v_cmp_gt_u32_e64 s[18:19], s53, v52
	v_sub_u32_e32 v2, 0x71, v52
	v_cmp_eq_u32_e32 vcc, 0, v52
	v_cndmask_b32_e64 v2, 0, v2, s[18:19]
	v_mov_b32_e32 v4, 0x70
	v_cndmask_b32_e32 v53, v2, v4, vcc
	v_add_u32_e32 v4, 21, v53
	v_or_b32_e32 v3, 0x800000, v27
	v_lshlrev_b64 v[54:55], v4, -1
	v_cndmask_b32_e32 v2, v3, v27, vcc
	v_mov_b32_e32 v3, v28
	v_add_u32_e32 v4, 20, v53
	v_bfi_b32 v54, v54, 0, v2
	v_lshlrev_b64 v[40:41], v4, 1
	v_lshrrev_b64 v[2:3], v53, v[2:3]
	v_bfi_b32 v55, v55, 0, 0
	v_cmp_eq_u64_e64 s[18:19], v[54:55], v[40:41]
	v_mov_b32_e32 v4, v3
	v_mov_b32_e32 v3, v2
	s_and_saveexec_b64 s[92:93], s[18:19]
; %bb.8596:                             ;   in Loop: Header=BB6_7336 Depth=2
	v_bfe_u32 v3, v2, 21, 1
	v_add_co_u32_e64 v3, s[18:19], v2, v3
	v_add_co_u32_e64 v3, s[18:19], -1, v3
; %bb.8597:                             ;   in Loop: Header=BB6_7336 Depth=2
	s_or_b64 exec, exec, s[92:93]
	v_add_u32_e32 v4, 0xffffff81, v52
	v_mov_b32_e32 v27, 0xffffff82
	v_cndmask_b32_e32 v4, v4, v27, vcc
	v_lshrrev_b32_e32 v27, 23, v2
	v_add3_u32 v53, v53, v4, v27
	v_add_u32_e32 v52, 14, v53
	v_and_b32_e32 v3, 0x1fffff, v3
	v_add_u32_e32 v27, v3, v2
	v_cmp_ne_u32_e32 vcc, 0, v52
                                        ; implicit-def: $vgpr2_vgpr3
                                        ; implicit-def: $vgpr4
	s_and_saveexec_b64 s[18:19], vcc
	s_xor_b64 s[18:19], exec, s[18:19]
; %bb.8598:                             ;   in Loop: Header=BB6_7336 Depth=2
	v_cmp_lt_u64_e32 vcc, s[62:63], v[27:28]
	v_add_u32_e32 v2, 15, v53
	v_cndmask_b32_e32 v4, v52, v2, vcc
	v_cndmask_b32_e64 v2, 0, 1, vcc
	v_lshrrev_b64 v[2:3], v2, v[27:28]
; %bb.8599:                             ;   in Loop: Header=BB6_7336 Depth=2
	s_andn2_saveexec_b64 s[18:19], s[18:19]
; %bb.8600:                             ;   in Loop: Header=BB6_7336 Depth=2
	v_mov_b32_e32 v2, v27
	v_mov_b32_e32 v3, v28
	v_bfe_u32 v4, v27, 23, 1
; %bb.8601:                             ;   in Loop: Header=BB6_7336 Depth=2
	s_or_b64 exec, exec, s[18:19]
	v_lshrrev_b64 v[2:3], 21, v[2:3]
	v_cmp_gt_i32_e32 vcc, 32, v4
	v_cndmask_b32_e32 v3, 0, v3, vcc
	v_cndmask_b32_e32 v2, 3, v2, vcc
	v_cmp_ne_u64_e32 vcc, 0, v[2:3]
	v_cmp_ne_u32_e64 s[18:19], 0, v4
	s_or_b64 s[18:19], s[18:19], vcc
                                        ; implicit-def: $vgpr3
	s_and_saveexec_b64 s[92:93], s[18:19]
	s_xor_b64 s[18:19], exec, s[92:93]
; %bb.8602:                             ;   in Loop: Header=BB6_7336 Depth=2
	v_min_i32_e32 v3, 31, v4
	v_lshl_or_b32 v3, v3, 2, v51
	v_and_or_b32 v3, v2, 3, v3
                                        ; implicit-def: $vgpr51
; %bb.8603:                             ;   in Loop: Header=BB6_7336 Depth=2
	s_andn2_saveexec_b64 s[18:19], s[18:19]
; %bb.8604:                             ;   in Loop: Header=BB6_7336 Depth=2
	v_mov_b32_e32 v3, v51
; %bb.8605:                             ;   in Loop: Header=BB6_7336 Depth=2
	s_or_b64 exec, exec, s[18:19]
.LBB6_8606:                             ;   in Loop: Header=BB6_7336 Depth=2
	s_or_b64 exec, exec, s[90:91]
                                        ; implicit-def: $vgpr51
.LBB6_8607:                             ;   in Loop: Header=BB6_7336 Depth=2
	s_andn2_saveexec_b64 s[18:19], s[88:89]
; %bb.8608:                             ;   in Loop: Header=BB6_7336 Depth=2
	v_or_b32_e32 v3, 0x7b, v51
; %bb.8609:                             ;   in Loop: Header=BB6_7336 Depth=2
	s_or_b64 exec, exec, s[18:19]
                                        ; implicit-def: $vgpr2
.LBB6_8610:                             ;   in Loop: Header=BB6_7336 Depth=2
	s_andn2_saveexec_b64 s[18:19], s[78:79]
	s_cbranch_execz .LBB6_7335
; %bb.8611:                             ;   in Loop: Header=BB6_7336 Depth=2
	v_cmp_ne_u64_e32 vcc, 0, v[27:28]
                                        ; implicit-def: $vgpr3
	s_and_saveexec_b64 s[78:79], vcc
	s_xor_b64 s[78:79], exec, s[78:79]
; %bb.8612:                             ;   in Loop: Header=BB6_7336 Depth=2
	v_or_b32_sdwa v3, v2, s54 dst_sel:DWORD dst_unused:UNUSED_PAD src0_sel:BYTE_3 src1_sel:DWORD
                                        ; implicit-def: $vgpr2
; %bb.8613:                             ;   in Loop: Header=BB6_7336 Depth=2
	s_andn2_saveexec_b64 s[78:79], s[78:79]
	s_cbranch_execz .LBB6_7334
; %bb.8614:                             ;   in Loop: Header=BB6_7336 Depth=2
	v_cmp_lt_i32_e32 vcc, -1, v2
	v_mov_b32_e32 v2, 0x7c
	v_cndmask_b32_e32 v3, -4, v2, vcc
	s_branch .LBB6_7334
.LBB6_8615:                             ;   in Loop: Header=BB6_4399 Depth=1
	s_or_b64 exec, exec, s[76:77]
	buffer_load_dword v48, off, s[0:3], s33 offset:344 ; 4-byte Folded Reload
	buffer_load_dword v49, off, s[0:3], s33 offset:376 ; 4-byte Folded Reload
	;; [unrolled: 1-line block ×25, first 2 shown]
	v_bfrev_b32_e32 v45, 1
.LBB6_8616:                             ;   in Loop: Header=BB6_4399 Depth=1
	s_or_b64 exec, exec, s[22:23]
	s_waitcnt vmcnt(0)
	v_and_b32_e32 v0, 0xfffff800, v5
	v_cmp_ne_u32_e32 vcc, v5, v0
	s_and_b64 exec, exec, vcc
	s_cbranch_execz .LBB6_8660
; %bb.8617:                             ;   in Loop: Header=BB6_4399 Depth=1
	v_add_u32_e32 v1, v7, v1
	v_and_b32_e32 v1, 0xffffffc0, v1
	v_sub_u32_e32 v1, v7, v1
	v_lshlrev_b32_e32 v2, 6, v31
	v_sub_u32_e32 v1, v1, v2
	v_and_b32_e32 v2, 0x7ff, v5
	v_sub_u32_e32 v10, v2, v1
	v_cmp_lt_i32_e32 vcc, 0, v10
	s_and_b64 exec, exec, vcc
	s_cbranch_execz .LBB6_8660
; %bb.8618:                             ;   in Loop: Header=BB6_4399 Depth=1
	s_trap 2
	ds_read_b128 v[2:5], v0
	v_add3_u32 v8, v0, v6, v1
	ds_read_b64 v[6:7], v0
	v_ashrrev_i32_e32 v9, 31, v8
	s_mov_b64 s[22:23], 0
	s_waitcnt lgkmcnt(0)
	v_add_co_u32_e32 v0, vcc, v2, v8
	v_addc_co_u32_e32 v1, vcc, v3, v9, vcc
	v_add_co_u32_e32 v4, vcc, v4, v8
	v_addc_co_u32_e32 v5, vcc, v5, v9, vcc
	;; [unrolled: 2-line block ×3, first 2 shown]
	s_branch .LBB6_8621
.LBB6_8619:                             ;   in Loop: Header=BB6_8621 Depth=2
	s_or_b64 exec, exec, s[76:77]
.LBB6_8620:                             ;   in Loop: Header=BB6_8621 Depth=2
	s_or_b64 exec, exec, s[18:19]
	v_add_co_u32_e32 v0, vcc, v0, v42
	v_addc_co_u32_e32 v1, vcc, 0, v1, vcc
	v_add_co_u32_e32 v4, vcc, v4, v42
	v_addc_co_u32_e32 v5, vcc, 0, v5, vcc
	v_sub_u32_e32 v10, v10, v42
	v_cmp_gt_i32_e32 vcc, 1, v10
	flat_store_byte v[6:7], v3 glc slc
	s_or_b64 s[22:23], vcc, s[22:23]
	v_add_co_u32_e32 v6, vcc, v6, v42
	v_addc_co_u32_e32 v7, vcc, 0, v7, vcc
	s_andn2_b64 exec, exec, s[22:23]
	s_cbranch_execz .LBB6_8660
.LBB6_8621:                             ;   Parent Loop BB6_4399 Depth=1
                                        ; =>  This Inner Loop Header: Depth=2
	flat_load_sbyte v8, v[0:1] glc slc
	flat_load_sbyte v2, v[4:5] glc slc
	v_mov_b32_e32 v3, 0
	v_mov_b32_e32 v9, 0
	s_waitcnt vmcnt(0) lgkmcnt(0)
	v_cmp_ne_u16_e32 vcc, 0, v8
	s_and_saveexec_b64 s[18:19], vcc
	s_cbranch_execz .LBB6_8629
; %bb.8622:                             ;   in Loop: Header=BB6_8621 Depth=2
	v_cmp_ne_u16_e32 vcc, s49, v8
	v_bfrev_b32_e32 v9, 1
	s_and_saveexec_b64 s[76:77], vcc
	s_cbranch_execz .LBB6_8628
; %bb.8623:                             ;   in Loop: Header=BB6_8621 Depth=2
	v_and_b32_e32 v9, 0x7c, v8
	v_and_b32_e32 v11, 3, v8
	v_cmp_ne_u32_e32 vcc, s50, v9
                                        ; implicit-def: $vgpr9
	s_and_saveexec_b64 s[78:79], vcc
	s_xor_b64 s[78:79], exec, s[78:79]
	s_cbranch_execz .LBB6_8625
; %bb.8624:                             ;   in Loop: Header=BB6_8621 Depth=2
	v_and_b32_e32 v12, 0xff, v8
	v_bfe_u32 v14, v12, 2, 5
	v_ffbh_u32_e32 v12, v11
	v_min_u32_e32 v15, 32, v12
	v_mov_b32_e32 v9, v28
	v_subrev_u32_e32 v12, 29, v15
	v_lshlrev_b64 v[12:13], v12, v[8:9]
	v_sub_u32_e32 v9, 30, v15
	v_cmp_eq_u32_e32 vcc, 0, v14
	v_and_b32_e32 v12, 3, v12
	v_cndmask_b32_e32 v9, v14, v9, vcc
	v_and_b32_sdwa v8, sext(v8), s51 dst_sel:DWORD dst_unused:UNUSED_PAD src0_sel:WORD_0 src1_sel:DWORD
	v_cndmask_b32_e32 v11, v11, v12, vcc
	v_lshl_add_u32 v8, v9, 23, v8
	v_lshl_or_b32 v8, v11, 21, v8
	v_add_u32_e32 v9, 0x38000000, v8
                                        ; implicit-def: $vgpr11
                                        ; implicit-def: $vgpr8
.LBB6_8625:                             ;   in Loop: Header=BB6_8621 Depth=2
	s_andn2_saveexec_b64 s[78:79], s[78:79]
; %bb.8626:                             ;   in Loop: Header=BB6_8621 Depth=2
	v_cmp_lt_i16_e32 vcc, -1, v8
	v_mov_b32_e32 v8, 0xff800000
	v_mov_b32_e32 v9, 0x7f800000
	v_cndmask_b32_e32 v8, v8, v9, vcc
	v_cmp_eq_u32_e32 vcc, 0, v11
	v_mov_b32_e32 v9, 0x7f800001
	v_cndmask_b32_e32 v9, v9, v8, vcc
; %bb.8627:                             ;   in Loop: Header=BB6_8621 Depth=2
	s_or_b64 exec, exec, s[78:79]
.LBB6_8628:                             ;   in Loop: Header=BB6_8621 Depth=2
	s_or_b64 exec, exec, s[76:77]
.LBB6_8629:                             ;   in Loop: Header=BB6_8621 Depth=2
	s_or_b64 exec, exec, s[18:19]
	v_cmp_ne_u16_e32 vcc, 0, v2
	s_and_saveexec_b64 s[18:19], vcc
	s_cbranch_execz .LBB6_8637
; %bb.8630:                             ;   in Loop: Header=BB6_8621 Depth=2
	v_cmp_ne_u16_e32 vcc, s49, v2
	v_bfrev_b32_e32 v3, 1
	s_and_saveexec_b64 s[76:77], vcc
	s_cbranch_execz .LBB6_8636
; %bb.8631:                             ;   in Loop: Header=BB6_8621 Depth=2
	v_and_b32_e32 v3, 0x7c, v2
	v_and_b32_e32 v8, 3, v2
	v_cmp_ne_u32_e32 vcc, s50, v3
                                        ; implicit-def: $vgpr3
	s_and_saveexec_b64 s[78:79], vcc
	s_xor_b64 s[78:79], exec, s[78:79]
	s_cbranch_execz .LBB6_8633
; %bb.8632:                             ;   in Loop: Header=BB6_8621 Depth=2
	v_ffbh_u32_e32 v13, v8
	v_and_b32_e32 v3, 0xff, v2
	v_min_u32_e32 v13, 32, v13
	v_bfe_u32 v11, v3, 2, 5
	v_mov_b32_e32 v3, v28
	v_subrev_u32_e32 v14, 29, v13
	v_and_b32_sdwa v12, sext(v2), s51 dst_sel:DWORD dst_unused:UNUSED_PAD src0_sel:WORD_0 src1_sel:DWORD
	v_lshlrev_b64 v[2:3], v14, v[2:3]
	v_sub_u32_e32 v3, 30, v13
	v_cmp_eq_u32_e32 vcc, 0, v11
	v_and_b32_e32 v2, 3, v2
	v_cndmask_b32_e32 v3, v11, v3, vcc
	v_cndmask_b32_e32 v2, v8, v2, vcc
	v_lshl_add_u32 v3, v3, 23, v12
	v_lshl_or_b32 v2, v2, 21, v3
	v_add_u32_e32 v3, 0x38000000, v2
                                        ; implicit-def: $vgpr2
                                        ; implicit-def: $vgpr8
.LBB6_8633:                             ;   in Loop: Header=BB6_8621 Depth=2
	s_andn2_saveexec_b64 s[78:79], s[78:79]
; %bb.8634:                             ;   in Loop: Header=BB6_8621 Depth=2
	v_cmp_lt_i16_e32 vcc, -1, v2
	v_mov_b32_e32 v2, 0xff800000
	v_mov_b32_e32 v3, 0x7f800000
	v_cndmask_b32_e32 v2, v2, v3, vcc
	v_cmp_eq_u32_e32 vcc, 0, v8
	v_mov_b32_e32 v3, 0x7f800001
	v_cndmask_b32_e32 v3, v3, v2, vcc
; %bb.8635:                             ;   in Loop: Header=BB6_8621 Depth=2
	s_or_b64 exec, exec, s[78:79]
.LBB6_8636:                             ;   in Loop: Header=BB6_8621 Depth=2
	s_or_b64 exec, exec, s[76:77]
.LBB6_8637:                             ;   in Loop: Header=BB6_8621 Depth=2
	s_or_b64 exec, exec, s[18:19]
	v_mul_f32_e32 v2, v9, v3
	v_and_b32_e32 v8, 0x7f800000, v2
	v_mov_b32_e32 v9, v28
	v_cmp_ne_u64_e32 vcc, s[58:59], v[8:9]
	v_and_b32_e32 v27, 0x7fffff, v2
                                        ; implicit-def: $vgpr3
	s_and_saveexec_b64 s[18:19], vcc
	s_xor_b64 s[76:77], exec, s[18:19]
	s_cbranch_execz .LBB6_8655
; %bb.8638:                             ;   in Loop: Header=BB6_8621 Depth=2
	v_and_b32_e32 v8, 0x7fffffff, v2
	v_mov_b32_e32 v9, v28
	v_cmp_gt_u64_e32 vcc, s[60:61], v[8:9]
	v_and_b32_sdwa v11, v2, s52 dst_sel:DWORD dst_unused:UNUSED_PAD src0_sel:BYTE_3 src1_sel:DWORD
                                        ; implicit-def: $vgpr3
	s_and_saveexec_b64 s[18:19], vcc
	s_xor_b64 s[78:79], exec, s[18:19]
	s_cbranch_execz .LBB6_8652
; %bb.8639:                             ;   in Loop: Header=BB6_8621 Depth=2
	v_cmp_ne_u32_e32 vcc, 0, v2
	v_mov_b32_e32 v3, 0
	s_and_saveexec_b64 s[88:89], vcc
	s_cbranch_execz .LBB6_8651
; %bb.8640:                             ;   in Loop: Header=BB6_8621 Depth=2
	v_bfe_u32 v12, v2, 23, 8
	v_cmp_gt_u32_e64 s[18:19], s53, v12
	v_sub_u32_e32 v2, 0x71, v12
	v_cmp_eq_u32_e32 vcc, 0, v12
	v_cndmask_b32_e64 v2, 0, v2, s[18:19]
	v_mov_b32_e32 v8, 0x70
	v_cndmask_b32_e32 v13, v2, v8, vcc
	v_add_u32_e32 v8, 21, v13
	v_or_b32_e32 v3, 0x800000, v27
	v_lshlrev_b64 v[8:9], v8, -1
	v_cndmask_b32_e32 v2, v3, v27, vcc
	v_mov_b32_e32 v3, v28
	v_add_u32_e32 v14, 20, v13
	v_bfi_b32 v8, v8, 0, v2
	v_lshlrev_b64 v[14:15], v14, 1
	v_lshrrev_b64 v[2:3], v13, v[2:3]
	v_bfi_b32 v9, v9, 0, 0
	v_cmp_eq_u64_e64 s[18:19], v[8:9], v[14:15]
	v_mov_b32_e32 v9, v3
	v_mov_b32_e32 v8, v2
	s_and_saveexec_b64 s[90:91], s[18:19]
; %bb.8641:                             ;   in Loop: Header=BB6_8621 Depth=2
	v_bfe_u32 v3, v2, 21, 1
	v_add_co_u32_e64 v3, s[18:19], v2, v3
	v_add_co_u32_e64 v8, s[18:19], -1, v3
; %bb.8642:                             ;   in Loop: Header=BB6_8621 Depth=2
	s_or_b64 exec, exec, s[90:91]
	v_add_u32_e32 v3, 0xffffff81, v12
	v_mov_b32_e32 v9, 0xffffff82
	v_cndmask_b32_e32 v3, v3, v9, vcc
	v_lshrrev_b32_e32 v9, 23, v2
	v_add3_u32 v12, v13, v3, v9
	v_add_u32_e32 v9, 14, v12
	v_and_b32_e32 v3, 0x1fffff, v8
	v_add_u32_e32 v27, v3, v2
	v_cmp_ne_u32_e32 vcc, 0, v9
                                        ; implicit-def: $vgpr2_vgpr3
                                        ; implicit-def: $vgpr8
	s_and_saveexec_b64 s[18:19], vcc
	s_xor_b64 s[18:19], exec, s[18:19]
; %bb.8643:                             ;   in Loop: Header=BB6_8621 Depth=2
	v_cmp_lt_u64_e32 vcc, s[62:63], v[27:28]
	v_add_u32_e32 v2, 15, v12
	v_cndmask_b32_e32 v8, v9, v2, vcc
	v_cndmask_b32_e64 v2, 0, 1, vcc
	v_lshrrev_b64 v[2:3], v2, v[27:28]
; %bb.8644:                             ;   in Loop: Header=BB6_8621 Depth=2
	s_andn2_saveexec_b64 s[18:19], s[18:19]
; %bb.8645:                             ;   in Loop: Header=BB6_8621 Depth=2
	v_mov_b32_e32 v2, v27
	v_mov_b32_e32 v3, v28
	v_bfe_u32 v8, v27, 23, 1
; %bb.8646:                             ;   in Loop: Header=BB6_8621 Depth=2
	s_or_b64 exec, exec, s[18:19]
	v_lshrrev_b64 v[2:3], 21, v[2:3]
	v_cmp_gt_i32_e32 vcc, 32, v8
	v_cndmask_b32_e32 v3, 0, v3, vcc
	v_cndmask_b32_e32 v2, 3, v2, vcc
	v_cmp_ne_u64_e32 vcc, 0, v[2:3]
	v_cmp_ne_u32_e64 s[18:19], 0, v8
	s_or_b64 s[18:19], s[18:19], vcc
                                        ; implicit-def: $vgpr3
	s_and_saveexec_b64 s[90:91], s[18:19]
	s_xor_b64 s[18:19], exec, s[90:91]
; %bb.8647:                             ;   in Loop: Header=BB6_8621 Depth=2
	v_min_i32_e32 v3, 31, v8
	v_lshl_or_b32 v3, v3, 2, v11
	v_and_or_b32 v3, v2, 3, v3
                                        ; implicit-def: $vgpr11
; %bb.8648:                             ;   in Loop: Header=BB6_8621 Depth=2
	s_andn2_saveexec_b64 s[18:19], s[18:19]
; %bb.8649:                             ;   in Loop: Header=BB6_8621 Depth=2
	v_mov_b32_e32 v3, v11
; %bb.8650:                             ;   in Loop: Header=BB6_8621 Depth=2
	s_or_b64 exec, exec, s[18:19]
.LBB6_8651:                             ;   in Loop: Header=BB6_8621 Depth=2
	s_or_b64 exec, exec, s[88:89]
                                        ; implicit-def: $vgpr11
.LBB6_8652:                             ;   in Loop: Header=BB6_8621 Depth=2
	s_andn2_saveexec_b64 s[18:19], s[78:79]
; %bb.8653:                             ;   in Loop: Header=BB6_8621 Depth=2
	v_or_b32_e32 v3, 0x7b, v11
; %bb.8654:                             ;   in Loop: Header=BB6_8621 Depth=2
	s_or_b64 exec, exec, s[18:19]
                                        ; implicit-def: $vgpr2
.LBB6_8655:                             ;   in Loop: Header=BB6_8621 Depth=2
	s_andn2_saveexec_b64 s[18:19], s[76:77]
	s_cbranch_execz .LBB6_8620
; %bb.8656:                             ;   in Loop: Header=BB6_8621 Depth=2
	v_cmp_ne_u64_e32 vcc, 0, v[27:28]
                                        ; implicit-def: $vgpr3
	s_and_saveexec_b64 s[76:77], vcc
	s_xor_b64 s[76:77], exec, s[76:77]
; %bb.8657:                             ;   in Loop: Header=BB6_8621 Depth=2
	v_or_b32_sdwa v3, v2, s54 dst_sel:DWORD dst_unused:UNUSED_PAD src0_sel:BYTE_3 src1_sel:DWORD
                                        ; implicit-def: $vgpr2
; %bb.8658:                             ;   in Loop: Header=BB6_8621 Depth=2
	s_andn2_saveexec_b64 s[76:77], s[76:77]
	s_cbranch_execz .LBB6_8619
; %bb.8659:                             ;   in Loop: Header=BB6_8621 Depth=2
	v_cmp_lt_i32_e32 vcc, -1, v2
	v_mov_b32_e32 v2, 0x7c
	v_cndmask_b32_e32 v3, -4, v2, vcc
	s_branch .LBB6_8619
.LBB6_8660:                             ;   in Loop: Header=BB6_4399 Depth=1
	s_or_b64 exec, exec, s[20:21]
	buffer_load_dword v8, off, s[0:3], s33 offset:248 ; 4-byte Folded Reload
	buffer_load_dword v9, off, s[0:3], s33 offset:252 ; 4-byte Folded Reload
	v_cmp_ne_u32_e64 s[18:19], 0, v56
	s_and_saveexec_b64 s[20:21], s[10:11]
	s_cbranch_execz .LBB6_8679
.LBB6_8661:                             ;   in Loop: Header=BB6_4399 Depth=1
	s_and_saveexec_b64 s[22:23], s[42:43]
	s_xor_b64 s[22:23], exec, s[22:23]
	s_cbranch_execz .LBB6_8676
; %bb.8662:                             ;   in Loop: Header=BB6_4399 Depth=1
	s_and_saveexec_b64 s[76:77], s[12:13]
	s_cbranch_execz .LBB6_8675
; %bb.8663:                             ;   in Loop: Header=BB6_4399 Depth=1
	s_mov_b64 s[88:89], exec
	v_mbcnt_lo_u32_b32 v0, s88, 0
	v_mbcnt_hi_u32_b32 v0, s89, v0
	v_cmp_eq_u32_e32 vcc, 0, v0
	s_waitcnt vmcnt(0) lgkmcnt(0)
	buffer_wbinvl1_vol
	s_and_saveexec_b64 s[78:79], vcc
	s_cbranch_execz .LBB6_8665
; %bb.8664:                             ;   in Loop: Header=BB6_4399 Depth=1
	s_bcnt1_i32_b64 s88, s[88:89]
	v_mov_b32_e32 v0, s88
	v_mov_b32_e32 v1, v28
	ds_add_u64 v0, v[0:1]
	s_trap 2
.LBB6_8665:                             ;   in Loop: Header=BB6_4399 Depth=1
	s_or_b64 exec, exec, s[78:79]
	s_trap 2
	ds_read_b64 v[0:1], v0
	s_waitcnt lgkmcnt(0)
	buffer_load_dword v2, off, s[0:3], s33 offset:68 ; 4-byte Folded Reload
	buffer_load_dword v3, off, s[0:3], s33 offset:72 ; 4-byte Folded Reload
	s_waitcnt vmcnt(1)
	v_add_co_u32_e32 v2, vcc, v2, v62
	s_waitcnt vmcnt(0)
	v_addc_co_u32_e32 v3, vcc, 0, v3, vcc
	buffer_store_dword v2, off, s[0:3], s33 offset:68 ; 4-byte Folded Spill
	s_nop 0
	buffer_store_dword v3, off, s[0:3], s33 offset:72 ; 4-byte Folded Spill
	v_cmp_lt_u64_e32 vcc, v[0:1], v[2:3]
	s_and_saveexec_b64 s[78:79], vcc
	s_cbranch_execz .LBB6_8674
; %bb.8666:                             ;   in Loop: Header=BB6_4399 Depth=1
	s_mov_b32 s34, 0
	s_mov_b64 s[88:89], 0
                                        ; implicit-def: $sgpr90_sgpr91
                                        ; implicit-def: $sgpr92_sgpr93
	s_branch .LBB6_8668
.LBB6_8667:                             ;   in Loop: Header=BB6_8668 Depth=2
	s_or_b64 exec, exec, s[30:31]
	s_and_b64 s[94:95], exec, vcc
	s_or_b64 s[88:89], s[94:95], s[88:89]
	s_andn2_b64 s[90:91], s[90:91], exec
	s_and_b64 s[94:95], s[92:93], exec
	s_or_b64 s[90:91], s[90:91], s[94:95]
	s_andn2_b64 exec, exec, s[88:89]
	s_cbranch_execz .LBB6_8672
.LBB6_8668:                             ;   Parent Loop BB6_4399 Depth=1
                                        ; =>  This Inner Loop Header: Depth=2
	s_add_i32 s34, s34, 1
	s_cmpk_lg_i32 s34, 0x2710
	s_cselect_b64 s[94:95], -1, 0
	s_and_b64 vcc, exec, s[94:95]
	s_cbranch_vccz .LBB6_8670
; %bb.8669:                             ;   in Loop: Header=BB6_8668 Depth=2
	s_mov_b64 vcc, -1
	s_or_b64 s[92:93], s[92:93], exec
	s_and_saveexec_b64 s[30:31], s[94:95]
	s_cbranch_execz .LBB6_8667
	s_branch .LBB6_8671
.LBB6_8670:                             ;   in Loop: Header=BB6_8668 Depth=2
	s_trap 2
	ds_read_b64 v[0:1], v0
	s_andn2_b64 s[94:95], s[94:95], exec
	s_mov_b32 s34, 0
	s_waitcnt vmcnt(0) lgkmcnt(0)
	flat_load_dword v0, v[0:1] glc
	s_waitcnt vmcnt(0) lgkmcnt(0)
	buffer_wbinvl1_vol
	v_cmp_eq_u32_e32 vcc, 0, v0
	s_and_b64 vcc, vcc, exec
	s_or_b64 s[94:95], s[94:95], vcc
	s_mov_b64 vcc, -1
	s_or_b64 s[92:93], s[92:93], exec
	s_and_saveexec_b64 s[30:31], s[94:95]
	s_cbranch_execz .LBB6_8667
.LBB6_8671:                             ;   in Loop: Header=BB6_8668 Depth=2
	s_sleep 1
	s_trap 2
	ds_read_b64 v[0:1], v0
	s_waitcnt lgkmcnt(0)
	buffer_load_dword v2, off, s[0:3], s33 offset:68 ; 4-byte Folded Reload
	buffer_load_dword v3, off, s[0:3], s33 offset:72 ; 4-byte Folded Reload
	s_andn2_b64 s[92:93], s[92:93], exec
	s_waitcnt vmcnt(0)
	v_cmp_ge_u64_e32 vcc, v[0:1], v[2:3]
	s_orn2_b64 vcc, vcc, exec
	s_branch .LBB6_8667
.LBB6_8672:                             ;   in Loop: Header=BB6_4399 Depth=1
	s_or_b64 exec, exec, s[88:89]
	s_and_saveexec_b64 s[88:89], s[90:91]
	s_xor_b64 s[88:89], exec, s[88:89]
	s_cbranch_execz .LBB6_8674
; %bb.8673:                             ;   in Loop: Header=BB6_4399 Depth=1
	v_mov_b32_e32 v0, 1
	ds_write_b32 v0, v0
	s_trap 2
.LBB6_8674:                             ;   in Loop: Header=BB6_4399 Depth=1
	s_or_b64 exec, exec, s[78:79]
	;;#ASMSTART
	s_wakeup
	;;#ASMEND
.LBB6_8675:                             ;   in Loop: Header=BB6_4399 Depth=1
	s_or_b64 exec, exec, s[76:77]
.LBB6_8676:                             ;   in Loop: Header=BB6_4399 Depth=1
	s_andn2_saveexec_b64 s[22:23], s[22:23]
	s_cbranch_execz .LBB6_8678
; %bb.8677:                             ;   in Loop: Header=BB6_4399 Depth=1
	s_waitcnt vmcnt(0) lgkmcnt(0)
	buffer_wbinvl1_vol
	s_barrier
.LBB6_8678:                             ;   in Loop: Header=BB6_4399 Depth=1
	s_or_b64 exec, exec, s[22:23]
.LBB6_8679:                             ;   in Loop: Header=BB6_4399 Depth=1
	s_or_b64 exec, exec, s[20:21]
	v_and_b32_e32 v0, 16, v49
	v_cmp_ne_u32_e32 vcc, 0, v0
	s_and_b64 s[20:21], vcc, s[18:19]
	s_and_saveexec_b64 s[18:19], s[20:21]
	s_cbranch_execz .LBB6_8681
; %bb.8680:                             ;   in Loop: Header=BB6_4399 Depth=1
	s_waitcnt vmcnt(0) lgkmcnt(0)
	buffer_wbinvl1_vol
.LBB6_8681:                             ;   in Loop: Header=BB6_4399 Depth=1
	s_or_b64 exec, exec, s[18:19]
	v_and_b32_e32 v0, 32, v49
	v_cmp_ne_u32_e32 vcc, 0, v0
	s_and_saveexec_b64 s[18:19], vcc
	s_cbranch_execz .LBB6_8683
; %bb.8682:                             ;   in Loop: Header=BB6_4399 Depth=1
	v_add_co_u32_e32 v54, vcc, 1, v54
	v_addc_co_u32_e32 v55, vcc, 0, v55, vcc
	flat_store_dwordx2 v[57:58], v[54:55]
.LBB6_8683:                             ;   in Loop: Header=BB6_4399 Depth=1
	s_or_b64 exec, exec, s[18:19]
	v_mov_b32_e32 v6, v47
.LBB6_8684:                             ;   in Loop: Header=BB6_4399 Depth=1
	s_or_b64 exec, exec, s[74:75]
	s_and_saveexec_b64 s[20:21], s[72:73]
	s_cbranch_execz .LBB6_4398
; %bb.8685:                             ;   in Loop: Header=BB6_4399 Depth=1
	v_and_b32_e32 v0, 4, v49
	v_cmp_ne_u32_e32 vcc, 0, v0
	s_and_saveexec_b64 s[22:23], vcc
	s_cbranch_execz .LBB6_8707
; %bb.8686:                             ;   in Loop: Header=BB6_4399 Depth=1
	buffer_load_dword v2, off, s[0:3], s33 offset:60 ; 4-byte Folded Reload
	buffer_load_dword v3, off, s[0:3], s33 offset:64 ; 4-byte Folded Reload
	s_waitcnt lgkmcnt(0)
	v_add_co_u32_e32 v0, vcc, 1, v54
	v_addc_co_u32_e32 v1, vcc, 0, v55, vcc
	s_waitcnt vmcnt(0)
	v_cmp_lt_u64_e32 vcc, v[2:3], v[0:1]
	s_and_saveexec_b64 s[72:73], vcc
	s_cbranch_execz .LBB6_8698
; %bb.8687:                             ;   in Loop: Header=BB6_4399 Depth=1
	v_and_b32_e32 v2, 64, v49
	s_mov_b32 s36, 0
	v_cmp_eq_u32_e32 vcc, 0, v2
	s_mov_b64 s[74:75], 0
                                        ; implicit-def: $sgpr76_sgpr77
                                        ; implicit-def: $sgpr78_sgpr79
                                        ; implicit-def: $sgpr88_sgpr89
	s_branch .LBB6_8691
.LBB6_8688:                             ;   in Loop: Header=BB6_8691 Depth=2
	buffer_load_dword v3, off, s[0:3], s33 offset:60 ; 4-byte Folded Reload
	buffer_load_dword v4, off, s[0:3], s33 offset:64 ; 4-byte Folded Reload
	s_or_b64 s[94:95], s[94:95], exec
	s_waitcnt vmcnt(0)
	v_cmp_ge_u64_e64 s[18:19], v[3:4], v[0:1]
	s_orn2_b64 s[92:93], s[18:19], exec
.LBB6_8689:                             ;   in Loop: Header=BB6_8691 Depth=2
	s_or_b64 exec, exec, s[34:35]
	s_andn2_b64 s[18:19], s[88:89], exec
	s_and_b64 s[88:89], s[94:95], exec
	s_or_b64 s[88:89], s[18:19], s[88:89]
	s_andn2_b64 s[18:19], s[78:79], exec
	s_and_b64 s[78:79], s[92:93], exec
	s_or_b64 s[78:79], s[18:19], s[78:79]
.LBB6_8690:                             ;   in Loop: Header=BB6_8691 Depth=2
	s_or_b64 exec, exec, s[90:91]
	s_and_b64 s[18:19], exec, s[78:79]
	s_or_b64 s[74:75], s[18:19], s[74:75]
	s_andn2_b64 s[18:19], s[76:77], exec
	s_and_b64 s[76:77], s[88:89], exec
	s_or_b64 s[76:77], s[18:19], s[76:77]
	s_andn2_b64 exec, exec, s[74:75]
	s_cbranch_execz .LBB6_8695
.LBB6_8691:                             ;   Parent Loop BB6_4399 Depth=1
                                        ; =>  This Inner Loop Header: Depth=2
	s_sleep 1
	flat_load_dwordx2 v[2:3], v[57:58] glc
	s_or_b64 s[88:89], s[88:89], exec
	s_or_b64 s[78:79], s[78:79], exec
	s_waitcnt vmcnt(0) lgkmcnt(0)
	buffer_store_dword v2, off, s[0:3], s33 offset:60 ; 4-byte Folded Spill
	s_nop 0
	buffer_store_dword v3, off, s[0:3], s33 offset:64 ; 4-byte Folded Spill
                                        ; implicit-def: $vgpr2
	s_and_saveexec_b64 s[90:91], vcc
	s_cbranch_execz .LBB6_8690
; %bb.8692:                             ;   in Loop: Header=BB6_8691 Depth=2
	s_cmpk_lt_i32 s36, 0x270f
	s_cselect_b64 s[30:31], -1, 0
	s_cmpk_gt_i32 s36, 0x270e
	s_mov_b64 s[92:93], -1
	s_cbranch_scc0 .LBB6_8694
; %bb.8693:                             ;   in Loop: Header=BB6_8691 Depth=2
	s_trap 2
	ds_read_b64 v[2:3], v0
	s_andn2_b64 s[30:31], s[30:31], exec
	s_mov_b32 s36, 0
	s_mov_b64 s[94:95], 0
	s_waitcnt vmcnt(0) lgkmcnt(0)
	flat_load_dword v2, v[2:3] glc
	s_waitcnt vmcnt(0) lgkmcnt(0)
	buffer_wbinvl1_vol
	v_cmp_eq_u32_e64 s[18:19], 0, v2
	s_and_b64 s[18:19], s[18:19], exec
	s_or_b64 s[30:31], s[30:31], s[18:19]
	s_and_saveexec_b64 s[34:35], s[30:31]
	s_cbranch_execz .LBB6_8689
	s_branch .LBB6_8688
.LBB6_8694:                             ;   in Loop: Header=BB6_8691 Depth=2
	s_add_i32 s36, s36, 1
	s_mov_b64 s[94:95], -1
                                        ; implicit-def: $vgpr2
	s_and_saveexec_b64 s[34:35], s[30:31]
	s_cbranch_execz .LBB6_8689
	s_branch .LBB6_8688
.LBB6_8695:                             ;   in Loop: Header=BB6_4399 Depth=1
	s_or_b64 exec, exec, s[74:75]
	s_xor_b64 s[18:19], s[76:77], -1
	s_and_saveexec_b64 s[74:75], s[18:19]
	s_xor_b64 s[18:19], exec, s[74:75]
	s_cbranch_execz .LBB6_8697
; %bb.8696:                             ;   in Loop: Header=BB6_4399 Depth=1
	v_or_b32_e32 v49, 64, v49
	ds_write_b32 v0, v2
	s_trap 2
.LBB6_8697:                             ;   in Loop: Header=BB6_4399 Depth=1
	s_or_b64 exec, exec, s[18:19]
.LBB6_8698:                             ;   in Loop: Header=BB6_4399 Depth=1
	s_or_b64 exec, exec, s[72:73]
	v_and_b32_e32 v2, 0x100, v49
	v_cmp_ne_u32_e32 vcc, 0, v2
	v_and_b32_e32 v7, 7, v54
	s_mov_b64 s[18:19], -1
	;;#ASMSTART
	s_wakeup
	;;#ASMEND
                                        ; implicit-def: $vgpr2_vgpr3
	s_and_saveexec_b64 s[72:73], vcc
	s_cbranch_execz .LBB6_8702
; %bb.8699:                             ;   in Loop: Header=BB6_4399 Depth=1
	v_mad_u64_u32 v[4:5], s[18:19], v7, 24, v[52:53]
	flat_load_dword v2, v[4:5]
	s_waitcnt vmcnt(0) lgkmcnt(0)
	v_cmp_ne_u32_e32 vcc, 1, v2
	v_cmp_eq_u32_e64 s[18:19], 1, v2
                                        ; implicit-def: $vgpr2_vgpr3
	s_and_saveexec_b64 s[74:75], s[18:19]
	s_cbranch_execz .LBB6_8701
; %bb.8700:                             ;   in Loop: Header=BB6_4399 Depth=1
	flat_load_dword v2, v[4:5] offset:4 glc
	s_waitcnt vmcnt(0) lgkmcnt(0)
	v_ashrrev_i32_e32 v3, 31, v2
.LBB6_8701:                             ;   in Loop: Header=BB6_4399 Depth=1
	s_or_b64 exec, exec, s[74:75]
	s_orn2_b64 s[18:19], vcc, exec
.LBB6_8702:                             ;   in Loop: Header=BB6_4399 Depth=1
	s_or_b64 exec, exec, s[72:73]
	s_and_saveexec_b64 s[72:73], s[18:19]
	s_cbranch_execz .LBB6_8704
; %bb.8703:                             ;   in Loop: Header=BB6_4399 Depth=1
	buffer_load_dword v2, off, s[0:3], s33 offset:292 ; 4-byte Folded Reload
	s_waitcnt vmcnt(0)
	v_mad_i64_i32 v[2:3], s[18:19], v7, v2, 0
.LBB6_8704:                             ;   in Loop: Header=BB6_4399 Depth=1
	s_or_b64 exec, exec, s[72:73]
	buffer_load_dword v4, off, s[0:3], s33 offset:264 ; 4-byte Folded Reload
	buffer_load_dword v5, off, s[0:3], s33 offset:268 ; 4-byte Folded Reload
	s_waitcnt vmcnt(1)
	v_add_co_u32_e32 v2, vcc, v4, v2
	s_waitcnt vmcnt(0)
	v_addc_co_u32_e32 v3, vcc, v5, v3, vcc
	ds_write_b64 v0, v[2:3] offset:728
	v_and_b32_e32 v2, 0x2000, v49
	v_cmp_ne_u32_e32 vcc, 0, v2
	s_and_saveexec_b64 s[18:19], vcc
	s_cbranch_execz .LBB6_8706
; %bb.8705:                             ;   in Loop: Header=BB6_4399 Depth=1
	ds_read_b64 v[2:3], v0 offset:872
	s_waitcnt lgkmcnt(0)
	v_add_co_u32_e32 v2, vcc, 1, v2
	v_addc_co_u32_e32 v3, vcc, 0, v3, vcc
	ds_write_b64 v0, v[2:3] offset:872
.LBB6_8706:                             ;   in Loop: Header=BB6_4399 Depth=1
	s_or_b64 exec, exec, s[18:19]
	v_mov_b32_e32 v55, v1
	v_mov_b32_e32 v54, v0
.LBB6_8707:                             ;   in Loop: Header=BB6_4399 Depth=1
	s_or_b64 exec, exec, s[22:23]
	s_and_saveexec_b64 s[18:19], s[10:11]
	s_cbranch_execz .LBB6_8726
; %bb.8708:                             ;   in Loop: Header=BB6_4399 Depth=1
	s_and_saveexec_b64 s[22:23], s[42:43]
	s_xor_b64 s[22:23], exec, s[22:23]
	s_cbranch_execz .LBB6_8723
; %bb.8709:                             ;   in Loop: Header=BB6_4399 Depth=1
	s_and_saveexec_b64 s[72:73], s[12:13]
	s_cbranch_execz .LBB6_8722
; %bb.8710:                             ;   in Loop: Header=BB6_4399 Depth=1
	s_mov_b64 s[76:77], exec
	v_mbcnt_lo_u32_b32 v0, s76, 0
	v_mbcnt_hi_u32_b32 v0, s77, v0
	v_cmp_eq_u32_e32 vcc, 0, v0
	s_waitcnt vmcnt(0) lgkmcnt(0)
	buffer_wbinvl1_vol
	s_and_saveexec_b64 s[74:75], vcc
	s_cbranch_execz .LBB6_8712
; %bb.8711:                             ;   in Loop: Header=BB6_4399 Depth=1
	s_bcnt1_i32_b64 s76, s[76:77]
	v_mov_b32_e32 v0, s76
	v_mov_b32_e32 v1, v28
	ds_add_u64 v0, v[0:1]
	s_trap 2
.LBB6_8712:                             ;   in Loop: Header=BB6_4399 Depth=1
	s_or_b64 exec, exec, s[74:75]
	s_trap 2
	ds_read_b64 v[0:1], v0
	s_waitcnt lgkmcnt(0)
	buffer_load_dword v2, off, s[0:3], s33 offset:68 ; 4-byte Folded Reload
	buffer_load_dword v3, off, s[0:3], s33 offset:72 ; 4-byte Folded Reload
	s_waitcnt vmcnt(1)
	v_add_co_u32_e32 v2, vcc, v2, v62
	s_waitcnt vmcnt(0)
	v_addc_co_u32_e32 v3, vcc, 0, v3, vcc
	buffer_store_dword v2, off, s[0:3], s33 offset:68 ; 4-byte Folded Spill
	s_nop 0
	buffer_store_dword v3, off, s[0:3], s33 offset:72 ; 4-byte Folded Spill
	v_cmp_lt_u64_e32 vcc, v[0:1], v[2:3]
	s_and_saveexec_b64 s[74:75], vcc
	s_cbranch_execz .LBB6_8721
; %bb.8713:                             ;   in Loop: Header=BB6_4399 Depth=1
	s_mov_b32 s30, 0
	s_mov_b64 s[76:77], 0
                                        ; implicit-def: $sgpr78_sgpr79
                                        ; implicit-def: $sgpr88_sgpr89
	s_branch .LBB6_8715
.LBB6_8714:                             ;   in Loop: Header=BB6_8715 Depth=2
	s_or_b64 exec, exec, s[92:93]
	s_and_b64 s[90:91], exec, s[94:95]
	s_or_b64 s[76:77], s[90:91], s[76:77]
	s_andn2_b64 s[78:79], s[78:79], exec
	s_and_b64 s[90:91], s[88:89], exec
	s_or_b64 s[78:79], s[78:79], s[90:91]
	s_andn2_b64 exec, exec, s[76:77]
	s_cbranch_execz .LBB6_8719
.LBB6_8715:                             ;   Parent Loop BB6_4399 Depth=1
                                        ; =>  This Inner Loop Header: Depth=2
	s_add_i32 s30, s30, 1
	s_cmpk_lg_i32 s30, 0x2710
	s_cselect_b64 s[90:91], -1, 0
	s_and_b64 vcc, exec, s[90:91]
	s_cbranch_vccz .LBB6_8717
; %bb.8716:                             ;   in Loop: Header=BB6_8715 Depth=2
	s_mov_b64 s[94:95], -1
	s_or_b64 s[88:89], s[88:89], exec
	s_and_saveexec_b64 s[92:93], s[90:91]
	s_cbranch_execz .LBB6_8714
	s_branch .LBB6_8718
.LBB6_8717:                             ;   in Loop: Header=BB6_8715 Depth=2
	s_trap 2
	ds_read_b64 v[0:1], v0
	s_andn2_b64 s[90:91], s[90:91], exec
	s_mov_b32 s30, 0
	s_waitcnt vmcnt(0) lgkmcnt(0)
	flat_load_dword v0, v[0:1] glc
	s_waitcnt vmcnt(0) lgkmcnt(0)
	buffer_wbinvl1_vol
	v_cmp_eq_u32_e32 vcc, 0, v0
	s_and_b64 s[92:93], vcc, exec
	s_or_b64 s[90:91], s[90:91], s[92:93]
	s_mov_b64 s[94:95], -1
	s_or_b64 s[88:89], s[88:89], exec
	s_and_saveexec_b64 s[92:93], s[90:91]
	s_cbranch_execz .LBB6_8714
.LBB6_8718:                             ;   in Loop: Header=BB6_8715 Depth=2
	s_sleep 1
	s_trap 2
	ds_read_b64 v[0:1], v0
	s_waitcnt lgkmcnt(0)
	buffer_load_dword v2, off, s[0:3], s33 offset:68 ; 4-byte Folded Reload
	buffer_load_dword v3, off, s[0:3], s33 offset:72 ; 4-byte Folded Reload
	s_andn2_b64 s[88:89], s[88:89], exec
	s_waitcnt vmcnt(0)
	v_cmp_ge_u64_e32 vcc, v[0:1], v[2:3]
	s_orn2_b64 s[94:95], vcc, exec
	s_branch .LBB6_8714
.LBB6_8719:                             ;   in Loop: Header=BB6_4399 Depth=1
	s_or_b64 exec, exec, s[76:77]
	s_and_saveexec_b64 s[76:77], s[78:79]
	s_xor_b64 s[76:77], exec, s[76:77]
	s_cbranch_execz .LBB6_8721
; %bb.8720:                             ;   in Loop: Header=BB6_4399 Depth=1
	v_mov_b32_e32 v0, 1
	ds_write_b32 v0, v0
	s_trap 2
.LBB6_8721:                             ;   in Loop: Header=BB6_4399 Depth=1
	s_or_b64 exec, exec, s[74:75]
	;;#ASMSTART
	s_wakeup
	;;#ASMEND
.LBB6_8722:                             ;   in Loop: Header=BB6_4399 Depth=1
	s_or_b64 exec, exec, s[72:73]
.LBB6_8723:                             ;   in Loop: Header=BB6_4399 Depth=1
	s_andn2_saveexec_b64 s[22:23], s[22:23]
	s_cbranch_execz .LBB6_8725
; %bb.8724:                             ;   in Loop: Header=BB6_4399 Depth=1
	s_waitcnt vmcnt(0) lgkmcnt(0)
	buffer_wbinvl1_vol
	s_barrier
.LBB6_8725:                             ;   in Loop: Header=BB6_4399 Depth=1
	s_or_b64 exec, exec, s[22:23]
.LBB6_8726:                             ;   in Loop: Header=BB6_4399 Depth=1
	s_or_b64 exec, exec, s[18:19]
	s_trap 2
	ds_read_b32 v0, v0
	v_sub_u32_e32 v1, v46, v6
	v_min_i32_e32 v1, v47, v1
	v_cmp_lt_i32_e32 vcc, 0, v1
	s_waitcnt lgkmcnt(0)
	v_readfirstlane_b32 s18, v0
	s_cmp_eq_u32 s18, 0
	s_cselect_b64 s[18:19], -1, 0
	v_and_b32_e32 v0, 16, v49
	s_and_b64 s[18:19], vcc, s[18:19]
	v_cmp_ne_u32_e32 vcc, 0, v0
	s_and_b64 s[22:23], vcc, s[18:19]
	s_and_saveexec_b64 s[18:19], s[22:23]
	s_cbranch_execz .LBB6_8728
; %bb.8727:                             ;   in Loop: Header=BB6_4399 Depth=1
	s_waitcnt vmcnt(0)
	buffer_wbinvl1_vol
.LBB6_8728:                             ;   in Loop: Header=BB6_4399 Depth=1
	s_or_b64 exec, exec, s[18:19]
	v_and_b32_e32 v0, 32, v49
	v_cmp_ne_u32_e32 vcc, 0, v0
	s_and_saveexec_b64 s[18:19], vcc
	s_cbranch_execz .LBB6_4397
; %bb.8729:                             ;   in Loop: Header=BB6_4399 Depth=1
	v_add_co_u32_e32 v54, vcc, 1, v54
	v_addc_co_u32_e32 v55, vcc, 0, v55, vcc
	flat_store_dwordx2 v[57:58], v[54:55]
	s_branch .LBB6_4397
.LBB6_8730:
	s_or_b64 exec, exec, s[44:45]
	buffer_load_dword v27, off, s[0:3], s33 offset:404 ; 4-byte Folded Reload
	buffer_load_dword v31, off, s[0:3], s33 offset:408 ; 4-byte Folded Reload
.LBB6_8731:
	s_or_b64 exec, exec, s[40:41]
.LBB6_8732:
	s_or_b64 exec, exec, s[24:25]
                                        ; implicit-def: $vgpr0
                                        ; kill: killed $vgpr0
                                        ; implicit-def: $vgpr28_vgpr29
                                        ; implicit-def: $vgpr50_vgpr51
                                        ; implicit-def: $vgpr40_vgpr41
                                        ; implicit-def: $vgpr57_vgpr58
                                        ; implicit-def: $vgpr48
                                        ; implicit-def: $vgpr9
                                        ; implicit-def: $vgpr0_vgpr1
                                        ; kill: killed $vgpr0_vgpr1
                                        ; implicit-def: $vgpr0_vgpr1
                                        ; kill: killed $vgpr0_vgpr1
                                        ; implicit-def: $vgpr0
	buffer_store_dword v0, off, s[0:3], s33 offset:248 ; 4-byte Folded Spill
	s_nop 0
	buffer_store_dword v1, off, s[0:3], s33 offset:252 ; 4-byte Folded Spill
.LBB6_8733:
	s_andn2_saveexec_b64 s[22:23], s[28:29]
	s_cbranch_execz .LBB6_8907
; %bb.8734:
	v_mov_b32_e32 v0, 0
	v_cmp_ne_u64_e32 vcc, 0, v[50:51]
	v_mov_b32_e32 v1, 0
	buffer_store_dword v0, off, s[0:3], s33 offset:68 ; 4-byte Folded Spill
	s_nop 0
	buffer_store_dword v1, off, s[0:3], s33 offset:72 ; 4-byte Folded Spill
	s_and_saveexec_b64 s[24:25], vcc
	s_cbranch_execz .LBB6_8906
; %bb.8735:
	s_trap 2
	buffer_load_dword v0, off, s[0:3], s33 offset:364 ; 4-byte Folded Reload
	v_mov_b32_e32 v4, 0
	v_mov_b32_e32 v5, 0
	s_ashr_i32 s6, s48, 31
	s_lshr_b32 s6, s6, 24
	s_add_i32 s48, s48, s6
	s_waitcnt vmcnt(0)
	v_cmp_eq_u32_e32 vcc, 64, v27
	v_lshrrev_b32_e32 v13, 6, v27
	v_cmp_ne_u64_e64 s[18:19], 0, v[40:41]
	s_ashr_i32 s94, s48, 8
	v_cmp_ge_i32_e64 s[6:7], v48, v27
	v_cmp_ne_u32_e64 s[10:11], 64, v27
	v_mov_b32_e32 v1, 0
	v_lshlrev_b32_e32 v18, 13, v13
	v_lshlrev_b32_e32 v19, 10, v13
	v_lshlrev_b32_e32 v20, 11, v13
	v_and_b32_e32 v21, 0x3fc0, v27
	s_mov_b64 s[40:41], 0
	v_mov_b32_e32 v22, 1
	s_xor_b64 s[42:43], vcc, -1
	s_movk_i32 s95, 0x1000
	s_mov_b32 s30, 0x3ffffc00
	v_cmp_ne_u32_sdwa s[28:29], v27, v0 src0_sel:DWORD src1_sel:WORD_0
	v_and_b32_e32 v0, 63, v31
	v_cmp_eq_u32_e64 s[12:13], 0, v0
	v_ashrrev_i32_e32 v0, 31, v48
	v_lshrrev_b32_e32 v0, 26, v0
	v_add_u32_e32 v0, v48, v0
	v_and_b32_e32 v2, 0xffffffc0, v0
	v_sub_u32_e32 v2, v48, v2
	buffer_store_dword v2, off, s[0:3], s33 offset:76 ; 4-byte Folded Spill
	buffer_store_dword v4, off, s[0:3], s33 offset:68 ; 4-byte Folded Spill
	s_nop 0
	buffer_store_dword v5, off, s[0:3], s33 offset:72 ; 4-byte Folded Spill
	v_mov_b32_e32 v4, v50
	v_mov_b32_e32 v5, v51
	buffer_store_dword v48, off, s[0:3], s33 offset:344 ; 4-byte Folded Spill
	buffer_store_dword v4, off, s[0:3], s33 offset:348 ; 4-byte Folded Spill
	s_nop 0
	buffer_store_dword v5, off, s[0:3], s33 offset:352 ; 4-byte Folded Spill
	buffer_store_dword v6, off, s[0:3], s33 offset:356 ; 4-byte Folded Spill
	;; [unrolled: 1-line block ×4, first 2 shown]
	s_nop 0
	buffer_store_dword v29, off, s[0:3], s33 offset:308 ; 4-byte Folded Spill
	buffer_store_dword v57, off, s[0:3], s33 offset:296 ; 4-byte Folded Spill
	s_nop 0
	buffer_store_dword v58, off, s[0:3], s33 offset:300 ; 4-byte Folded Spill
	buffer_load_dword v6, off, s[0:3], s33 offset:248 ; 4-byte Folded Reload
	buffer_load_dword v7, off, s[0:3], s33 offset:252 ; 4-byte Folded Reload
	v_ashrrev_i32_e32 v15, 6, v0
	v_lshlrev_b32_e32 v0, 13, v15
	v_cmp_gt_i32_e64 s[14:15], 1, v2
	v_cmp_lt_i32_e64 s[16:17], v2, v9
	v_lshl_add_u32 v16, v2, 4, v0
	v_mov_b32_e32 v2, 0
	v_ashrrev_i32_e32 v17, 31, v16
	v_mov_b32_e32 v3, 0
	buffer_store_dword v40, off, s[0:3], s33 offset:368 ; 4-byte Folded Spill
	s_nop 0
	buffer_store_dword v41, off, s[0:3], s33 offset:372 ; 4-byte Folded Spill
	s_branch .LBB6_8739
.LBB6_8736:                             ;   in Loop: Header=BB6_8739 Depth=1
	s_or_b64 exec, exec, s[44:45]
	s_waitcnt vmcnt(0)
	v_add_co_u32_e32 v54, vcc, 1, v54
	v_addc_co_u32_e32 v55, vcc, 0, v55, vcc
	flat_store_dwordx2 v[57:58], v[54:55]
.LBB6_8737:                             ;   in Loop: Header=BB6_8739 Depth=1
	s_or_b64 exec, exec, s[20:21]
.LBB6_8738:                             ;   in Loop: Header=BB6_8739 Depth=1
	s_or_b64 exec, exec, s[46:47]
	buffer_load_dword v6, off, s[0:3], s33 offset:248 ; 4-byte Folded Reload
	buffer_load_dword v7, off, s[0:3], s33 offset:252 ; 4-byte Folded Reload
	s_waitcnt vmcnt(0)
	v_add_co_u32_e32 v2, vcc, v2, v6
	v_addc_co_u32_e32 v3, vcc, 0, v3, vcc
	v_cmp_ge_u64_e32 vcc, v[2:3], v[50:51]
	s_or_b64 s[40:41], vcc, s[40:41]
	s_andn2_b64 exec, exec, s[40:41]
	s_cbranch_execz .LBB6_8905
.LBB6_8739:                             ; =>This Loop Header: Depth=1
                                        ;     Child Loop BB6_8748 Depth 2
                                        ;     Child Loop BB6_8772 Depth 2
	;; [unrolled: 1-line block ×10, first 2 shown]
	v_sub_co_u32_e32 v4, vcc, v50, v2
	v_subb_co_u32_e32 v5, vcc, v51, v3, vcc
	s_waitcnt vmcnt(0)
	v_cmp_lt_u64_e32 vcc, v[6:7], v[4:5]
	v_cndmask_b32_e64 v5, v5, 0, vcc
	v_cndmask_b32_e32 v4, v4, v6, vcc
	v_cmp_eq_u64_e32 vcc, 0, v[4:5]
	v_add_u32_e32 v0, 15, v4
	v_and_b32_e32 v0, 0x7ffffff0, v0
	s_or_b64 s[44:45], s[6:7], vcc
	v_max_i32_e32 v0, s94, v0
	s_xor_b64 s[20:21], s[44:45], -1
	v_mov_b32_e32 v5, 0
	s_and_saveexec_b64 s[46:47], s[20:21]
	s_cbranch_execz .LBB6_8858
; %bb.8740:                             ;   in Loop: Header=BB6_8739 Depth=1
	s_and_saveexec_b64 s[20:21], s[4:5]
	s_cbranch_execz .LBB6_8742
; %bb.8741:                             ;   in Loop: Header=BB6_8739 Depth=1
	s_trap 2
	ds_read_b64 v[5:6], v0
	s_waitcnt lgkmcnt(0)
	v_add_co_u32_e32 v5, vcc, v5, v28
	v_addc_co_u32_e32 v6, vcc, v6, v29, vcc
	v_add_co_u32_e32 v5, vcc, v5, v2
	v_addc_co_u32_e32 v6, vcc, v6, v3, vcc
	ds_write_b64 v0, v[5:6]
	v_mov_b32_e32 v5, v1
	v_mov_b32_e32 v6, v1
	ds_write_b64 v0, v[5:6]
.LBB6_8742:                             ;   in Loop: Header=BB6_8739 Depth=1
	s_or_b64 exec, exec, s[20:21]
	v_and_b32_e32 v5, 8, v49
	v_min_u32_e32 v0, v0, v4
	v_cmp_ne_u32_e32 vcc, 0, v5
	s_and_saveexec_b64 s[56:57], vcc
	s_cbranch_execz .LBB6_8764
; %bb.8743:                             ;   in Loop: Header=BB6_8739 Depth=1
	buffer_load_dword v5, off, s[0:3], s33 offset:60 ; 4-byte Folded Reload
	buffer_load_dword v6, off, s[0:3], s33 offset:64 ; 4-byte Folded Reload
	s_waitcnt vmcnt(0)
	v_add_co_u32_e32 v7, vcc, 8, v5
	v_addc_co_u32_e32 v8, vcc, 0, v6, vcc
	s_waitcnt lgkmcnt(0)
	v_add_co_u32_e32 v5, vcc, 1, v54
	v_addc_co_u32_e32 v6, vcc, 0, v55, vcc
	v_cmp_lt_u64_e32 vcc, v[7:8], v[5:6]
	s_and_saveexec_b64 s[58:59], vcc
	s_cbranch_execz .LBB6_8755
; %bb.8744:                             ;   in Loop: Header=BB6_8739 Depth=1
	v_and_b32_e32 v7, 64, v49
	s_mov_b32 s31, 0
	v_cmp_eq_u32_e32 vcc, 0, v7
	s_mov_b64 s[60:61], 0
                                        ; implicit-def: $sgpr62_sgpr63
                                        ; implicit-def: $sgpr72_sgpr73
                                        ; implicit-def: $sgpr74_sgpr75
	s_branch .LBB6_8748
.LBB6_8745:                             ;   in Loop: Header=BB6_8748 Depth=2
	buffer_load_dword v8, off, s[0:3], s33 offset:60 ; 4-byte Folded Reload
	buffer_load_dword v9, off, s[0:3], s33 offset:64 ; 4-byte Folded Reload
	s_or_b64 s[88:89], s[88:89], exec
	s_waitcnt vmcnt(1)
	v_add_co_u32_e64 v8, s[20:21], 8, v8
	s_waitcnt vmcnt(0)
	v_addc_co_u32_e64 v9, s[20:21], 0, v9, s[20:21]
	v_cmp_ge_u64_e64 s[20:21], v[8:9], v[5:6]
	s_orn2_b64 s[78:79], s[20:21], exec
.LBB6_8746:                             ;   in Loop: Header=BB6_8748 Depth=2
	s_or_b64 exec, exec, s[92:93]
	s_andn2_b64 s[20:21], s[74:75], exec
	s_and_b64 s[74:75], s[88:89], exec
	s_or_b64 s[74:75], s[20:21], s[74:75]
	s_andn2_b64 s[20:21], s[72:73], exec
	s_and_b64 s[72:73], s[78:79], exec
	s_or_b64 s[72:73], s[20:21], s[72:73]
.LBB6_8747:                             ;   in Loop: Header=BB6_8748 Depth=2
	s_or_b64 exec, exec, s[76:77]
	s_and_b64 s[20:21], exec, s[72:73]
	s_or_b64 s[60:61], s[20:21], s[60:61]
	s_andn2_b64 s[20:21], s[62:63], exec
	s_and_b64 s[62:63], s[74:75], exec
	s_or_b64 s[62:63], s[20:21], s[62:63]
	s_andn2_b64 exec, exec, s[60:61]
	s_cbranch_execz .LBB6_8752
.LBB6_8748:                             ;   Parent Loop BB6_8739 Depth=1
                                        ; =>  This Inner Loop Header: Depth=2
	s_sleep 1
	flat_load_dwordx2 v[7:8], v[57:58] glc
	s_or_b64 s[74:75], s[74:75], exec
	s_or_b64 s[72:73], s[72:73], exec
	s_waitcnt vmcnt(0) lgkmcnt(0)
	buffer_store_dword v7, off, s[0:3], s33 offset:60 ; 4-byte Folded Spill
	s_nop 0
	buffer_store_dword v8, off, s[0:3], s33 offset:64 ; 4-byte Folded Spill
                                        ; implicit-def: $vgpr7
	s_and_saveexec_b64 s[76:77], vcc
	s_cbranch_execz .LBB6_8747
; %bb.8749:                             ;   in Loop: Header=BB6_8748 Depth=2
	s_cmpk_lt_i32 s31, 0x270f
	s_cselect_b64 s[90:91], -1, 0
	s_cmpk_gt_i32 s31, 0x270e
	s_mov_b64 s[78:79], -1
	s_cbranch_scc0 .LBB6_8751
; %bb.8750:                             ;   in Loop: Header=BB6_8748 Depth=2
	s_trap 2
	ds_read_b64 v[7:8], v0
	s_andn2_b64 s[90:91], s[90:91], exec
	s_mov_b32 s31, 0
	s_mov_b64 s[88:89], 0
	s_waitcnt vmcnt(0) lgkmcnt(0)
	flat_load_dword v7, v[7:8] glc
	s_waitcnt vmcnt(0) lgkmcnt(0)
	buffer_wbinvl1_vol
	v_cmp_eq_u32_e64 s[20:21], 0, v7
	s_and_b64 s[20:21], s[20:21], exec
	s_or_b64 s[90:91], s[90:91], s[20:21]
	s_and_saveexec_b64 s[92:93], s[90:91]
	s_cbranch_execz .LBB6_8746
	s_branch .LBB6_8745
.LBB6_8751:                             ;   in Loop: Header=BB6_8748 Depth=2
	s_add_i32 s31, s31, 1
	s_mov_b64 s[88:89], -1
                                        ; implicit-def: $vgpr7
	s_and_saveexec_b64 s[92:93], s[90:91]
	s_cbranch_execz .LBB6_8746
	s_branch .LBB6_8745
.LBB6_8752:                             ;   in Loop: Header=BB6_8739 Depth=1
	s_or_b64 exec, exec, s[60:61]
	s_xor_b64 s[20:21], s[62:63], -1
	s_and_saveexec_b64 s[60:61], s[20:21]
	s_xor_b64 s[20:21], exec, s[60:61]
	s_cbranch_execz .LBB6_8754
; %bb.8753:                             ;   in Loop: Header=BB6_8739 Depth=1
	v_or_b32_e32 v49, 64, v49
	ds_write_b32 v0, v7
	s_trap 2
.LBB6_8754:                             ;   in Loop: Header=BB6_8739 Depth=1
	s_or_b64 exec, exec, s[20:21]
.LBB6_8755:                             ;   in Loop: Header=BB6_8739 Depth=1
	s_or_b64 exec, exec, s[58:59]
	v_and_b32_e32 v7, 0x100, v49
	v_cmp_ne_u32_e32 vcc, 0, v7
	v_and_b32_e32 v11, 7, v54
	s_mov_b64 s[20:21], -1
	;;#ASMSTART
	s_wakeup
	;;#ASMEND
                                        ; implicit-def: $vgpr7_vgpr8
	s_and_saveexec_b64 s[58:59], vcc
	s_cbranch_execz .LBB6_8759
; %bb.8756:                             ;   in Loop: Header=BB6_8739 Depth=1
	v_mad_u64_u32 v[9:10], s[20:21], v11, 24, v[52:53]
	flat_load_dword v7, v[9:10]
	s_nop 0
	flat_store_dwordx2 v[9:10], v[0:1] offset:8
	s_waitcnt vmcnt(0) lgkmcnt(0)
	v_cmp_ne_u32_e32 vcc, 1, v7
	v_cmp_eq_u32_e64 s[20:21], 1, v7
                                        ; implicit-def: $vgpr7_vgpr8
	s_and_saveexec_b64 s[60:61], s[20:21]
	s_cbranch_execz .LBB6_8758
; %bb.8757:                             ;   in Loop: Header=BB6_8739 Depth=1
	flat_load_dword v7, v[9:10] offset:4 glc
	s_waitcnt vmcnt(0) lgkmcnt(0)
	v_ashrrev_i32_e32 v8, 31, v7
.LBB6_8758:                             ;   in Loop: Header=BB6_8739 Depth=1
	s_or_b64 exec, exec, s[60:61]
	s_orn2_b64 s[20:21], vcc, exec
.LBB6_8759:                             ;   in Loop: Header=BB6_8739 Depth=1
	s_or_b64 exec, exec, s[58:59]
	s_and_saveexec_b64 s[58:59], s[20:21]
	s_cbranch_execz .LBB6_8761
; %bb.8760:                             ;   in Loop: Header=BB6_8739 Depth=1
	buffer_load_dword v7, off, s[0:3], s33 offset:292 ; 4-byte Folded Reload
	s_waitcnt vmcnt(0)
	v_mad_i64_i32 v[7:8], s[20:21], v11, v7, 0
.LBB6_8761:                             ;   in Loop: Header=BB6_8739 Depth=1
	s_or_b64 exec, exec, s[58:59]
	buffer_load_dword v9, off, s[0:3], s33 offset:264 ; 4-byte Folded Reload
	buffer_load_dword v10, off, s[0:3], s33 offset:268 ; 4-byte Folded Reload
	s_waitcnt vmcnt(1)
	v_add_co_u32_e32 v7, vcc, v9, v7
	s_waitcnt vmcnt(0)
	v_addc_co_u32_e32 v8, vcc, v10, v8, vcc
	ds_write_b64 v0, v[7:8] offset:784
	v_and_b32_e32 v7, 0x2000, v49
	v_cmp_ne_u32_e32 vcc, 0, v7
	s_and_saveexec_b64 s[20:21], vcc
	s_cbranch_execz .LBB6_8763
; %bb.8762:                             ;   in Loop: Header=BB6_8739 Depth=1
	ds_read_b64 v[7:8], v0 offset:872
	s_waitcnt lgkmcnt(0)
	v_add_co_u32_e32 v7, vcc, 1, v7
	v_addc_co_u32_e32 v8, vcc, 0, v8, vcc
	ds_write_b64 v0, v[7:8] offset:872
.LBB6_8763:                             ;   in Loop: Header=BB6_8739 Depth=1
	s_or_b64 exec, exec, s[20:21]
	v_mov_b32_e32 v55, v6
	v_mov_b32_e32 v54, v5
.LBB6_8764:                             ;   in Loop: Header=BB6_8739 Depth=1
	s_or_b64 exec, exec, s[56:57]
	s_and_saveexec_b64 s[20:21], s[10:11]
	s_cbranch_execz .LBB6_8783
; %bb.8765:                             ;   in Loop: Header=BB6_8739 Depth=1
	s_and_saveexec_b64 s[56:57], s[28:29]
	s_xor_b64 s[56:57], exec, s[56:57]
	s_cbranch_execz .LBB6_8780
; %bb.8766:                             ;   in Loop: Header=BB6_8739 Depth=1
	s_and_saveexec_b64 s[58:59], s[12:13]
	s_cbranch_execz .LBB6_8779
; %bb.8767:                             ;   in Loop: Header=BB6_8739 Depth=1
	s_mov_b64 s[62:63], exec
	v_mbcnt_lo_u32_b32 v5, s62, 0
	v_mbcnt_hi_u32_b32 v5, s63, v5
	v_cmp_eq_u32_e32 vcc, 0, v5
	s_waitcnt lgkmcnt(0)
	buffer_wbinvl1_vol
	s_and_saveexec_b64 s[60:61], vcc
	s_cbranch_execz .LBB6_8769
; %bb.8768:                             ;   in Loop: Header=BB6_8739 Depth=1
	s_bcnt1_i32_b64 s62, s[62:63]
	v_mov_b32_e32 v5, s62
	v_mov_b32_e32 v6, v1
	ds_add_u64 v0, v[5:6]
	s_trap 2
.LBB6_8769:                             ;   in Loop: Header=BB6_8739 Depth=1
	s_or_b64 exec, exec, s[60:61]
	s_trap 2
	ds_read_b64 v[5:6], v0
	s_waitcnt lgkmcnt(0)
	buffer_load_dword v7, off, s[0:3], s33 offset:68 ; 4-byte Folded Reload
	buffer_load_dword v8, off, s[0:3], s33 offset:72 ; 4-byte Folded Reload
	s_waitcnt vmcnt(1)
	v_add_co_u32_e32 v7, vcc, v7, v13
	s_waitcnt vmcnt(0)
	v_addc_co_u32_e32 v8, vcc, 0, v8, vcc
	buffer_store_dword v7, off, s[0:3], s33 offset:68 ; 4-byte Folded Spill
	s_nop 0
	buffer_store_dword v8, off, s[0:3], s33 offset:72 ; 4-byte Folded Spill
	v_cmp_lt_u64_e32 vcc, v[5:6], v[7:8]
	s_and_saveexec_b64 s[60:61], vcc
	s_cbranch_execz .LBB6_8778
; %bb.8770:                             ;   in Loop: Header=BB6_8739 Depth=1
	s_mov_b32 s90, 0
	s_mov_b64 s[62:63], 0
                                        ; implicit-def: $sgpr72_sgpr73
                                        ; implicit-def: $sgpr74_sgpr75
	s_branch .LBB6_8772
.LBB6_8771:                             ;   in Loop: Header=BB6_8772 Depth=2
	s_or_b64 exec, exec, s[78:79]
	s_and_b64 s[76:77], exec, s[88:89]
	s_or_b64 s[62:63], s[76:77], s[62:63]
	s_andn2_b64 s[72:73], s[72:73], exec
	s_and_b64 s[76:77], s[74:75], exec
	s_or_b64 s[72:73], s[72:73], s[76:77]
	s_andn2_b64 exec, exec, s[62:63]
	s_cbranch_execz .LBB6_8776
.LBB6_8772:                             ;   Parent Loop BB6_8739 Depth=1
                                        ; =>  This Inner Loop Header: Depth=2
	s_add_i32 s90, s90, 1
	s_cmpk_lg_i32 s90, 0x2710
	s_cselect_b64 s[76:77], -1, 0
	s_and_b64 vcc, exec, s[76:77]
	s_cbranch_vccz .LBB6_8774
; %bb.8773:                             ;   in Loop: Header=BB6_8772 Depth=2
	s_mov_b64 s[88:89], -1
	s_or_b64 s[74:75], s[74:75], exec
	s_and_saveexec_b64 s[78:79], s[76:77]
	s_cbranch_execz .LBB6_8771
	s_branch .LBB6_8775
.LBB6_8774:                             ;   in Loop: Header=BB6_8772 Depth=2
	s_trap 2
	ds_read_b64 v[5:6], v0
	s_andn2_b64 s[76:77], s[76:77], exec
	s_mov_b32 s90, 0
	s_waitcnt vmcnt(0) lgkmcnt(0)
	flat_load_dword v5, v[5:6] glc
	s_waitcnt vmcnt(0) lgkmcnt(0)
	buffer_wbinvl1_vol
	v_cmp_eq_u32_e32 vcc, 0, v5
	s_and_b64 s[78:79], vcc, exec
	s_or_b64 s[76:77], s[76:77], s[78:79]
	s_mov_b64 s[88:89], -1
	s_or_b64 s[74:75], s[74:75], exec
	s_and_saveexec_b64 s[78:79], s[76:77]
	s_cbranch_execz .LBB6_8771
.LBB6_8775:                             ;   in Loop: Header=BB6_8772 Depth=2
	s_sleep 1
	s_trap 2
	ds_read_b64 v[5:6], v0
	s_waitcnt lgkmcnt(0)
	buffer_load_dword v7, off, s[0:3], s33 offset:68 ; 4-byte Folded Reload
	buffer_load_dword v8, off, s[0:3], s33 offset:72 ; 4-byte Folded Reload
	s_andn2_b64 s[74:75], s[74:75], exec
	s_waitcnt vmcnt(0)
	v_cmp_ge_u64_e32 vcc, v[5:6], v[7:8]
	s_orn2_b64 s[88:89], vcc, exec
	s_branch .LBB6_8771
.LBB6_8776:                             ;   in Loop: Header=BB6_8739 Depth=1
	s_or_b64 exec, exec, s[62:63]
	s_and_saveexec_b64 s[62:63], s[72:73]
	s_xor_b64 s[62:63], exec, s[62:63]
	s_cbranch_execz .LBB6_8778
; %bb.8777:                             ;   in Loop: Header=BB6_8739 Depth=1
	ds_write_b32 v0, v22
	s_trap 2
.LBB6_8778:                             ;   in Loop: Header=BB6_8739 Depth=1
	s_or_b64 exec, exec, s[60:61]
	;;#ASMSTART
	s_wakeup
	;;#ASMEND
.LBB6_8779:                             ;   in Loop: Header=BB6_8739 Depth=1
	s_or_b64 exec, exec, s[58:59]
.LBB6_8780:                             ;   in Loop: Header=BB6_8739 Depth=1
	s_andn2_saveexec_b64 s[56:57], s[56:57]
	s_cbranch_execz .LBB6_8782
; %bb.8781:                             ;   in Loop: Header=BB6_8739 Depth=1
	s_waitcnt vmcnt(0) lgkmcnt(0)
	buffer_wbinvl1_vol
	s_barrier
.LBB6_8782:                             ;   in Loop: Header=BB6_8739 Depth=1
	s_or_b64 exec, exec, s[56:57]
.LBB6_8783:                             ;   in Loop: Header=BB6_8739 Depth=1
	s_or_b64 exec, exec, s[20:21]
	s_trap 2
	ds_read_b32 v9, v0
	v_and_b32_e32 v5, 0x4000, v49
	v_cmp_ne_u32_e32 vcc, 0, v5
	s_and_b64 s[56:57], s[42:43], vcc
	s_and_saveexec_b64 s[20:21], s[56:57]
	s_cbranch_execz .LBB6_8802
; %bb.8784:                             ;   in Loop: Header=BB6_8739 Depth=1
	s_and_saveexec_b64 s[56:57], s[28:29]
	s_xor_b64 s[56:57], exec, s[56:57]
	s_cbranch_execz .LBB6_8799
; %bb.8785:                             ;   in Loop: Header=BB6_8739 Depth=1
	s_and_saveexec_b64 s[58:59], s[12:13]
	s_cbranch_execz .LBB6_8798
; %bb.8786:                             ;   in Loop: Header=BB6_8739 Depth=1
	s_mov_b64 s[62:63], exec
	v_mbcnt_lo_u32_b32 v5, s62, 0
	v_mbcnt_hi_u32_b32 v5, s63, v5
	v_cmp_eq_u32_e32 vcc, 0, v5
	s_waitcnt vmcnt(0) lgkmcnt(0)
	buffer_wbinvl1_vol
	s_and_saveexec_b64 s[60:61], vcc
	s_cbranch_execz .LBB6_8788
; %bb.8787:                             ;   in Loop: Header=BB6_8739 Depth=1
	s_bcnt1_i32_b64 s62, s[62:63]
	v_mov_b32_e32 v5, s62
	v_mov_b32_e32 v6, v1
	ds_add_u64 v0, v[5:6]
	s_trap 2
.LBB6_8788:                             ;   in Loop: Header=BB6_8739 Depth=1
	s_or_b64 exec, exec, s[60:61]
	s_trap 2
	ds_read_b64 v[5:6], v0
	s_waitcnt lgkmcnt(0)
	buffer_load_dword v7, off, s[0:3], s33 offset:68 ; 4-byte Folded Reload
	buffer_load_dword v8, off, s[0:3], s33 offset:72 ; 4-byte Folded Reload
	s_waitcnt vmcnt(1)
	v_add_co_u32_e32 v7, vcc, v7, v13
	s_waitcnt vmcnt(0)
	v_addc_co_u32_e32 v8, vcc, 0, v8, vcc
	buffer_store_dword v7, off, s[0:3], s33 offset:68 ; 4-byte Folded Spill
	s_nop 0
	buffer_store_dword v8, off, s[0:3], s33 offset:72 ; 4-byte Folded Spill
	v_cmp_lt_u64_e32 vcc, v[5:6], v[7:8]
	s_and_saveexec_b64 s[60:61], vcc
	s_cbranch_execz .LBB6_8797
; %bb.8789:                             ;   in Loop: Header=BB6_8739 Depth=1
	s_mov_b32 s90, 0
	s_mov_b64 s[62:63], 0
                                        ; implicit-def: $sgpr72_sgpr73
                                        ; implicit-def: $sgpr74_sgpr75
	s_branch .LBB6_8791
.LBB6_8790:                             ;   in Loop: Header=BB6_8791 Depth=2
	s_or_b64 exec, exec, s[78:79]
	s_and_b64 s[76:77], exec, s[88:89]
	s_or_b64 s[62:63], s[76:77], s[62:63]
	s_andn2_b64 s[72:73], s[72:73], exec
	s_and_b64 s[76:77], s[74:75], exec
	s_or_b64 s[72:73], s[72:73], s[76:77]
	s_andn2_b64 exec, exec, s[62:63]
	s_cbranch_execz .LBB6_8795
.LBB6_8791:                             ;   Parent Loop BB6_8739 Depth=1
                                        ; =>  This Inner Loop Header: Depth=2
	s_add_i32 s90, s90, 1
	s_cmpk_lg_i32 s90, 0x2710
	s_cselect_b64 s[76:77], -1, 0
	s_and_b64 vcc, exec, s[76:77]
	s_cbranch_vccz .LBB6_8793
; %bb.8792:                             ;   in Loop: Header=BB6_8791 Depth=2
	s_mov_b64 s[88:89], -1
	s_or_b64 s[74:75], s[74:75], exec
	s_and_saveexec_b64 s[78:79], s[76:77]
	s_cbranch_execz .LBB6_8790
	s_branch .LBB6_8794
.LBB6_8793:                             ;   in Loop: Header=BB6_8791 Depth=2
	s_trap 2
	ds_read_b64 v[5:6], v0
	s_andn2_b64 s[76:77], s[76:77], exec
	s_mov_b32 s90, 0
	s_waitcnt vmcnt(0) lgkmcnt(0)
	flat_load_dword v5, v[5:6] glc
	s_waitcnt vmcnt(0) lgkmcnt(0)
	buffer_wbinvl1_vol
	v_cmp_eq_u32_e32 vcc, 0, v5
	s_and_b64 s[78:79], vcc, exec
	s_or_b64 s[76:77], s[76:77], s[78:79]
	s_mov_b64 s[88:89], -1
	s_or_b64 s[74:75], s[74:75], exec
	s_and_saveexec_b64 s[78:79], s[76:77]
	s_cbranch_execz .LBB6_8790
.LBB6_8794:                             ;   in Loop: Header=BB6_8791 Depth=2
	s_sleep 1
	s_trap 2
	ds_read_b64 v[5:6], v0
	s_waitcnt lgkmcnt(0)
	buffer_load_dword v7, off, s[0:3], s33 offset:68 ; 4-byte Folded Reload
	buffer_load_dword v8, off, s[0:3], s33 offset:72 ; 4-byte Folded Reload
	s_andn2_b64 s[74:75], s[74:75], exec
	s_waitcnt vmcnt(0)
	v_cmp_ge_u64_e32 vcc, v[5:6], v[7:8]
	s_orn2_b64 s[88:89], vcc, exec
	s_branch .LBB6_8790
.LBB6_8795:                             ;   in Loop: Header=BB6_8739 Depth=1
	s_or_b64 exec, exec, s[62:63]
	s_and_saveexec_b64 s[62:63], s[72:73]
	s_xor_b64 s[62:63], exec, s[62:63]
	s_cbranch_execz .LBB6_8797
; %bb.8796:                             ;   in Loop: Header=BB6_8739 Depth=1
	ds_write_b32 v0, v22
	s_trap 2
.LBB6_8797:                             ;   in Loop: Header=BB6_8739 Depth=1
	s_or_b64 exec, exec, s[60:61]
	;;#ASMSTART
	s_wakeup
	;;#ASMEND
.LBB6_8798:                             ;   in Loop: Header=BB6_8739 Depth=1
	s_or_b64 exec, exec, s[58:59]
.LBB6_8799:                             ;   in Loop: Header=BB6_8739 Depth=1
	s_andn2_saveexec_b64 s[56:57], s[56:57]
	s_cbranch_execz .LBB6_8801
; %bb.8800:                             ;   in Loop: Header=BB6_8739 Depth=1
	s_waitcnt vmcnt(0) lgkmcnt(0)
	buffer_wbinvl1_vol
	s_barrier
.LBB6_8801:                             ;   in Loop: Header=BB6_8739 Depth=1
	s_or_b64 exec, exec, s[56:57]
.LBB6_8802:                             ;   in Loop: Header=BB6_8739 Depth=1
	s_or_b64 exec, exec, s[20:21]
	s_trap 2
	ds_read_b64 v[5:6], v0
	s_waitcnt lgkmcnt(0)
	v_cmp_eq_u64_e32 vcc, 0, v[5:6]
	s_cbranch_vccnz .LBB6_8810
; %bb.8803:                             ;   in Loop: Header=BB6_8739 Depth=1
	s_trap 2
	ds_read_b64 v[7:8], v0
	s_waitcnt lgkmcnt(0)
	v_cmp_eq_u64_e32 vcc, 0, v[7:8]
	s_cbranch_vccnz .LBB6_8810
; %bb.8804:                             ;   in Loop: Header=BB6_8739 Depth=1
	s_mov_b64 s[20:21], -1
	s_and_saveexec_b64 s[56:57], s[14:15]
	s_cbranch_execz .LBB6_8806
; %bb.8805:                             ;   in Loop: Header=BB6_8739 Depth=1
	ds_read_b32 v10, v0 offset:720
	s_waitcnt lgkmcnt(0)
	v_and_b32_e32 v10, 15, v10
	v_cmp_eq_u32_e32 vcc, 0, v10
	s_orn2_b64 s[20:21], vcc, exec
.LBB6_8806:                             ;   in Loop: Header=BB6_8739 Depth=1
	s_or_b64 exec, exec, s[56:57]
	s_and_saveexec_b64 s[56:57], s[16:17]
	s_cbranch_execz .LBB6_8808
; %bb.8807:                             ;   in Loop: Header=BB6_8739 Depth=1
	ds_read_b32 v10, v0 offset:784
	s_waitcnt lgkmcnt(0)
	v_and_b32_e32 v10, 15, v10
	v_cmp_eq_u32_e32 vcc, 0, v10
	s_and_b64 s[58:59], s[20:21], vcc
	s_andn2_b64 s[20:21], s[20:21], exec
	s_and_b64 s[58:59], s[58:59], exec
	s_or_b64 s[20:21], s[20:21], s[58:59]
.LBB6_8808:                             ;   in Loop: Header=BB6_8739 Depth=1
	s_or_b64 exec, exec, s[56:57]
	v_cmp_eq_u32_e32 vcc, 0, v9
	s_xor_b64 s[20:21], s[20:21], -1
	v_cndmask_b32_e32 v23, 0, v0, vcc
	v_cndmask_b32_e64 v9, 0, 1, s[20:21]
	s_mov_b64 s[58:59], -1
	v_cmp_ne_u32_e32 vcc, 0, v9
	v_mov_b32_e32 v9, 0
	v_mov_b32_e32 v10, v23
	v_mov_b32_e32 v11, v48
	v_mov_b32_e32 v25, v15
	s_cbranch_vccz .LBB6_8811
; %bb.8809:                             ;   in Loop: Header=BB6_8739 Depth=1
	s_and_saveexec_b64 s[20:21], s[58:59]
	s_cbranch_execnz .LBB6_8824
	s_branch .LBB6_8832
.LBB6_8810:                             ;   in Loop: Header=BB6_8739 Depth=1
	s_mov_b64 s[20:21], 0
	s_and_saveexec_b64 s[56:57], s[10:11]
	s_cbranch_execnz .LBB6_8833
	s_branch .LBB6_8851
.LBB6_8811:                             ;   in Loop: Header=BB6_8739 Depth=1
	v_lshrrev_b32_e32 v9, 13, v23
	v_sub_u32_e32 v24, v9, v15
	v_cmp_lt_i32_e32 vcc, 0, v24
	s_and_saveexec_b64 s[56:57], vcc
	s_cbranch_execz .LBB6_8815
; %bb.8812:                             ;   in Loop: Header=BB6_8739 Depth=1
	v_mov_b32_e32 v10, v8
	v_mov_b32_e32 v12, v6
	v_mov_b32_e32 v14, v49
	v_mov_b32_e32 v62, v31
	v_mov_b32_e32 v47, v27
	s_mov_b64 s[58:59], 0
	v_mov_b32_e32 v9, v7
	v_mov_b32_e32 v11, v5
	buffer_store_dword v52, off, s[0:3], s33 offset:320 ; 4-byte Folded Spill
	s_nop 0
	buffer_store_dword v53, off, s[0:3], s33 offset:324 ; 4-byte Folded Spill
	buffer_store_dword v54, off, s[0:3], s33 offset:328 ; 4-byte Folded Spill
	;; [unrolled: 1-line block ×3, first 2 shown]
.LBB6_8813:                             ;   Parent Loop BB6_8739 Depth=1
                                        ; =>  This Inner Loop Header: Depth=2
	v_add_co_u32_e32 v37, vcc, v16, v11
	v_addc_co_u32_e32 v38, vcc, v17, v12, vcc
	v_add_co_u32_e32 v45, vcc, s95, v37
	v_addc_co_u32_e32 v46, vcc, 0, v38, vcc
	global_load_dwordx4 v[25:28], v[37:38], off glc slc
	global_load_dwordx4 v[29:32], v[37:38], off offset:1024 glc slc
	global_load_dwordx4 v[33:36], v[37:38], off offset:2048 glc slc
	;; [unrolled: 1-line block ×3, first 2 shown]
	global_load_dwordx4 v[52:55], v[45:46], off glc slc
	s_nop 0
	global_load_dwordx4 v[37:40], v[45:46], off offset:1024 glc slc
	global_load_dwordx4 v[41:44], v[45:46], off offset:2048 glc slc
	;; [unrolled: 1-line block ×3, first 2 shown]
	v_add_co_u32_e32 v45, vcc, v16, v9
	v_addc_co_u32_e32 v46, vcc, v17, v10, vcc
	v_add_co_u32_e32 v11, vcc, v11, v18
	v_addc_co_u32_e32 v12, vcc, 0, v12, vcc
	v_sub_u32_e32 v24, v24, v13
	v_add_co_u32_e32 v9, vcc, v9, v18
	v_addc_co_u32_e32 v10, vcc, 0, v10, vcc
	v_cmp_gt_i32_e64 s[20:21], 1, v24
	v_add_co_u32_e32 v60, vcc, s95, v45
	s_or_b64 s[58:59], s[20:21], s[58:59]
	v_addc_co_u32_e32 v61, vcc, 0, v46, vcc
	s_waitcnt vmcnt(7)
	global_store_dwordx4 v[45:46], v[25:28], off glc slc
	s_waitcnt vmcnt(7)
	global_store_dwordx4 v[45:46], v[29:32], off offset:1024 glc slc
	s_waitcnt vmcnt(7)
	global_store_dwordx4 v[45:46], v[33:36], off offset:2048 glc slc
	;; [unrolled: 2-line block ×3, first 2 shown]
	s_waitcnt vmcnt(7)
	global_store_dwordx4 v[60:61], v[52:55], off glc slc
	s_waitcnt vmcnt(7)
	global_store_dwordx4 v[60:61], v[37:40], off offset:1024 glc slc
	s_waitcnt vmcnt(7)
	global_store_dwordx4 v[60:61], v[41:44], off offset:2048 glc slc
	s_waitcnt vmcnt(7)
	global_store_dwordx4 v[60:61], v[56:59], off offset:3072 glc slc
	s_andn2_b64 exec, exec, s[58:59]
	s_cbranch_execnz .LBB6_8813
; %bb.8814:                             ;   in Loop: Header=BB6_8739 Depth=1
	s_or_b64 exec, exec, s[58:59]
	buffer_load_dword v48, off, s[0:3], s33 offset:344 ; 4-byte Folded Reload
	buffer_load_dword v50, off, s[0:3], s33 offset:348 ; 4-byte Folded Reload
	;; [unrolled: 1-line block ×15, first 2 shown]
	v_mov_b32_e32 v27, v47
	v_mov_b32_e32 v31, v62
	;; [unrolled: 1-line block ×3, first 2 shown]
.LBB6_8815:                             ;   in Loop: Header=BB6_8739 Depth=1
	s_or_b64 exec, exec, s[56:57]
	v_and_b32_e32 v26, 0x3fffe000, v23
	v_cmp_ne_u32_e32 vcc, v23, v26
	s_mov_b64 s[58:59], 0
	v_mov_b32_e32 v9, 0
                                        ; implicit-def: $vgpr10
                                        ; implicit-def: $vgpr11
                                        ; implicit-def: $vgpr25
	s_and_saveexec_b64 s[56:57], vcc
	s_cbranch_execz .LBB6_8823
; %bb.8816:                             ;   in Loop: Header=BB6_8739 Depth=1
	buffer_load_dword v11, off, s[0:3], s33 offset:76 ; 4-byte Folded Reload
	v_lshlrev_b32_e32 v10, 6, v24
	v_and_b32_e32 v9, 0x1fff, v23
	v_bfe_u32 v25, v23, 10, 3
	s_waitcnt vmcnt(0)
	v_sub_u32_e32 v10, v11, v10
	v_ashrrev_i32_e32 v11, 31, v10
	v_lshrrev_b32_e32 v11, 26, v11
	v_add_u32_e32 v11, v10, v11
	v_ashrrev_i32_e32 v24, 6, v11
	v_and_b32_e32 v11, 0xffffffc0, v11
	v_sub_u32_e32 v12, v10, v11
	v_lshlrev_b32_e32 v10, 4, v12
	v_lshl_add_u32 v11, v24, 10, v10
	v_sub_u32_e32 v10, v9, v11
	v_and_b32_e32 v9, 0x3ff, v23
	v_cmp_lt_u32_e32 vcc, 15, v9
	v_addc_co_u32_e64 v25, s[20:21], 0, v25, vcc
	v_sub_u32_e32 v24, v25, v24
	v_cmp_lt_i32_e64 s[20:21], 15, v10
	s_and_saveexec_b64 s[58:59], s[20:21]
	s_cbranch_execz .LBB6_8820
; %bb.8817:                             ;   in Loop: Header=BB6_8739 Depth=1
	v_add_u32_e32 v11, v11, v26
	v_mov_b32_e32 v33, v31
	v_mov_b32_e32 v32, v27
	v_ashrrev_i32_e32 v25, 31, v11
	s_mov_b64 s[60:61], 0
.LBB6_8818:                             ;   Parent Loop BB6_8739 Depth=1
                                        ; =>  This Inner Loop Header: Depth=2
	v_add_co_u32_e64 v26, s[20:21], v5, v11
	v_addc_co_u32_e64 v27, s[20:21], v6, v25, s[20:21]
	global_load_dwordx4 v[26:29], v[26:27], off glc slc
	v_add_co_u32_e64 v30, s[20:21], v7, v11
	v_addc_co_u32_e64 v31, s[20:21], v8, v25, s[20:21]
	v_add_co_u32_e64 v11, s[20:21], v11, v19
	v_sub_u32_e32 v10, v10, v19
	v_addc_co_u32_e64 v25, s[20:21], 0, v25, s[20:21]
	v_cmp_gt_i32_e64 s[20:21], 16, v10
	v_sub_u32_e32 v24, v24, v13
	s_or_b64 s[60:61], s[20:21], s[60:61]
	s_waitcnt vmcnt(0)
	global_store_dwordx4 v[30:31], v[26:29], off glc slc
	s_andn2_b64 exec, exec, s[60:61]
	s_cbranch_execnz .LBB6_8818
; %bb.8819:                             ;   in Loop: Header=BB6_8739 Depth=1
	s_or_b64 exec, exec, s[60:61]
	buffer_load_dword v28, off, s[0:3], s33 offset:304 ; 4-byte Folded Reload
	buffer_load_dword v29, off, s[0:3], s33 offset:308 ; 4-byte Folded Reload
	v_mov_b32_e32 v27, v32
	v_mov_b32_e32 v31, v33
.LBB6_8820:                             ;   in Loop: Header=BB6_8739 Depth=1
	s_or_b64 exec, exec, s[58:59]
	v_and_b32_e32 v10, 15, v23
	v_cndmask_b32_e32 v10, v9, v10, vcc
	v_mov_b32_e32 v9, 0
	v_cmp_ne_u32_e64 s[20:21], 0, v10
	s_mov_b64 s[58:59], 0
                                        ; implicit-def: $vgpr11
                                        ; implicit-def: $vgpr25
	s_and_saveexec_b64 s[60:61], s[20:21]
	s_cbranch_execz .LBB6_8822
; %bb.8821:                             ;   in Loop: Header=BB6_8739 Depth=1
	v_and_b32_e32 v9, 0x3f0, v23
	v_cndmask_b32_e32 v9, 0, v9, vcc
	v_cmp_lt_i32_e32 vcc, 0, v24
	v_cndmask_b32_e32 v11, 0, v13, vcc
	v_sub_u32_e32 v11, v11, v24
	v_lshl_add_u32 v11, v11, 6, v12
	v_ashrrev_i32_e32 v12, 31, v11
	v_lshrrev_b32_e32 v12, 26, v12
	v_add_u32_e32 v12, v11, v12
	s_mov_b64 s[58:59], exec
	v_and_or_b32 v9, v23, s30, v9
	v_ashrrev_i32_e32 v25, 6, v12
.LBB6_8822:                             ;   in Loop: Header=BB6_8739 Depth=1
	s_or_b64 exec, exec, s[60:61]
	s_and_b64 s[58:59], s[58:59], exec
.LBB6_8823:                             ;   in Loop: Header=BB6_8739 Depth=1
	s_or_b64 exec, exec, s[56:57]
	s_and_saveexec_b64 s[20:21], s[58:59]
	s_cbranch_execz .LBB6_8832
.LBB6_8824:                             ;   in Loop: Header=BB6_8739 Depth=1
	v_lshrrev_b32_e32 v12, 11, v10
	v_sub_u32_e32 v12, v12, v25
	v_ashrrev_i32_e32 v24, 31, v11
	v_cmp_lt_i32_e32 vcc, 0, v12
	v_lshrrev_b32_e32 v24, 26, v24
	s_and_saveexec_b64 s[56:57], vcc
	s_cbranch_execz .LBB6_8828
; %bb.8825:                             ;   in Loop: Header=BB6_8739 Depth=1
	v_add_u32_e32 v26, v11, v24
	v_and_b32_e32 v26, 0xffffffc0, v26
	v_sub_u32_e32 v26, v11, v26
	v_lshlrev_b32_e32 v25, 11, v25
	v_add3_u32 v25, v9, v26, v25
	v_mov_b32_e32 v14, v49
	v_mov_b32_e32 v62, v31
	;; [unrolled: 1-line block ×3, first 2 shown]
	v_ashrrev_i32_e32 v26, 31, v25
	s_mov_b64 s[58:59], 0
	s_waitcnt vmcnt(7)
	buffer_store_dword v52, off, s[0:3], s33 offset:320 ; 4-byte Folded Spill
	s_waitcnt vmcnt(7)
	buffer_store_dword v53, off, s[0:3], s33 offset:324 ; 4-byte Folded Spill
	;; [unrolled: 2-line block ×4, first 2 shown]
.LBB6_8826:                             ;   Parent Loop BB6_8739 Depth=1
                                        ; =>  This Inner Loop Header: Depth=2
	v_add_co_u32_e32 v27, vcc, v25, v5
	s_waitcnt vmcnt(0)
	v_addc_co_u32_e32 v28, vcc, v26, v6, vcc
	s_waitcnt vmcnt(4)
	flat_load_ubyte v29, v[27:28] glc slc
	flat_load_ubyte v30, v[27:28] offset:64 glc slc
	flat_load_ubyte v31, v[27:28] offset:128 glc slc
	;; [unrolled: 1-line block ×31, first 2 shown]
	v_add_co_u32_e32 v27, vcc, v25, v7
	v_addc_co_u32_e32 v28, vcc, v26, v8, vcc
	v_add_co_u32_e32 v5, vcc, v5, v20
	v_addc_co_u32_e32 v6, vcc, 0, v6, vcc
	v_add_co_u32_e32 v7, vcc, v7, v20
	v_sub_u32_e32 v12, v12, v13
	v_addc_co_u32_e32 v8, vcc, 0, v8, vcc
	v_cmp_gt_i32_e32 vcc, 1, v12
	s_or_b64 s[58:59], vcc, s[58:59]
	s_waitcnt vmcnt(0) lgkmcnt(0)
	flat_store_byte v[27:28], v29 glc slc
	flat_store_byte v[27:28], v30 offset:64 glc slc
	flat_store_byte v[27:28], v31 offset:128 glc slc
	;; [unrolled: 1-line block ×31, first 2 shown]
	s_andn2_b64 exec, exec, s[58:59]
	s_cbranch_execnz .LBB6_8826
; %bb.8827:                             ;   in Loop: Header=BB6_8739 Depth=1
	s_or_b64 exec, exec, s[58:59]
	buffer_load_dword v48, off, s[0:3], s33 offset:344 ; 4-byte Folded Reload
	buffer_load_dword v50, off, s[0:3], s33 offset:348 ; 4-byte Folded Reload
	;; [unrolled: 1-line block ×15, first 2 shown]
	v_mov_b32_e32 v27, v61
	v_mov_b32_e32 v31, v62
	;; [unrolled: 1-line block ×3, first 2 shown]
.LBB6_8828:                             ;   in Loop: Header=BB6_8739 Depth=1
	s_or_b64 exec, exec, s[56:57]
	v_and_b32_e32 v8, 0xfffff800, v10
	v_cmp_ne_u32_e32 vcc, v10, v8
	s_and_b64 exec, exec, vcc
	s_cbranch_execz .LBB6_8832
; %bb.8829:                             ;   in Loop: Header=BB6_8739 Depth=1
	v_add_u32_e32 v5, v11, v24
	v_and_b32_e32 v5, 0xffffffc0, v5
	v_sub_u32_e32 v5, v11, v5
	v_lshlrev_b32_e32 v6, 6, v12
	v_sub_u32_e32 v11, v5, v6
	v_and_b32_e32 v5, 0x7ff, v10
	v_sub_u32_e32 v7, v5, v11
	v_cmp_lt_i32_e32 vcc, 0, v7
	s_and_b64 exec, exec, vcc
	s_cbranch_execz .LBB6_8832
; %bb.8830:                             ;   in Loop: Header=BB6_8739 Depth=1
	s_trap 2
	ds_read_b64 v[5:6], v0
	v_add3_u32 v8, v8, v9, v11
	v_ashrrev_i32_e32 v9, 31, v8
	s_mov_b64 s[56:57], 0
.LBB6_8831:                             ;   Parent Loop BB6_8739 Depth=1
                                        ; =>  This Inner Loop Header: Depth=2
	s_waitcnt lgkmcnt(0)
	v_add_co_u32_e32 v10, vcc, v5, v8
	v_addc_co_u32_e32 v11, vcc, v6, v9, vcc
	flat_load_ubyte v12, v[10:11] glc slc
	v_add_co_u32_e32 v8, vcc, v8, v21
	v_sub_u32_e32 v7, v7, v21
	v_addc_co_u32_e32 v9, vcc, 0, v9, vcc
	v_cmp_gt_i32_e32 vcc, 1, v7
	s_or_b64 s[56:57], vcc, s[56:57]
	s_waitcnt vmcnt(0) lgkmcnt(0)
	flat_store_byte v[10:11], v12 glc slc
	s_andn2_b64 exec, exec, s[56:57]
	s_cbranch_execnz .LBB6_8831
.LBB6_8832:                             ;   in Loop: Header=BB6_8739 Depth=1
	s_or_b64 exec, exec, s[20:21]
	v_cmp_ne_u32_e64 s[20:21], 0, v23
	s_and_saveexec_b64 s[56:57], s[10:11]
	s_cbranch_execz .LBB6_8851
.LBB6_8833:                             ;   in Loop: Header=BB6_8739 Depth=1
	s_and_saveexec_b64 s[58:59], s[28:29]
	s_xor_b64 s[58:59], exec, s[58:59]
	s_cbranch_execz .LBB6_8848
; %bb.8834:                             ;   in Loop: Header=BB6_8739 Depth=1
	s_and_saveexec_b64 s[60:61], s[12:13]
	s_cbranch_execz .LBB6_8847
; %bb.8835:                             ;   in Loop: Header=BB6_8739 Depth=1
	s_mov_b64 s[72:73], exec
	v_mbcnt_lo_u32_b32 v5, s72, 0
	v_mbcnt_hi_u32_b32 v5, s73, v5
	v_cmp_eq_u32_e32 vcc, 0, v5
	s_waitcnt vmcnt(0) lgkmcnt(0)
	buffer_wbinvl1_vol
	s_and_saveexec_b64 s[62:63], vcc
	s_cbranch_execz .LBB6_8837
; %bb.8836:                             ;   in Loop: Header=BB6_8739 Depth=1
	s_bcnt1_i32_b64 s72, s[72:73]
	v_mov_b32_e32 v5, s72
	v_mov_b32_e32 v6, v1
	ds_add_u64 v0, v[5:6]
	s_trap 2
.LBB6_8837:                             ;   in Loop: Header=BB6_8739 Depth=1
	s_or_b64 exec, exec, s[62:63]
	s_trap 2
	ds_read_b64 v[5:6], v0
	s_waitcnt lgkmcnt(0)
	buffer_load_dword v7, off, s[0:3], s33 offset:68 ; 4-byte Folded Reload
	buffer_load_dword v8, off, s[0:3], s33 offset:72 ; 4-byte Folded Reload
	s_waitcnt vmcnt(1)
	v_add_co_u32_e32 v7, vcc, v7, v13
	s_waitcnt vmcnt(0)
	v_addc_co_u32_e32 v8, vcc, 0, v8, vcc
	buffer_store_dword v7, off, s[0:3], s33 offset:68 ; 4-byte Folded Spill
	s_nop 0
	buffer_store_dword v8, off, s[0:3], s33 offset:72 ; 4-byte Folded Spill
	v_cmp_lt_u64_e32 vcc, v[5:6], v[7:8]
	s_and_saveexec_b64 s[62:63], vcc
	s_cbranch_execz .LBB6_8846
; %bb.8838:                             ;   in Loop: Header=BB6_8739 Depth=1
	s_mov_b32 s92, 0
	s_mov_b64 s[72:73], 0
                                        ; implicit-def: $sgpr74_sgpr75
                                        ; implicit-def: $sgpr76_sgpr77
	s_branch .LBB6_8840
.LBB6_8839:                             ;   in Loop: Header=BB6_8840 Depth=2
	s_or_b64 exec, exec, s[88:89]
	s_and_b64 s[78:79], exec, s[90:91]
	s_or_b64 s[72:73], s[78:79], s[72:73]
	s_andn2_b64 s[74:75], s[74:75], exec
	s_and_b64 s[78:79], s[76:77], exec
	s_or_b64 s[74:75], s[74:75], s[78:79]
	s_andn2_b64 exec, exec, s[72:73]
	s_cbranch_execz .LBB6_8844
.LBB6_8840:                             ;   Parent Loop BB6_8739 Depth=1
                                        ; =>  This Inner Loop Header: Depth=2
	s_add_i32 s92, s92, 1
	s_cmpk_lg_i32 s92, 0x2710
	s_cselect_b64 s[78:79], -1, 0
	s_and_b64 vcc, exec, s[78:79]
	s_cbranch_vccz .LBB6_8842
; %bb.8841:                             ;   in Loop: Header=BB6_8840 Depth=2
	s_mov_b64 s[90:91], -1
	s_or_b64 s[76:77], s[76:77], exec
	s_and_saveexec_b64 s[88:89], s[78:79]
	s_cbranch_execz .LBB6_8839
	s_branch .LBB6_8843
.LBB6_8842:                             ;   in Loop: Header=BB6_8840 Depth=2
	s_trap 2
	ds_read_b64 v[5:6], v0
	s_andn2_b64 s[78:79], s[78:79], exec
	s_mov_b32 s92, 0
	s_waitcnt vmcnt(0) lgkmcnt(0)
	flat_load_dword v5, v[5:6] glc
	s_waitcnt vmcnt(0) lgkmcnt(0)
	buffer_wbinvl1_vol
	v_cmp_eq_u32_e32 vcc, 0, v5
	s_and_b64 s[88:89], vcc, exec
	s_or_b64 s[78:79], s[78:79], s[88:89]
	s_mov_b64 s[90:91], -1
	s_or_b64 s[76:77], s[76:77], exec
	s_and_saveexec_b64 s[88:89], s[78:79]
	s_cbranch_execz .LBB6_8839
.LBB6_8843:                             ;   in Loop: Header=BB6_8840 Depth=2
	s_sleep 1
	s_trap 2
	ds_read_b64 v[5:6], v0
	s_waitcnt lgkmcnt(0)
	buffer_load_dword v7, off, s[0:3], s33 offset:68 ; 4-byte Folded Reload
	buffer_load_dword v8, off, s[0:3], s33 offset:72 ; 4-byte Folded Reload
	s_andn2_b64 s[76:77], s[76:77], exec
	s_waitcnt vmcnt(0)
	v_cmp_ge_u64_e32 vcc, v[5:6], v[7:8]
	s_orn2_b64 s[90:91], vcc, exec
	s_branch .LBB6_8839
.LBB6_8844:                             ;   in Loop: Header=BB6_8739 Depth=1
	s_or_b64 exec, exec, s[72:73]
	s_and_saveexec_b64 s[72:73], s[74:75]
	s_xor_b64 s[72:73], exec, s[72:73]
	s_cbranch_execz .LBB6_8846
; %bb.8845:                             ;   in Loop: Header=BB6_8739 Depth=1
	ds_write_b32 v0, v22
	s_trap 2
.LBB6_8846:                             ;   in Loop: Header=BB6_8739 Depth=1
	s_or_b64 exec, exec, s[62:63]
	;;#ASMSTART
	s_wakeup
	;;#ASMEND
.LBB6_8847:                             ;   in Loop: Header=BB6_8739 Depth=1
	s_or_b64 exec, exec, s[60:61]
.LBB6_8848:                             ;   in Loop: Header=BB6_8739 Depth=1
	s_andn2_saveexec_b64 s[58:59], s[58:59]
	s_cbranch_execz .LBB6_8850
; %bb.8849:                             ;   in Loop: Header=BB6_8739 Depth=1
	s_waitcnt vmcnt(0) lgkmcnt(0)
	buffer_wbinvl1_vol
	s_barrier
.LBB6_8850:                             ;   in Loop: Header=BB6_8739 Depth=1
	s_or_b64 exec, exec, s[58:59]
.LBB6_8851:                             ;   in Loop: Header=BB6_8739 Depth=1
	s_or_b64 exec, exec, s[56:57]
	v_and_b32_e32 v5, 16, v49
	v_cmp_ne_u32_e32 vcc, 0, v5
	s_and_b64 s[56:57], vcc, s[20:21]
	s_and_saveexec_b64 s[20:21], s[56:57]
	s_cbranch_execz .LBB6_8853
; %bb.8852:                             ;   in Loop: Header=BB6_8739 Depth=1
	s_waitcnt vmcnt(0) lgkmcnt(0)
	buffer_wbinvl1_vol
.LBB6_8853:                             ;   in Loop: Header=BB6_8739 Depth=1
	s_or_b64 exec, exec, s[20:21]
	v_cmp_ne_u32_e32 vcc, 0, v5
	s_and_saveexec_b64 s[20:21], vcc
	s_cbranch_execz .LBB6_8857
; %bb.8854:                             ;   in Loop: Header=BB6_8739 Depth=1
	s_and_saveexec_b64 s[56:57], s[18:19]
	s_cbranch_execz .LBB6_8856
; %bb.8855:                             ;   in Loop: Header=BB6_8739 Depth=1
	s_waitcnt vmcnt(0)
	flat_store_dword v[40:41], v22
.LBB6_8856:                             ;   in Loop: Header=BB6_8739 Depth=1
	s_or_b64 exec, exec, s[56:57]
	s_waitcnt vmcnt(0)
	v_add_co_u32_e32 v54, vcc, 1, v54
	v_addc_co_u32_e32 v55, vcc, 0, v55, vcc
	flat_store_dwordx2 v[57:58], v[54:55]
.LBB6_8857:                             ;   in Loop: Header=BB6_8739 Depth=1
	s_or_b64 exec, exec, s[20:21]
	v_mov_b32_e32 v5, v0
.LBB6_8858:                             ;   in Loop: Header=BB6_8739 Depth=1
	s_or_b64 exec, exec, s[46:47]
	s_and_saveexec_b64 s[46:47], s[44:45]
	s_cbranch_execz .LBB6_8738
; %bb.8859:                             ;   in Loop: Header=BB6_8739 Depth=1
	v_sub_u32_e32 v4, v4, v5
	v_min_i32_e32 v4, v0, v4
	v_and_b32_e32 v0, 8, v49
	v_cmp_ne_u32_e32 vcc, 0, v0
	s_and_saveexec_b64 s[44:45], vcc
	s_cbranch_execz .LBB6_8881
; %bb.8860:                             ;   in Loop: Header=BB6_8739 Depth=1
	buffer_load_dword v5, off, s[0:3], s33 offset:60 ; 4-byte Folded Reload
	buffer_load_dword v6, off, s[0:3], s33 offset:64 ; 4-byte Folded Reload
	s_waitcnt vmcnt(0)
	v_add_co_u32_e32 v8, vcc, 8, v5
	v_addc_co_u32_e32 v9, vcc, 0, v6, vcc
	s_waitcnt lgkmcnt(0)
	v_add_co_u32_e32 v6, vcc, 1, v54
	v_addc_co_u32_e32 v7, vcc, 0, v55, vcc
	v_cmp_lt_u64_e32 vcc, v[8:9], v[6:7]
	s_and_saveexec_b64 s[56:57], vcc
	s_cbranch_execz .LBB6_8872
; %bb.8861:                             ;   in Loop: Header=BB6_8739 Depth=1
	v_and_b32_e32 v0, 64, v49
	s_mov_b32 s92, 0
	v_cmp_eq_u32_e32 vcc, 0, v0
	s_mov_b64 s[58:59], 0
                                        ; implicit-def: $sgpr60_sgpr61
                                        ; implicit-def: $sgpr62_sgpr63
                                        ; implicit-def: $sgpr72_sgpr73
	s_branch .LBB6_8865
.LBB6_8862:                             ;   in Loop: Header=BB6_8865 Depth=2
	buffer_load_dword v8, off, s[0:3], s33 offset:60 ; 4-byte Folded Reload
	buffer_load_dword v9, off, s[0:3], s33 offset:64 ; 4-byte Folded Reload
	s_or_b64 s[78:79], s[78:79], exec
	s_waitcnt vmcnt(1)
	v_add_co_u32_e64 v8, s[20:21], 8, v8
	s_waitcnt vmcnt(0)
	v_addc_co_u32_e64 v9, s[20:21], 0, v9, s[20:21]
	v_cmp_ge_u64_e64 s[20:21], v[8:9], v[6:7]
	s_orn2_b64 s[76:77], s[20:21], exec
.LBB6_8863:                             ;   in Loop: Header=BB6_8865 Depth=2
	s_or_b64 exec, exec, s[90:91]
	s_andn2_b64 s[20:21], s[72:73], exec
	s_and_b64 s[72:73], s[78:79], exec
	s_or_b64 s[72:73], s[20:21], s[72:73]
	s_andn2_b64 s[20:21], s[62:63], exec
	s_and_b64 s[62:63], s[76:77], exec
	s_or_b64 s[62:63], s[20:21], s[62:63]
.LBB6_8864:                             ;   in Loop: Header=BB6_8865 Depth=2
	s_or_b64 exec, exec, s[74:75]
	s_and_b64 s[20:21], exec, s[62:63]
	s_or_b64 s[58:59], s[20:21], s[58:59]
	s_andn2_b64 s[20:21], s[60:61], exec
	s_and_b64 s[60:61], s[72:73], exec
	s_or_b64 s[60:61], s[20:21], s[60:61]
	s_andn2_b64 exec, exec, s[58:59]
	s_cbranch_execz .LBB6_8869
.LBB6_8865:                             ;   Parent Loop BB6_8739 Depth=1
                                        ; =>  This Inner Loop Header: Depth=2
	s_sleep 1
	flat_load_dwordx2 v[8:9], v[57:58] glc
	s_or_b64 s[72:73], s[72:73], exec
	s_or_b64 s[62:63], s[62:63], exec
                                        ; implicit-def: $vgpr0
	s_waitcnt vmcnt(0) lgkmcnt(0)
	buffer_store_dword v8, off, s[0:3], s33 offset:60 ; 4-byte Folded Spill
	s_nop 0
	buffer_store_dword v9, off, s[0:3], s33 offset:64 ; 4-byte Folded Spill
	s_and_saveexec_b64 s[74:75], vcc
	s_cbranch_execz .LBB6_8864
; %bb.8866:                             ;   in Loop: Header=BB6_8865 Depth=2
	s_cmpk_lt_i32 s92, 0x270f
	s_cselect_b64 s[88:89], -1, 0
	s_cmpk_gt_i32 s92, 0x270e
	s_mov_b64 s[76:77], -1
	s_cbranch_scc0 .LBB6_8868
; %bb.8867:                             ;   in Loop: Header=BB6_8865 Depth=2
	s_trap 2
	ds_read_b64 v[8:9], v0
	s_andn2_b64 s[88:89], s[88:89], exec
	s_mov_b32 s92, 0
	s_mov_b64 s[78:79], 0
	s_waitcnt vmcnt(0) lgkmcnt(0)
	flat_load_dword v0, v[8:9] glc
	s_waitcnt vmcnt(0) lgkmcnt(0)
	buffer_wbinvl1_vol
	v_cmp_eq_u32_e64 s[20:21], 0, v0
	s_and_b64 s[20:21], s[20:21], exec
	s_or_b64 s[88:89], s[88:89], s[20:21]
	s_and_saveexec_b64 s[90:91], s[88:89]
	s_cbranch_execz .LBB6_8863
	s_branch .LBB6_8862
.LBB6_8868:                             ;   in Loop: Header=BB6_8865 Depth=2
	s_add_i32 s92, s92, 1
	s_mov_b64 s[78:79], -1
                                        ; implicit-def: $vgpr0
	s_and_saveexec_b64 s[90:91], s[88:89]
	s_cbranch_execz .LBB6_8863
	s_branch .LBB6_8862
.LBB6_8869:                             ;   in Loop: Header=BB6_8739 Depth=1
	s_or_b64 exec, exec, s[58:59]
	s_xor_b64 s[20:21], s[60:61], -1
	s_and_saveexec_b64 s[58:59], s[20:21]
	s_xor_b64 s[20:21], exec, s[58:59]
	s_cbranch_execz .LBB6_8871
; %bb.8870:                             ;   in Loop: Header=BB6_8739 Depth=1
	v_or_b32_e32 v49, 64, v49
	ds_write_b32 v0, v0
	s_trap 2
.LBB6_8871:                             ;   in Loop: Header=BB6_8739 Depth=1
	s_or_b64 exec, exec, s[20:21]
.LBB6_8872:                             ;   in Loop: Header=BB6_8739 Depth=1
	s_or_b64 exec, exec, s[56:57]
	v_and_b32_e32 v0, 0x100, v49
	v_cmp_ne_u32_e32 vcc, 0, v0
	v_and_b32_e32 v0, 7, v54
	s_mov_b64 s[20:21], -1
	;;#ASMSTART
	s_wakeup
	;;#ASMEND
                                        ; implicit-def: $vgpr8_vgpr9
	s_and_saveexec_b64 s[56:57], vcc
	s_cbranch_execz .LBB6_8876
; %bb.8873:                             ;   in Loop: Header=BB6_8739 Depth=1
	v_mad_u64_u32 v[10:11], s[20:21], v0, 24, v[52:53]
	v_ashrrev_i32_e32 v5, 31, v4
	flat_load_dword v8, v[10:11]
	s_nop 0
	flat_store_dwordx2 v[10:11], v[4:5] offset:8
	s_waitcnt vmcnt(0) lgkmcnt(0)
	v_cmp_ne_u32_e32 vcc, 1, v8
	v_cmp_eq_u32_e64 s[20:21], 1, v8
                                        ; implicit-def: $vgpr8_vgpr9
	s_and_saveexec_b64 s[58:59], s[20:21]
	s_cbranch_execz .LBB6_8875
; %bb.8874:                             ;   in Loop: Header=BB6_8739 Depth=1
	flat_load_dword v8, v[10:11] offset:4 glc
	s_waitcnt vmcnt(0) lgkmcnt(0)
	v_ashrrev_i32_e32 v9, 31, v8
.LBB6_8875:                             ;   in Loop: Header=BB6_8739 Depth=1
	s_or_b64 exec, exec, s[58:59]
	s_orn2_b64 s[20:21], vcc, exec
.LBB6_8876:                             ;   in Loop: Header=BB6_8739 Depth=1
	s_or_b64 exec, exec, s[56:57]
	s_and_saveexec_b64 s[56:57], s[20:21]
	s_cbranch_execz .LBB6_8878
; %bb.8877:                             ;   in Loop: Header=BB6_8739 Depth=1
	buffer_load_dword v5, off, s[0:3], s33 offset:292 ; 4-byte Folded Reload
	s_waitcnt vmcnt(0)
	v_mad_i64_i32 v[8:9], s[20:21], v0, v5, 0
.LBB6_8878:                             ;   in Loop: Header=BB6_8739 Depth=1
	s_or_b64 exec, exec, s[56:57]
	buffer_load_dword v10, off, s[0:3], s33 offset:264 ; 4-byte Folded Reload
	buffer_load_dword v11, off, s[0:3], s33 offset:268 ; 4-byte Folded Reload
	s_waitcnt vmcnt(1)
	v_add_co_u32_e32 v8, vcc, v10, v8
	s_waitcnt vmcnt(0)
	v_addc_co_u32_e32 v9, vcc, v11, v9, vcc
	ds_write_b64 v0, v[8:9] offset:784
	v_and_b32_e32 v0, 0x2000, v49
	v_cmp_ne_u32_e32 vcc, 0, v0
	s_and_saveexec_b64 s[20:21], vcc
	s_cbranch_execz .LBB6_8880
; %bb.8879:                             ;   in Loop: Header=BB6_8739 Depth=1
	ds_read_b64 v[8:9], v0 offset:872
	s_waitcnt lgkmcnt(0)
	v_add_co_u32_e32 v8, vcc, 1, v8
	v_addc_co_u32_e32 v9, vcc, 0, v9, vcc
	ds_write_b64 v0, v[8:9] offset:872
.LBB6_8880:                             ;   in Loop: Header=BB6_8739 Depth=1
	s_or_b64 exec, exec, s[20:21]
	v_mov_b32_e32 v55, v7
	v_mov_b32_e32 v54, v6
.LBB6_8881:                             ;   in Loop: Header=BB6_8739 Depth=1
	s_or_b64 exec, exec, s[44:45]
	s_and_saveexec_b64 s[20:21], s[10:11]
	s_cbranch_execz .LBB6_8900
; %bb.8882:                             ;   in Loop: Header=BB6_8739 Depth=1
	s_and_saveexec_b64 s[44:45], s[28:29]
	s_xor_b64 s[44:45], exec, s[44:45]
	s_cbranch_execz .LBB6_8897
; %bb.8883:                             ;   in Loop: Header=BB6_8739 Depth=1
	s_and_saveexec_b64 s[56:57], s[12:13]
	s_cbranch_execz .LBB6_8896
; %bb.8884:                             ;   in Loop: Header=BB6_8739 Depth=1
	s_mov_b64 s[60:61], exec
	v_mbcnt_lo_u32_b32 v0, s60, 0
	v_mbcnt_hi_u32_b32 v0, s61, v0
	v_cmp_eq_u32_e32 vcc, 0, v0
	s_waitcnt vmcnt(0) lgkmcnt(0)
	buffer_wbinvl1_vol
	s_and_saveexec_b64 s[58:59], vcc
	s_cbranch_execz .LBB6_8886
; %bb.8885:                             ;   in Loop: Header=BB6_8739 Depth=1
	s_bcnt1_i32_b64 s60, s[60:61]
	v_mov_b32_e32 v0, s60
	ds_add_u64 v0, v[0:1]
	s_trap 2
.LBB6_8886:                             ;   in Loop: Header=BB6_8739 Depth=1
	s_or_b64 exec, exec, s[58:59]
	s_trap 2
	ds_read_b64 v[5:6], v0
	s_waitcnt lgkmcnt(0)
	buffer_load_dword v7, off, s[0:3], s33 offset:68 ; 4-byte Folded Reload
	buffer_load_dword v8, off, s[0:3], s33 offset:72 ; 4-byte Folded Reload
	s_waitcnt vmcnt(1)
	v_add_co_u32_e32 v7, vcc, v7, v13
	s_waitcnt vmcnt(0)
	v_addc_co_u32_e32 v8, vcc, 0, v8, vcc
	buffer_store_dword v7, off, s[0:3], s33 offset:68 ; 4-byte Folded Spill
	s_nop 0
	buffer_store_dword v8, off, s[0:3], s33 offset:72 ; 4-byte Folded Spill
	v_cmp_lt_u64_e32 vcc, v[5:6], v[7:8]
	s_and_saveexec_b64 s[58:59], vcc
	s_cbranch_execz .LBB6_8895
; %bb.8887:                             ;   in Loop: Header=BB6_8739 Depth=1
	s_mov_b32 s88, 0
	s_mov_b64 s[60:61], 0
                                        ; implicit-def: $sgpr62_sgpr63
                                        ; implicit-def: $sgpr72_sgpr73
	s_branch .LBB6_8889
.LBB6_8888:                             ;   in Loop: Header=BB6_8889 Depth=2
	s_or_b64 exec, exec, s[76:77]
	s_and_b64 s[74:75], exec, s[78:79]
	s_or_b64 s[60:61], s[74:75], s[60:61]
	s_andn2_b64 s[62:63], s[62:63], exec
	s_and_b64 s[74:75], s[72:73], exec
	s_or_b64 s[62:63], s[62:63], s[74:75]
	s_andn2_b64 exec, exec, s[60:61]
	s_cbranch_execz .LBB6_8893
.LBB6_8889:                             ;   Parent Loop BB6_8739 Depth=1
                                        ; =>  This Inner Loop Header: Depth=2
	s_add_i32 s88, s88, 1
	s_cmpk_lg_i32 s88, 0x2710
	s_cselect_b64 s[74:75], -1, 0
	s_and_b64 vcc, exec, s[74:75]
	s_cbranch_vccz .LBB6_8891
; %bb.8890:                             ;   in Loop: Header=BB6_8889 Depth=2
	s_mov_b64 s[78:79], -1
	s_or_b64 s[72:73], s[72:73], exec
	s_and_saveexec_b64 s[76:77], s[74:75]
	s_cbranch_execz .LBB6_8888
	s_branch .LBB6_8892
.LBB6_8891:                             ;   in Loop: Header=BB6_8889 Depth=2
	s_trap 2
	ds_read_b64 v[5:6], v0
	s_andn2_b64 s[74:75], s[74:75], exec
	s_mov_b32 s88, 0
	s_waitcnt vmcnt(0) lgkmcnt(0)
	flat_load_dword v0, v[5:6] glc
	s_waitcnt vmcnt(0) lgkmcnt(0)
	buffer_wbinvl1_vol
	v_cmp_eq_u32_e32 vcc, 0, v0
	s_and_b64 s[76:77], vcc, exec
	s_or_b64 s[74:75], s[74:75], s[76:77]
	s_mov_b64 s[78:79], -1
	s_or_b64 s[72:73], s[72:73], exec
	s_and_saveexec_b64 s[76:77], s[74:75]
	s_cbranch_execz .LBB6_8888
.LBB6_8892:                             ;   in Loop: Header=BB6_8889 Depth=2
	s_sleep 1
	s_trap 2
	ds_read_b64 v[5:6], v0
	s_waitcnt lgkmcnt(0)
	buffer_load_dword v7, off, s[0:3], s33 offset:68 ; 4-byte Folded Reload
	buffer_load_dword v8, off, s[0:3], s33 offset:72 ; 4-byte Folded Reload
	s_andn2_b64 s[72:73], s[72:73], exec
	s_waitcnt vmcnt(0)
	v_cmp_ge_u64_e32 vcc, v[5:6], v[7:8]
	s_orn2_b64 s[78:79], vcc, exec
	s_branch .LBB6_8888
.LBB6_8893:                             ;   in Loop: Header=BB6_8739 Depth=1
	s_or_b64 exec, exec, s[60:61]
	s_and_saveexec_b64 s[60:61], s[62:63]
	s_xor_b64 s[60:61], exec, s[60:61]
	s_cbranch_execz .LBB6_8895
; %bb.8894:                             ;   in Loop: Header=BB6_8739 Depth=1
	ds_write_b32 v0, v22
	s_trap 2
.LBB6_8895:                             ;   in Loop: Header=BB6_8739 Depth=1
	s_or_b64 exec, exec, s[58:59]
	;;#ASMSTART
	s_wakeup
	;;#ASMEND
.LBB6_8896:                             ;   in Loop: Header=BB6_8739 Depth=1
	s_or_b64 exec, exec, s[56:57]
.LBB6_8897:                             ;   in Loop: Header=BB6_8739 Depth=1
	s_andn2_saveexec_b64 s[44:45], s[44:45]
	s_cbranch_execz .LBB6_8899
; %bb.8898:                             ;   in Loop: Header=BB6_8739 Depth=1
	s_waitcnt vmcnt(0) lgkmcnt(0)
	buffer_wbinvl1_vol
	s_barrier
.LBB6_8899:                             ;   in Loop: Header=BB6_8739 Depth=1
	s_or_b64 exec, exec, s[44:45]
.LBB6_8900:                             ;   in Loop: Header=BB6_8739 Depth=1
	s_or_b64 exec, exec, s[20:21]
	s_trap 2
	ds_read_b32 v5, v0
	v_cmp_lt_i32_e32 vcc, 0, v4
	v_and_b32_e32 v0, 16, v49
	s_waitcnt lgkmcnt(0)
	v_readfirstlane_b32 s20, v5
	s_cmp_eq_u32 s20, 0
	s_cselect_b64 s[20:21], -1, 0
	s_and_b64 s[20:21], vcc, s[20:21]
	v_cmp_ne_u32_e32 vcc, 0, v0
	s_and_b64 s[44:45], vcc, s[20:21]
	s_and_saveexec_b64 s[20:21], s[44:45]
	s_cbranch_execz .LBB6_8902
; %bb.8901:                             ;   in Loop: Header=BB6_8739 Depth=1
	s_waitcnt vmcnt(0)
	buffer_wbinvl1_vol
.LBB6_8902:                             ;   in Loop: Header=BB6_8739 Depth=1
	s_or_b64 exec, exec, s[20:21]
	v_cmp_ne_u32_e32 vcc, 0, v0
	s_and_saveexec_b64 s[20:21], vcc
	s_cbranch_execz .LBB6_8737
; %bb.8903:                             ;   in Loop: Header=BB6_8739 Depth=1
	s_and_saveexec_b64 s[44:45], s[18:19]
	s_cbranch_execz .LBB6_8736
; %bb.8904:                             ;   in Loop: Header=BB6_8739 Depth=1
	s_waitcnt vmcnt(0)
	flat_store_dword v[40:41], v22
	s_branch .LBB6_8736
.LBB6_8905:
	s_or_b64 exec, exec, s[40:41]
.LBB6_8906:
	s_or_b64 exec, exec, s[24:25]
.LBB6_8907:
	s_or_b64 exec, exec, s[22:23]
	v_and_b32_e32 v0, 0x800, v49
	v_cmp_eq_u32_e32 vcc, 0, v0
	s_and_saveexec_b64 s[6:7], vcc
	s_cbranch_execz .LBB6_8940
; %bb.8908:
	v_and_b32_e32 v0, 48, v49
	v_cmp_ne_u32_e32 vcc, 0, v0
	s_and_saveexec_b64 s[4:5], vcc
	s_cbranch_execz .LBB6_8910
; %bb.8909:
	buffer_load_dword v0, off, s[0:3], s33 offset:312 ; 4-byte Folded Reload
	buffer_load_dword v1, off, s[0:3], s33 offset:316 ; 4-byte Folded Reload
	s_waitcnt vmcnt(0) lgkmcnt(0)
	flat_store_dwordx2 v[0:1], v[54:55] offset:104
.LBB6_8910:
	s_or_b64 exec, exec, s[4:5]
	s_movk_i32 s4, 0x88
	v_and_b32_e32 v0, 0x88, v49
	v_cmp_eq_u32_e32 vcc, s4, v0
	s_and_saveexec_b64 s[10:11], vcc
	s_cbranch_execz .LBB6_8920
; %bb.8911:
	s_waitcnt vmcnt(0) lgkmcnt(0)
	v_add_u32_e32 v0, -1, v54
	v_and_b32_e32 v0, 7, v0
	v_mad_u64_u32 v[0:1], s[4:5], v0, 24, v[52:53]
	v_and_b32_e32 v4, 64, v49
	v_cmp_eq_u32_e64 s[4:5], 0, v4
	flat_load_dwordx2 v[2:3], v[0:1] offset:8 glc
	s_waitcnt vmcnt(0)
	s_mov_b32 s22, 0
	s_waitcnt lgkmcnt(0)
	v_cmp_ne_u64_e32 vcc, -1, v[2:3]
	s_and_b64 s[4:5], vcc, s[4:5]
	s_and_b64 exec, exec, s[4:5]
	s_cbranch_execz .LBB6_8920
; %bb.8912:
	s_mov_b64 s[4:5], 0
                                        ; implicit-def: $sgpr12_sgpr13
                                        ; implicit-def: $sgpr14_sgpr15
	s_branch .LBB6_8915
.LBB6_8913:                             ;   in Loop: Header=BB6_8915 Depth=1
	flat_load_dwordx2 v[3:4], v[0:1] offset:8 glc
	s_waitcnt vmcnt(0)
	s_andn2_b64 s[14:15], s[14:15], exec
	s_waitcnt lgkmcnt(0)
	v_cmp_eq_u64_e32 vcc, -1, v[3:4]
	s_orn2_b64 s[18:19], vcc, exec
.LBB6_8914:                             ;   in Loop: Header=BB6_8915 Depth=1
	s_or_b64 exec, exec, s[20:21]
	s_and_b64 s[16:17], exec, s[18:19]
	s_or_b64 s[4:5], s[16:17], s[4:5]
	s_andn2_b64 s[12:13], s[12:13], exec
	s_and_b64 s[16:17], s[14:15], exec
	s_or_b64 s[12:13], s[12:13], s[16:17]
	s_andn2_b64 exec, exec, s[4:5]
	s_cbranch_execz .LBB6_8918
.LBB6_8915:                             ; =>This Inner Loop Header: Depth=1
	s_cmpk_lt_i32 s22, 0x270f
	s_cselect_b64 s[16:17], -1, 0
	s_and_b64 vcc, exec, s[16:17]
	s_cbranch_vccnz .LBB6_8917
; %bb.8916:                             ;   in Loop: Header=BB6_8915 Depth=1
	s_trap 2
	ds_read_b64 v[2:3], v0
	s_andn2_b64 s[16:17], s[16:17], exec
	s_mov_b32 s22, 0
	s_waitcnt lgkmcnt(0)
	flat_load_dword v2, v[2:3] glc
	s_waitcnt vmcnt(0) lgkmcnt(0)
	buffer_wbinvl1_vol
	v_cmp_eq_u32_e32 vcc, 0, v2
	s_and_b64 s[18:19], vcc, exec
	s_or_b64 s[16:17], s[16:17], s[18:19]
	s_mov_b64 s[18:19], -1
	s_or_b64 s[14:15], s[14:15], exec
	s_and_saveexec_b64 s[20:21], s[16:17]
	s_cbranch_execz .LBB6_8914
	s_branch .LBB6_8913
.LBB6_8917:                             ;   in Loop: Header=BB6_8915 Depth=1
	s_add_i32 s22, s22, 1
                                        ; implicit-def: $vgpr2
	s_mov_b64 s[18:19], -1
	s_or_b64 s[14:15], s[14:15], exec
	s_and_saveexec_b64 s[20:21], s[16:17]
	s_cbranch_execz .LBB6_8914
	s_branch .LBB6_8913
.LBB6_8918:
	s_or_b64 exec, exec, s[4:5]
	s_and_saveexec_b64 s[4:5], s[12:13]
	s_xor_b64 s[4:5], exec, s[4:5]
	s_cbranch_execz .LBB6_8920
; %bb.8919:
	ds_write_b32 v0, v2
	s_trap 2
.LBB6_8920:
	s_or_b64 exec, exec, s[10:11]
	v_and_b32_e32 v0, 0x2000, v49
	v_cmp_ne_u32_e32 vcc, 0, v0
	s_and_saveexec_b64 s[4:5], vcc
	s_cbranch_execz .LBB6_8922
; %bb.8921:
	s_trap 2
	ds_read_b64 v[0:1], v0
	buffer_load_dword v2, off, s[0:3], s33 offset:412 ; 4-byte Folded Reload
	buffer_load_dword v3, off, s[0:3], s33 offset:416 ; 4-byte Folded Reload
	s_waitcnt vmcnt(0) lgkmcnt(0)
	flat_store_dwordx2 v[2:3], v[0:1] offset:16
.LBB6_8922:
	s_or_b64 exec, exec, s[4:5]
	s_waitcnt vmcnt(0)
	v_cmp_ne_u32_e32 vcc, 64, v27
	s_and_b64 exec, exec, vcc
	s_cbranch_execz .LBB6_8940
; %bb.8923:
	buffer_load_dword v0, off, s[0:3], s33 offset:364 ; 4-byte Folded Reload
	s_waitcnt vmcnt(0)
	v_cmp_ne_u32_sdwa s[4:5], v27, v0 src0_sel:DWORD src1_sel:WORD_0
	s_and_saveexec_b64 s[10:11], s[4:5]
	s_xor_b64 s[4:5], exec, s[10:11]
	s_cbranch_execz .LBB6_8938
; %bb.8924:
	v_and_b32_e32 v0, 63, v31
	v_cmp_eq_u32_e32 vcc, 0, v0
	s_and_saveexec_b64 s[10:11], vcc
	s_cbranch_execz .LBB6_8937
; %bb.8925:
	s_mov_b64 s[14:15], exec
	v_mbcnt_lo_u32_b32 v0, s14, 0
	v_mbcnt_hi_u32_b32 v0, s15, v0
	v_cmp_eq_u32_e32 vcc, 0, v0
	s_waitcnt lgkmcnt(0)
	buffer_wbinvl1_vol
	s_and_saveexec_b64 s[12:13], vcc
	s_cbranch_execz .LBB6_8927
; %bb.8926:
	s_bcnt1_i32_b64 s14, s[14:15]
	v_mov_b32_e32 v0, s14
	v_mov_b32_e32 v1, 0
	ds_add_u64 v0, v[0:1]
	s_trap 2
.LBB6_8927:
	s_or_b64 exec, exec, s[12:13]
	v_lshrrev_b32_e32 v0, 6, v27
	s_trap 2
	ds_read_b64 v[2:3], v0
	s_waitcnt lgkmcnt(0)
	buffer_load_dword v4, off, s[0:3], s33 offset:68 ; 4-byte Folded Reload
	buffer_load_dword v5, off, s[0:3], s33 offset:72 ; 4-byte Folded Reload
	s_waitcnt vmcnt(1)
	v_add_co_u32_e32 v0, vcc, v4, v0
	s_waitcnt vmcnt(0)
	v_addc_co_u32_e32 v1, vcc, 0, v5, vcc
	v_cmp_lt_u64_e32 vcc, v[2:3], v[0:1]
	s_and_saveexec_b64 s[12:13], vcc
	s_cbranch_execz .LBB6_8936
; %bb.8928:
	s_mov_b32 s28, 0
	s_mov_b64 s[14:15], 0
                                        ; implicit-def: $sgpr16_sgpr17
                                        ; implicit-def: $sgpr18_sgpr19
	s_branch .LBB6_8930
.LBB6_8929:                             ;   in Loop: Header=BB6_8930 Depth=1
	s_or_b64 exec, exec, s[22:23]
	s_and_b64 s[20:21], exec, s[24:25]
	s_or_b64 s[14:15], s[20:21], s[14:15]
	s_andn2_b64 s[16:17], s[16:17], exec
	s_and_b64 s[20:21], s[18:19], exec
	s_or_b64 s[16:17], s[16:17], s[20:21]
	s_andn2_b64 exec, exec, s[14:15]
	s_cbranch_execz .LBB6_8934
.LBB6_8930:                             ; =>This Inner Loop Header: Depth=1
	s_add_i32 s28, s28, 1
	s_cmpk_lg_i32 s28, 0x2710
	s_cselect_b64 s[20:21], -1, 0
	s_and_b64 vcc, exec, s[20:21]
	s_cbranch_vccz .LBB6_8932
; %bb.8931:                             ;   in Loop: Header=BB6_8930 Depth=1
	s_mov_b64 s[24:25], -1
	s_or_b64 s[18:19], s[18:19], exec
	s_and_saveexec_b64 s[22:23], s[20:21]
	s_cbranch_execz .LBB6_8929
	s_branch .LBB6_8933
.LBB6_8932:                             ;   in Loop: Header=BB6_8930 Depth=1
	s_trap 2
	ds_read_b64 v[2:3], v0
	s_andn2_b64 s[20:21], s[20:21], exec
	s_mov_b32 s28, 0
	s_waitcnt lgkmcnt(0)
	flat_load_dword v2, v[2:3] glc
	s_waitcnt vmcnt(0) lgkmcnt(0)
	buffer_wbinvl1_vol
	v_cmp_eq_u32_e32 vcc, 0, v2
	s_and_b64 s[22:23], vcc, exec
	s_or_b64 s[20:21], s[20:21], s[22:23]
	s_mov_b64 s[24:25], -1
	s_or_b64 s[18:19], s[18:19], exec
	s_and_saveexec_b64 s[22:23], s[20:21]
	s_cbranch_execz .LBB6_8929
.LBB6_8933:                             ;   in Loop: Header=BB6_8930 Depth=1
	s_sleep 1
	s_trap 2
	ds_read_b64 v[2:3], v0
	s_waitcnt lgkmcnt(0)
	s_andn2_b64 s[18:19], s[18:19], exec
	v_cmp_ge_u64_e32 vcc, v[2:3], v[0:1]
	s_orn2_b64 s[24:25], vcc, exec
	s_branch .LBB6_8929
.LBB6_8934:
	s_or_b64 exec, exec, s[14:15]
	s_and_saveexec_b64 s[14:15], s[16:17]
	s_xor_b64 s[14:15], exec, s[14:15]
	s_cbranch_execz .LBB6_8936
; %bb.8935:
	v_mov_b32_e32 v0, 1
	ds_write_b32 v0, v0
	s_trap 2
.LBB6_8936:
	s_or_b64 exec, exec, s[12:13]
	;;#ASMSTART
	s_wakeup
	;;#ASMEND
.LBB6_8937:
	s_or_b64 exec, exec, s[10:11]
.LBB6_8938:
	s_andn2_saveexec_b64 s[4:5], s[4:5]
	s_cbranch_execz .LBB6_8940
; %bb.8939:
	s_waitcnt lgkmcnt(0)
	buffer_wbinvl1_vol
	s_barrier
.LBB6_8940:
	s_or_b64 exec, exec, s[6:7]
.LBB6_8941:
	s_andn2_saveexec_b64 s[26:27], s[26:27]
	s_cbranch_execz .LBB6_8943
; %bb.8942:
	s_getpc_b64 s[4:5]
	s_add_u32 s4, s4, __PRETTY_FUNCTION__._ZN10PrimitivesI14__hip_fp8_e5m28FuncProdIS0_E12FanSymmetricILi1EELi0E11ProtoSimpleILi1ELi1ELi0ELi4ELi0ELi0EELi0ELb0ELi0ELi0ELi0EEC2EiiPKiS9_PKvPvmhhhP15ncclDevWorkCollP14ncclDevWorkP2pii@rel32@lo+4
	s_addc_u32 s5, s5, __PRETTY_FUNCTION__._ZN10PrimitivesI14__hip_fp8_e5m28FuncProdIS0_E12FanSymmetricILi1EELi0E11ProtoSimpleILi1ELi1ELi0ELi4ELi0ELi0EELi0ELb0ELi0ELi0ELi0EEC2EiiPKiS9_PKvPvmhhhP15ncclDevWorkCollP14ncclDevWorkP2pii@rel32@hi+12
	s_getpc_b64 s[6:7]
	s_add_u32 s6, s6, __assert_fail@rel32@lo+4
	s_addc_u32 s7, s7, __assert_fail@rel32@hi+12
	v_mov_b32_e32 v0, s4
	v_mov_b32_e32 v1, s5
	s_swappc_b64 s[30:31], s[6:7]
	; divergent unreachable
.LBB6_8943:
	s_or_b64 exec, exec, s[26:27]
	buffer_load_dword v62, off, s[0:3], s33 ; 4-byte Folded Reload
	buffer_load_dword v61, off, s[0:3], s33 offset:4 ; 4-byte Folded Reload
	buffer_load_dword v60, off, s[0:3], s33 offset:8 ; 4-byte Folded Reload
	;; [unrolled: 1-line block ×14, first 2 shown]
	v_readlane_b32 s30, v63, 20
	v_readlane_b32 s31, v63, 21
	;; [unrolled: 1-line block ×22, first 2 shown]
	s_mov_b32 s32, s33
	v_readlane_b32 s4, v63, 22
	s_or_saveexec_b64 s[6:7], -1
	buffer_load_dword v63, off, s[0:3], s33 offset:452 ; 4-byte Folded Reload
	s_mov_b64 exec, s[6:7]
	s_mov_b32 s33, s4
	s_waitcnt vmcnt(0) lgkmcnt(0)
	s_setpc_b64 s[30:31]
.Lfunc_end6:
	.size	_ZN12_GLOBAL__N_17runRingI14__hip_fp8_e5m28FuncProdIS1_E11ProtoSimpleILi1ELi1ELi0ELi4ELi0ELi0EELi0ELi4ELi0EEEviiP15ncclDevWorkColl, .Lfunc_end6-_ZN12_GLOBAL__N_17runRingI14__hip_fp8_e5m28FuncProdIS1_E11ProtoSimpleILi1ELi1ELi0ELi4ELi0ELi0EELi0ELi4ELi0EEEviiP15ncclDevWorkColl
                                        ; -- End function
	.set .L_ZN12_GLOBAL__N_17runRingI14__hip_fp8_e5m28FuncProdIS1_E11ProtoSimpleILi1ELi1ELi0ELi4ELi0ELi0EELi0ELi4ELi0EEEviiP15ncclDevWorkColl.num_vgpr, max(64, .L__assert_fail.num_vgpr)
	.set .L_ZN12_GLOBAL__N_17runRingI14__hip_fp8_e5m28FuncProdIS1_E11ProtoSimpleILi1ELi1ELi0ELi4ELi0ELi0EELi0ELi4ELi0EEEviiP15ncclDevWorkColl.num_agpr, max(0, .L__assert_fail.num_agpr)
	.set .L_ZN12_GLOBAL__N_17runRingI14__hip_fp8_e5m28FuncProdIS1_E11ProtoSimpleILi1ELi1ELi0ELi4ELi0ELi0EELi0ELi4ELi0EEEviiP15ncclDevWorkColl.numbered_sgpr, max(96, .L__assert_fail.numbered_sgpr)
	.set .L_ZN12_GLOBAL__N_17runRingI14__hip_fp8_e5m28FuncProdIS1_E11ProtoSimpleILi1ELi1ELi0ELi4ELi0ELi0EELi0ELi4ELi0EEEviiP15ncclDevWorkColl.num_named_barrier, max(0, .L__assert_fail.num_named_barrier)
	.set .L_ZN12_GLOBAL__N_17runRingI14__hip_fp8_e5m28FuncProdIS1_E11ProtoSimpleILi1ELi1ELi0ELi4ELi0ELi0EELi0ELi4ELi0EEEviiP15ncclDevWorkColl.private_seg_size, 464+max(.L__assert_fail.private_seg_size)
	.set .L_ZN12_GLOBAL__N_17runRingI14__hip_fp8_e5m28FuncProdIS1_E11ProtoSimpleILi1ELi1ELi0ELi4ELi0ELi0EELi0ELi4ELi0EEEviiP15ncclDevWorkColl.uses_vcc, or(1, .L__assert_fail.uses_vcc)
	.set .L_ZN12_GLOBAL__N_17runRingI14__hip_fp8_e5m28FuncProdIS1_E11ProtoSimpleILi1ELi1ELi0ELi4ELi0ELi0EELi0ELi4ELi0EEEviiP15ncclDevWorkColl.uses_flat_scratch, or(0, .L__assert_fail.uses_flat_scratch)
	.set .L_ZN12_GLOBAL__N_17runRingI14__hip_fp8_e5m28FuncProdIS1_E11ProtoSimpleILi1ELi1ELi0ELi4ELi0ELi0EELi0ELi4ELi0EEEviiP15ncclDevWorkColl.has_dyn_sized_stack, or(0, .L__assert_fail.has_dyn_sized_stack)
	.set .L_ZN12_GLOBAL__N_17runRingI14__hip_fp8_e5m28FuncProdIS1_E11ProtoSimpleILi1ELi1ELi0ELi4ELi0ELi0EELi0ELi4ELi0EEEviiP15ncclDevWorkColl.has_recursion, or(1, .L__assert_fail.has_recursion)
	.set .L_ZN12_GLOBAL__N_17runRingI14__hip_fp8_e5m28FuncProdIS1_E11ProtoSimpleILi1ELi1ELi0ELi4ELi0ELi0EELi0ELi4ELi0EEEviiP15ncclDevWorkColl.has_indirect_call, or(0, .L__assert_fail.has_indirect_call)
	.section	.AMDGPU.csdata,"",@progbits
; Function info:
; codeLenInByte = 252600
; TotalNumSgprs: 100
; NumVgprs: 64
; ScratchSize: 528
; MemoryBound: 1
	.text
	.p2align	2                               ; -- Begin function _Z48ncclDevFunc_Reduce_RING_SIMPLE_Prod_f8e5m2_0_0_4v
	.type	_Z48ncclDevFunc_Reduce_RING_SIMPLE_Prod_f8e5m2_0_0_4v,@function
_Z48ncclDevFunc_Reduce_RING_SIMPLE_Prod_f8e5m2_0_0_4v: ; @_Z48ncclDevFunc_Reduce_RING_SIMPLE_Prod_f8e5m2_0_0_4v
; %bb.0:
	s_waitcnt vmcnt(0) expcnt(0) lgkmcnt(0)
	s_mov_b32 s4, s33
	s_mov_b32 s33, s32
	s_or_saveexec_b64 s[6:7], -1
	buffer_store_dword v43, off, s[0:3], s33 offset:16 ; 4-byte Folded Spill
	s_mov_b64 exec, s[6:7]
	v_writelane_b32 v43, s4, 30
	s_addk_i32 s32, 0x800
	buffer_store_dword v40, off, s[0:3], s33 offset:12 ; 4-byte Folded Spill
	buffer_store_dword v41, off, s[0:3], s33 offset:8 ; 4-byte Folded Spill
	;; [unrolled: 1-line block ×3, first 2 shown]
	buffer_store_dword v63, off, s[0:3], s33 ; 4-byte Folded Spill
	v_writelane_b32 v43, s34, 0
	v_writelane_b32 v43, s35, 1
	;; [unrolled: 1-line block ×30, first 2 shown]
	s_trap 2
	ds_read_b32 v0, v0
	v_mov_b32_e32 v40, v31
	s_mov_b32 s82, s12
	s_mov_b64 s[80:81], s[8:9]
	s_waitcnt lgkmcnt(0)
	v_cmp_gt_i32_e32 vcc, 1, v0
	s_cbranch_vccnz .LBB7_8
; %bb.1:
	s_mov_b32 s83, 0
	v_and_b32_e32 v41, 0x3ff, v40
	v_mov_b32_e32 v42, 6
	s_branch .LBB7_3
.LBB7_2:                                ;   in Loop: Header=BB7_3 Depth=1
	s_or_b64 exec, exec, s[84:85]
	s_trap 2
	ds_read_b32 v0, v0
	s_add_i32 s83, s83, 1
	s_waitcnt lgkmcnt(0)
	v_cmp_lt_i32_e32 vcc, s83, v0
	s_cbranch_vccz .LBB7_8
.LBB7_3:                                ; =>This Inner Loop Header: Depth=1
	s_trap 2
	ds_read_b32 v0, v0
	s_cmp_eq_u32 s83, 0
	s_cbranch_scc1 .LBB7_6
; %bb.4:                                ;   in Loop: Header=BB7_3 Depth=1
	s_trap 2
	s_waitcnt lgkmcnt(0)
	ds_read_b32 v1, v0
	s_waitcnt lgkmcnt(0)
	v_xor_b32_e32 v1, v1, v0
	v_and_b32_e32 v1, 0xff0000, v1
	v_cmp_eq_u32_e32 vcc, 0, v1
	s_cbranch_vccnz .LBB7_6
; %bb.5:                                ;   in Loop: Header=BB7_3 Depth=1
	s_waitcnt vmcnt(0)
	s_barrier
	ds_read_b32 v0, v0
.LBB7_6:                                ;   in Loop: Header=BB7_3 Depth=1
	s_waitcnt lgkmcnt(0)
	v_lshlrev_b32_sdwa v1, v42, v0 dst_sel:DWORD dst_unused:UNUSED_PAD src0_sel:DWORD src1_sel:BYTE_2
	v_cmp_lt_u32_e32 vcc, v41, v1
	s_and_saveexec_b64 s[84:85], vcc
	s_cbranch_execz .LBB7_2
; %bb.7:                                ;   in Loop: Header=BB7_3 Depth=1
	s_mov_b64 s[4:5], src_shared_base
	s_getpc_b64 s[6:7]
	s_add_u32 s6, s6, _ZN12_GLOBAL__N_17runRingI14__hip_fp8_e5m28FuncProdIS1_E11ProtoSimpleILi1ELi1ELi0ELi4ELi0ELi0EELi0ELi4ELi0EEEviiP15ncclDevWorkColl@rel32@lo+4
	s_addc_u32 s7, s7, _ZN12_GLOBAL__N_17runRingI14__hip_fp8_e5m28FuncProdIS1_E11ProtoSimpleILi1ELi1ELi0ELi4ELi0ELi0EELi0ELi4ELi0EEEviiP15ncclDevWorkColl@rel32@hi+12
	s_mov_b64 s[8:9], s[80:81]
	s_mov_b32 s12, s82
	v_mov_b32_e32 v31, v40
	v_mov_b32_e32 v0, v41
	;; [unrolled: 1-line block ×3, first 2 shown]
	s_swappc_b64 s[30:31], s[6:7]
	s_branch .LBB7_2
.LBB7_8:
	buffer_load_dword v63, off, s[0:3], s33 ; 4-byte Folded Reload
	buffer_load_dword v42, off, s[0:3], s33 offset:4 ; 4-byte Folded Reload
	buffer_load_dword v41, off, s[0:3], s33 offset:8 ; 4-byte Folded Reload
	;; [unrolled: 1-line block ×3, first 2 shown]
	v_readlane_b32 s30, v43, 28
	v_readlane_b32 s31, v43, 29
	;; [unrolled: 1-line block ×30, first 2 shown]
	s_mov_b32 s32, s33
	v_readlane_b32 s4, v43, 30
	s_or_saveexec_b64 s[6:7], -1
	buffer_load_dword v43, off, s[0:3], s33 offset:16 ; 4-byte Folded Reload
	s_mov_b64 exec, s[6:7]
	s_mov_b32 s33, s4
	s_waitcnt vmcnt(0)
	s_setpc_b64 s[30:31]
.Lfunc_end7:
	.size	_Z48ncclDevFunc_Reduce_RING_SIMPLE_Prod_f8e5m2_0_0_4v, .Lfunc_end7-_Z48ncclDevFunc_Reduce_RING_SIMPLE_Prod_f8e5m2_0_0_4v
                                        ; -- End function
	.set .L_Z48ncclDevFunc_Reduce_RING_SIMPLE_Prod_f8e5m2_0_0_4v.num_vgpr, max(64, .L_ZN12_GLOBAL__N_17runRingI14__hip_fp8_e5m28FuncProdIS1_E11ProtoSimpleILi1ELi1ELi0ELi4ELi0ELi0EELi0ELi4ELi0EEEviiP15ncclDevWorkColl.num_vgpr)
	.set .L_Z48ncclDevFunc_Reduce_RING_SIMPLE_Prod_f8e5m2_0_0_4v.num_agpr, max(0, .L_ZN12_GLOBAL__N_17runRingI14__hip_fp8_e5m28FuncProdIS1_E11ProtoSimpleILi1ELi1ELi0ELi4ELi0ELi0EELi0ELi4ELi0EEEviiP15ncclDevWorkColl.num_agpr)
	.set .L_Z48ncclDevFunc_Reduce_RING_SIMPLE_Prod_f8e5m2_0_0_4v.numbered_sgpr, max(86, .L_ZN12_GLOBAL__N_17runRingI14__hip_fp8_e5m28FuncProdIS1_E11ProtoSimpleILi1ELi1ELi0ELi4ELi0ELi0EELi0ELi4ELi0EEEviiP15ncclDevWorkColl.numbered_sgpr)
	.set .L_Z48ncclDevFunc_Reduce_RING_SIMPLE_Prod_f8e5m2_0_0_4v.num_named_barrier, max(0, .L_ZN12_GLOBAL__N_17runRingI14__hip_fp8_e5m28FuncProdIS1_E11ProtoSimpleILi1ELi1ELi0ELi4ELi0ELi0EELi0ELi4ELi0EEEviiP15ncclDevWorkColl.num_named_barrier)
	.set .L_Z48ncclDevFunc_Reduce_RING_SIMPLE_Prod_f8e5m2_0_0_4v.private_seg_size, 32+max(.L_ZN12_GLOBAL__N_17runRingI14__hip_fp8_e5m28FuncProdIS1_E11ProtoSimpleILi1ELi1ELi0ELi4ELi0ELi0EELi0ELi4ELi0EEEviiP15ncclDevWorkColl.private_seg_size)
	.set .L_Z48ncclDevFunc_Reduce_RING_SIMPLE_Prod_f8e5m2_0_0_4v.uses_vcc, or(1, .L_ZN12_GLOBAL__N_17runRingI14__hip_fp8_e5m28FuncProdIS1_E11ProtoSimpleILi1ELi1ELi0ELi4ELi0ELi0EELi0ELi4ELi0EEEviiP15ncclDevWorkColl.uses_vcc)
	.set .L_Z48ncclDevFunc_Reduce_RING_SIMPLE_Prod_f8e5m2_0_0_4v.uses_flat_scratch, or(0, .L_ZN12_GLOBAL__N_17runRingI14__hip_fp8_e5m28FuncProdIS1_E11ProtoSimpleILi1ELi1ELi0ELi4ELi0ELi0EELi0ELi4ELi0EEEviiP15ncclDevWorkColl.uses_flat_scratch)
	.set .L_Z48ncclDevFunc_Reduce_RING_SIMPLE_Prod_f8e5m2_0_0_4v.has_dyn_sized_stack, or(0, .L_ZN12_GLOBAL__N_17runRingI14__hip_fp8_e5m28FuncProdIS1_E11ProtoSimpleILi1ELi1ELi0ELi4ELi0ELi0EELi0ELi4ELi0EEEviiP15ncclDevWorkColl.has_dyn_sized_stack)
	.set .L_Z48ncclDevFunc_Reduce_RING_SIMPLE_Prod_f8e5m2_0_0_4v.has_recursion, or(1, .L_ZN12_GLOBAL__N_17runRingI14__hip_fp8_e5m28FuncProdIS1_E11ProtoSimpleILi1ELi1ELi0ELi4ELi0ELi0EELi0ELi4ELi0EEEviiP15ncclDevWorkColl.has_recursion)
	.set .L_Z48ncclDevFunc_Reduce_RING_SIMPLE_Prod_f8e5m2_0_0_4v.has_indirect_call, or(0, .L_ZN12_GLOBAL__N_17runRingI14__hip_fp8_e5m28FuncProdIS1_E11ProtoSimpleILi1ELi1ELi0ELi4ELi0ELi0EELi0ELi4ELi0EEEviiP15ncclDevWorkColl.has_indirect_call)
	.section	.AMDGPU.csdata,"",@progbits
; Function info:
; codeLenInByte = 864
; TotalNumSgprs: 100
; NumVgprs: 64
; ScratchSize: 560
; MemoryBound: 0
	.section	.AMDGPU.gpr_maximums,"",@progbits
	.set amdgpu.max_num_vgpr, 64
	.set amdgpu.max_num_agpr, 0
	.set amdgpu.max_num_sgpr, 96
	.section	.AMDGPU.csdata,"",@progbits
	.type	__const.__assert_fail.fmt,@object ; @__const.__assert_fail.fmt
	.section	.rodata.str1.16,"aMS",@progbits,1
	.p2align	4, 0x0
__const.__assert_fail.fmt:
	.asciz	"%s:%u: %s: Device-side assertion `%s' failed.\n"
	.size	__const.__assert_fail.fmt, 47

	.type	.str.3,@object                  ; @.str.3
	.section	.rodata.str1.1,"aMS",@progbits,1
.str.3:
	.asciz	"2*(nrecv+nsend) <= nthreads"
	.size	.str.3, 28

	.type	.str.4,@object                  ; @.str.4
.str.4:
	.asciz	"/root/src/amdgpu-assembly/repos/ROCm__rccl/hipify/src/device/prims_simple.h"
	.size	.str.4, 76

	.type	__PRETTY_FUNCTION__._ZN10PrimitivesI14__hip_fp8_e5m28FuncProdIS0_E12FanSymmetricILi1EELi0E11ProtoSimpleILi1ELi1ELi0ELi1ELi0ELi0EELi0ELb0ELi0ELi0ELi0EEC2EiiPKiS9_PKvPvmhhhP15ncclDevWorkCollP14ncclDevWorkP2pii,@object ; @__PRETTY_FUNCTION__._ZN10PrimitivesI14__hip_fp8_e5m28FuncProdIS0_E12FanSymmetricILi1EELi0E11ProtoSimpleILi1ELi1ELi0ELi1ELi0ELi0EELi0ELb0ELi0ELi0ELi0EEC2EiiPKiS9_PKvPvmhhhP15ncclDevWorkCollP14ncclDevWorkP2pii
__PRETTY_FUNCTION__._ZN10PrimitivesI14__hip_fp8_e5m28FuncProdIS0_E12FanSymmetricILi1EELi0E11ProtoSimpleILi1ELi1ELi0ELi1ELi0ELi0EELi0ELb0ELi0ELi0ELi0EEC2EiiPKiS9_PKvPvmhhhP15ncclDevWorkCollP14ncclDevWorkP2pii:
	.asciz	"Primitives<__hip_fp8_e5m2, FuncProd<__hip_fp8_e5m2>, FanSymmetric<1>, 0, ProtoSimple<1, 1, 0, 1>, 0>::Primitives(int, int, const int *, const int *, const void *, void *, uint64_t, uint8_t, uint8_t, uint8_t, struct ncclDevWorkColl *, struct ncclDevWorkP2p *, int, int) [T = __hip_fp8_e5m2, RedOp = FuncProd<__hip_fp8_e5m2>, Fan = FanSymmetric<1>, Direct = 0, Proto = ProtoSimple<1, 1, 0, 1>, P2p = 0, isNetOffload = false, Metadata = 0, Pipeline = 0, useAcc = 0]"
	.size	__PRETTY_FUNCTION__._ZN10PrimitivesI14__hip_fp8_e5m28FuncProdIS0_E12FanSymmetricILi1EELi0E11ProtoSimpleILi1ELi1ELi0ELi1ELi0ELi0EELi0ELb0ELi0ELi0ELi0EEC2EiiPKiS9_PKvPvmhhhP15ncclDevWorkCollP14ncclDevWorkP2pii, 463

	.type	__PRETTY_FUNCTION__._ZN10PrimitivesI14__hip_fp8_e5m28FuncProdIS0_E12FanSymmetricILi1EELi0E11ProtoSimpleILi1ELi1ELi0ELi2ELi0ELi0EELi0ELb0ELi0ELi0ELi0EEC2EiiPKiS9_PKvPvmhhhP15ncclDevWorkCollP14ncclDevWorkP2pii,@object ; @__PRETTY_FUNCTION__._ZN10PrimitivesI14__hip_fp8_e5m28FuncProdIS0_E12FanSymmetricILi1EELi0E11ProtoSimpleILi1ELi1ELi0ELi2ELi0ELi0EELi0ELb0ELi0ELi0ELi0EEC2EiiPKiS9_PKvPvmhhhP15ncclDevWorkCollP14ncclDevWorkP2pii
__PRETTY_FUNCTION__._ZN10PrimitivesI14__hip_fp8_e5m28FuncProdIS0_E12FanSymmetricILi1EELi0E11ProtoSimpleILi1ELi1ELi0ELi2ELi0ELi0EELi0ELb0ELi0ELi0ELi0EEC2EiiPKiS9_PKvPvmhhhP15ncclDevWorkCollP14ncclDevWorkP2pii:
	.asciz	"Primitives<__hip_fp8_e5m2, FuncProd<__hip_fp8_e5m2>, FanSymmetric<1>, 0, ProtoSimple<1, 1, 0, 2>, 0>::Primitives(int, int, const int *, const int *, const void *, void *, uint64_t, uint8_t, uint8_t, uint8_t, struct ncclDevWorkColl *, struct ncclDevWorkP2p *, int, int) [T = __hip_fp8_e5m2, RedOp = FuncProd<__hip_fp8_e5m2>, Fan = FanSymmetric<1>, Direct = 0, Proto = ProtoSimple<1, 1, 0, 2>, P2p = 0, isNetOffload = false, Metadata = 0, Pipeline = 0, useAcc = 0]"
	.size	__PRETTY_FUNCTION__._ZN10PrimitivesI14__hip_fp8_e5m28FuncProdIS0_E12FanSymmetricILi1EELi0E11ProtoSimpleILi1ELi1ELi0ELi2ELi0ELi0EELi0ELb0ELi0ELi0ELi0EEC2EiiPKiS9_PKvPvmhhhP15ncclDevWorkCollP14ncclDevWorkP2pii, 463

	.type	__PRETTY_FUNCTION__._ZN10PrimitivesI14__hip_fp8_e5m28FuncProdIS0_E12FanSymmetricILi1EELi0E11ProtoSimpleILi1ELi1ELi0ELi4ELi0ELi0EELi0ELb0ELi0ELi0ELi0EEC2EiiPKiS9_PKvPvmhhhP15ncclDevWorkCollP14ncclDevWorkP2pii,@object ; @__PRETTY_FUNCTION__._ZN10PrimitivesI14__hip_fp8_e5m28FuncProdIS0_E12FanSymmetricILi1EELi0E11ProtoSimpleILi1ELi1ELi0ELi4ELi0ELi0EELi0ELb0ELi0ELi0ELi0EEC2EiiPKiS9_PKvPvmhhhP15ncclDevWorkCollP14ncclDevWorkP2pii
__PRETTY_FUNCTION__._ZN10PrimitivesI14__hip_fp8_e5m28FuncProdIS0_E12FanSymmetricILi1EELi0E11ProtoSimpleILi1ELi1ELi0ELi4ELi0ELi0EELi0ELb0ELi0ELi0ELi0EEC2EiiPKiS9_PKvPvmhhhP15ncclDevWorkCollP14ncclDevWorkP2pii:
	.asciz	"Primitives<__hip_fp8_e5m2, FuncProd<__hip_fp8_e5m2>, FanSymmetric<1>, 0, ProtoSimple<1, 1, 0, 4>, 0>::Primitives(int, int, const int *, const int *, const void *, void *, uint64_t, uint8_t, uint8_t, uint8_t, struct ncclDevWorkColl *, struct ncclDevWorkP2p *, int, int) [T = __hip_fp8_e5m2, RedOp = FuncProd<__hip_fp8_e5m2>, Fan = FanSymmetric<1>, Direct = 0, Proto = ProtoSimple<1, 1, 0, 4>, P2p = 0, isNetOffload = false, Metadata = 0, Pipeline = 0, useAcc = 0]"
	.size	__PRETTY_FUNCTION__._ZN10PrimitivesI14__hip_fp8_e5m28FuncProdIS0_E12FanSymmetricILi1EELi0E11ProtoSimpleILi1ELi1ELi0ELi4ELi0ELi0EELi0ELb0ELi0ELi0ELi0EEC2EiiPKiS9_PKvPvmhhhP15ncclDevWorkCollP14ncclDevWorkP2pii, 463

	.type	__hip_cuid_bd57f98959e476c5,@object ; @__hip_cuid_bd57f98959e476c5
	.section	.bss,"aw",@nobits
	.globl	__hip_cuid_bd57f98959e476c5
__hip_cuid_bd57f98959e476c5:
	.byte	0                               ; 0x0
	.size	__hip_cuid_bd57f98959e476c5, 1

	.ident	"AMD clang version 22.0.0git (https://github.com/RadeonOpenCompute/llvm-project roc-7.2.4 26084 f58b06dce1f9c15707c5f808fd002e18c2accf7e)"
	.section	".note.GNU-stack","",@progbits
	.addrsig
	.addrsig_sym _Z48ncclDevFunc_Reduce_RING_SIMPLE_Prod_f8e5m2_0_0_1v
	.addrsig_sym _Z48ncclDevFunc_Reduce_RING_SIMPLE_Prod_f8e5m2_0_0_2v
	.addrsig_sym _Z48ncclDevFunc_Reduce_RING_SIMPLE_Prod_f8e5m2_0_0_4v
	.addrsig_sym ncclShmem
	.addrsig_sym __hip_cuid_bd57f98959e476c5
	.amdgpu_metadata
---
amdhsa.kernels:  []
amdhsa.target:   amdgcn-amd-amdhsa--gfx906
amdhsa.version:
  - 1
  - 2
...

	.end_amdgpu_metadata
